;; amdgpu-corpus repo=pytorch/pytorch kind=compiled arch=gfx1100 opt=O3
	.text
	.amdgcn_target "amdgcn-amd-amdhsa--gfx1100"
	.amdhsa_code_object_version 6
	.section	.text._ZN2at6native12_GLOBAL__N_16kernel17lstm_cell_forwardIddiLi1EEEvNS_4cuda6detail10TensorInfoIT_T1_EES9_S9_S9_S9_S9_S9_S9_S8_S8_,"axG",@progbits,_ZN2at6native12_GLOBAL__N_16kernel17lstm_cell_forwardIddiLi1EEEvNS_4cuda6detail10TensorInfoIT_T1_EES9_S9_S9_S9_S9_S9_S9_S8_S8_,comdat
	.globl	_ZN2at6native12_GLOBAL__N_16kernel17lstm_cell_forwardIddiLi1EEEvNS_4cuda6detail10TensorInfoIT_T1_EES9_S9_S9_S9_S9_S9_S9_S8_S8_ ; -- Begin function _ZN2at6native12_GLOBAL__N_16kernel17lstm_cell_forwardIddiLi1EEEvNS_4cuda6detail10TensorInfoIT_T1_EES9_S9_S9_S9_S9_S9_S9_S8_S8_
	.p2align	8
	.type	_ZN2at6native12_GLOBAL__N_16kernel17lstm_cell_forwardIddiLi1EEEvNS_4cuda6detail10TensorInfoIT_T1_EES9_S9_S9_S9_S9_S9_S9_S8_S8_,@function
_ZN2at6native12_GLOBAL__N_16kernel17lstm_cell_forwardIddiLi1EEEvNS_4cuda6detail10TensorInfoIT_T1_EES9_S9_S9_S9_S9_S9_S9_S8_S8_: ; @_ZN2at6native12_GLOBAL__N_16kernel17lstm_cell_forwardIddiLi1EEEvNS_4cuda6detail10TensorInfoIT_T1_EES9_S9_S9_S9_S9_S9_S9_S8_S8_
; %bb.0:
	s_clause 0x1
	s_load_b32 s6, s[0:1], 0x6d4
	s_load_b64 s[4:5], s[0:1], 0x6c0
	s_add_u32 s2, s0, 0x6c8
	s_addc_u32 s3, s1, 0
	s_waitcnt lgkmcnt(0)
	s_and_b32 s50, s6, 0xffff
	s_mov_b32 s6, exec_lo
	v_mad_u64_u32 v[1:2], null, s15, s50, v[0:1]
	s_delay_alu instid0(VALU_DEP_1)
	v_cmpx_gt_i32_e64 s5, v1
	s_cbranch_execz .LBB0_5
; %bb.1:
	s_clause 0xf
	s_load_b64 s[6:7], s[0:1], 0x1b0
	s_load_b64 s[8:9], s[0:1], 0x0
	s_load_b32 s33, s[0:1], 0x6c
	s_load_b64 s[10:11], s[0:1], 0xd8
	s_load_b32 s58, s[0:1], 0x144
	s_load_b32 s59, s[0:1], 0x21c
	s_load_b64 s[12:13], s[0:1], 0x288
	s_load_b32 s60, s[0:1], 0x2f4
	s_load_b64 s[14:15], s[0:1], 0x360
	;; [unrolled: 2-line block ×5, first 2 shown]
	s_load_b32 s61, s[0:1], 0x654
	s_load_b32 s65, s[2:3], 0x0
	s_mov_b32 s54, 0xfefa3000
	s_mov_b32 s55, 0xbfe62e42
	;; [unrolled: 1-line block ×3, first 2 shown]
	s_waitcnt lgkmcnt(0)
	s_cmp_lg_u64 s[6:7], 0
	s_mov_b32 s24, 0x652b82fe
	s_cselect_b32 s62, -1, 0
	s_abs_i32 s63, s4
	s_mov_b32 s26, 0x3b39803f
	v_cvt_f32_u32_e32 v0, s63
	s_sub_i32 s0, 0, s63
	s_mov_b32 s28, 0xfca7ab0c
	s_mov_b32 s30, 0x6a5dcb37
	v_mul_lo_u32 v2, v1, s51
	v_rcp_iflag_f32_e32 v0, v0
	v_mul_lo_u32 v4, v1, s52
	s_mov_b32 s34, 0x623fde64
	v_mul_lo_u32 v6, v1, s53
	s_mov_b32 s36, 0x7c89e6b0
	s_mov_b32 s38, 0x14761f6e
	s_mul_i32 s65, s65, s50
	s_mov_b32 s40, 0x1852b7b0
	s_mov_b32 s42, 0x11122322
	;; [unrolled: 1-line block ×3, first 2 shown]
	s_waitcnt_depctr 0xfff
	v_mul_f32_e32 v0, 0x4f7ffffe, v0
	s_mov_b32 s46, 0x55555511
	s_mov_b32 s48, 11
	s_mul_i32 s68, s65, s51
	s_mul_i32 s69, s65, s52
	v_cvt_u32_f32_e32 v0, v0
	s_mul_i32 s70, s65, s53
	s_mov_b32 s50, 0xf278e000
	s_mov_b32 s52, 0xf97b57a0
	;; [unrolled: 1-line block ×3, first 2 shown]
	v_mul_lo_u32 v3, s0, v0
	s_mul_i32 s64, s4, 3
	s_mov_b32 s23, 0xbff71547
	s_mov_b32 s25, 0x3ff71547
	;; [unrolled: 1-line block ×6, first 2 shown]
	v_mul_hi_u32 v3, v0, v3
	s_mov_b32 s37, 0x3efa0199
	s_mov_b32 s39, 0x3f2a01a0
	;; [unrolled: 1-line block ×7, first 2 shown]
	v_add_nc_u32_e32 v0, v0, v3
	s_ashr_i32 s66, s4, 31
	s_sub_i32 s67, 0, s4
	s_mov_b32 s51, 0x3d53de6a
	s_mov_b32 s53, 0x3ac9cc01
	;; [unrolled: 1-line block ×4, first 2 shown]
	s_branch .LBB0_3
.LBB0_2:                                ;   in Loop: Header=BB0_3 Depth=1
	s_waitcnt vmcnt(2)
	v_add_f64 v[30:31], v[30:31], v[34:35]
	v_add_f64 v[20:21], v[20:21], v[24:25]
	;; [unrolled: 1-line block ×3, first 2 shown]
	s_waitcnt vmcnt(1)
	v_add_f64 v[10:11], v[10:11], v[12:13]
	v_mul_lo_u32 v8, v8, s61
	v_add_nc_u32_e32 v2, s68, v2
	v_add_nc_u32_e32 v1, s65, v1
	v_add_f64 v[30:31], v[30:31], v[42:43]
	v_add_f64 v[20:21], v[20:21], v[38:39]
	;; [unrolled: 1-line block ×4, first 2 shown]
	s_delay_alu instid0(VALU_DEP_4) | instskip(NEXT) | instid1(VALU_DEP_4)
	v_add_f64 v[30:31], v[40:41], v[30:31]
	v_add_f64 v[20:21], v[32:33], v[20:21]
	s_delay_alu instid0(VALU_DEP_4) | instskip(SKIP_1) | instid1(VALU_DEP_4)
	v_add_f64 v[22:23], v[28:29], v[22:23]
	s_waitcnt vmcnt(0)
	v_add_f64 v[10:11], v[16:17], v[10:11]
	s_delay_alu instid0(VALU_DEP_4) | instskip(NEXT) | instid1(VALU_DEP_4)
	v_mul_f64 v[34:35], |v[30:31]|, s[24:25]
	v_mul_f64 v[28:29], v[20:21], s[22:23]
	s_delay_alu instid0(VALU_DEP_4)
	v_mul_f64 v[32:33], v[22:23], s[22:23]
	v_cmp_nlt_f64_e64 s1, 0x4090cc00, v[20:21]
	v_cmp_ngt_f64_e64 s2, 0xc0900000, v[22:23]
	v_rndne_f64_e32 v[34:35], v[34:35]
	v_rndne_f64_e32 v[28:29], v[28:29]
	;; [unrolled: 1-line block ×3, first 2 shown]
	s_delay_alu instid0(VALU_DEP_3) | instskip(SKIP_2) | instid1(VALU_DEP_4)
	v_fma_f64 v[40:41], v[34:35], s[54:55], |v[30:31]|
	v_mul_f64 v[42:43], v[34:35], s[50:51]
	v_cvt_i32_f64_e32 v5, v[34:35]
	v_fma_f64 v[38:39], v[32:33], s[56:57], -v[22:23]
	s_delay_alu instid0(VALU_DEP_4) | instskip(NEXT) | instid1(VALU_DEP_2)
	v_add_f64 v[44:45], v[40:41], 0
	v_fma_f64 v[38:39], v[32:33], s[26:27], v[38:39]
	s_delay_alu instid0(VALU_DEP_2) | instskip(SKIP_1) | instid1(VALU_DEP_2)
	v_add_f64 v[46:47], v[44:45], -v[42:43]
	v_add_f64 v[40:41], v[40:41], -v[44:45]
	;; [unrolled: 1-line block ×3, first 2 shown]
	s_delay_alu instid0(VALU_DEP_2) | instskip(NEXT) | instid1(VALU_DEP_2)
	v_add_f64 v[40:41], v[40:41], 0
	v_add_f64 v[42:43], v[44:45], -v[42:43]
	s_delay_alu instid0(VALU_DEP_1) | instskip(SKIP_1) | instid1(VALU_DEP_2)
	v_add_f64 v[40:41], v[40:41], v[42:43]
	v_mul_f64 v[42:43], v[34:35], s[52:53]
	v_add_f64 v[44:45], v[46:47], v[40:41]
	s_delay_alu instid0(VALU_DEP_1) | instskip(SKIP_1) | instid1(VALU_DEP_2)
	v_add_f64 v[48:49], v[44:45], -v[42:43]
	v_add_f64 v[46:47], v[46:47], -v[44:45]
	v_add_f64 v[44:45], v[44:45], -v[48:49]
	s_delay_alu instid0(VALU_DEP_2) | instskip(NEXT) | instid1(VALU_DEP_2)
	v_add_f64 v[40:41], v[40:41], v[46:47]
	v_add_f64 v[42:43], v[44:45], -v[42:43]
	s_delay_alu instid0(VALU_DEP_1) | instskip(NEXT) | instid1(VALU_DEP_1)
	v_add_f64 v[40:41], v[40:41], v[42:43]
	v_add_f64 v[42:43], v[48:49], v[40:41]
	s_delay_alu instid0(VALU_DEP_1) | instskip(SKIP_2) | instid1(VALU_DEP_3)
	v_fma_f64 v[44:45], v[42:43], s[30:31], s[28:29]
	v_add_f64 v[46:47], v[48:49], -v[42:43]
	v_mul_f64 v[48:49], v[42:43], v[42:43]
	v_fma_f64 v[44:45], v[42:43], v[44:45], s[34:35]
	s_delay_alu instid0(VALU_DEP_3) | instskip(NEXT) | instid1(VALU_DEP_3)
	v_add_f64 v[40:41], v[40:41], v[46:47]
	v_fma_f64 v[46:47], v[42:43], v[42:43], -v[48:49]
	s_delay_alu instid0(VALU_DEP_3) | instskip(NEXT) | instid1(VALU_DEP_3)
	v_fma_f64 v[44:45], v[42:43], v[44:45], s[36:37]
	v_add_f64 v[50:51], v[40:41], v[40:41]
	s_delay_alu instid0(VALU_DEP_2) | instskip(NEXT) | instid1(VALU_DEP_2)
	v_fma_f64 v[44:45], v[42:43], v[44:45], s[38:39]
	v_fma_f64 v[46:47], v[42:43], v[50:51], v[46:47]
	s_delay_alu instid0(VALU_DEP_2) | instskip(NEXT) | instid1(VALU_DEP_2)
	v_fma_f64 v[44:45], v[42:43], v[44:45], s[40:41]
	v_add_f64 v[50:51], v[48:49], v[46:47]
	s_delay_alu instid0(VALU_DEP_2) | instskip(NEXT) | instid1(VALU_DEP_2)
	v_fma_f64 v[44:45], v[42:43], v[44:45], s[42:43]
	v_add_f64 v[48:49], v[50:51], -v[48:49]
	s_delay_alu instid0(VALU_DEP_2) | instskip(NEXT) | instid1(VALU_DEP_2)
	v_fma_f64 v[44:45], v[42:43], v[44:45], s[44:45]
	v_add_f64 v[46:47], v[46:47], -v[48:49]
	s_delay_alu instid0(VALU_DEP_2) | instskip(NEXT) | instid1(VALU_DEP_1)
	v_fma_f64 v[44:45], v[42:43], v[44:45], s[46:47]
	v_fma_f64 v[44:45], v[42:43], v[44:45], s[48:49]
	s_delay_alu instid0(VALU_DEP_1) | instskip(NEXT) | instid1(VALU_DEP_1)
	v_mul_f64 v[52:53], v[50:51], v[44:45]
	v_fma_f64 v[48:49], v[50:51], v[44:45], -v[52:53]
	s_delay_alu instid0(VALU_DEP_1) | instskip(NEXT) | instid1(VALU_DEP_1)
	v_fma_f64 v[44:45], v[46:47], v[44:45], v[48:49]
	v_add_f64 v[46:47], v[52:53], v[44:45]
	s_delay_alu instid0(VALU_DEP_1) | instskip(SKIP_1) | instid1(VALU_DEP_2)
	v_add_f64 v[48:49], v[42:43], v[46:47]
	v_add_f64 v[50:51], v[46:47], -v[52:53]
	v_add_f64 v[42:43], v[48:49], -v[42:43]
	s_delay_alu instid0(VALU_DEP_2) | instskip(NEXT) | instid1(VALU_DEP_2)
	v_add_f64 v[44:45], v[44:45], -v[50:51]
	v_add_f64 v[42:43], v[46:47], -v[42:43]
	s_delay_alu instid0(VALU_DEP_2) | instskip(NEXT) | instid1(VALU_DEP_1)
	v_add_f64 v[40:41], v[40:41], v[44:45]
	v_add_f64 v[40:41], v[40:41], v[42:43]
	s_delay_alu instid0(VALU_DEP_1) | instskip(NEXT) | instid1(VALU_DEP_1)
	v_add_f64 v[42:43], v[48:49], v[40:41]
	v_add_f64 v[44:45], v[42:43], 1.0
	v_add_f64 v[46:47], v[42:43], -v[48:49]
	s_delay_alu instid0(VALU_DEP_2) | instskip(NEXT) | instid1(VALU_DEP_2)
	v_add_f64 v[48:49], v[44:45], -1.0
	v_add_f64 v[40:41], v[40:41], -v[46:47]
	s_delay_alu instid0(VALU_DEP_2) | instskip(NEXT) | instid1(VALU_DEP_1)
	v_add_f64 v[42:43], v[42:43], -v[48:49]
	v_add_f64 v[40:41], v[40:41], v[42:43]
	s_delay_alu instid0(VALU_DEP_1) | instskip(NEXT) | instid1(VALU_DEP_1)
	v_add_f64 v[34:35], v[44:45], v[40:41]
	v_ldexp_f64 v[42:43], v[34:35], v5
	v_add_f64 v[34:35], v[34:35], -v[44:45]
	s_delay_alu instid0(VALU_DEP_2) | instskip(NEXT) | instid1(VALU_DEP_1)
	v_rcp_f64_e32 v[46:47], v[42:43]
	v_add_f64 v[34:35], v[40:41], -v[34:35]
	s_delay_alu instid0(VALU_DEP_1) | instskip(SKIP_3) | instid1(VALU_DEP_2)
	v_ldexp_f64 v[34:35], v[34:35], v5
	s_waitcnt_depctr 0xfff
	v_fma_f64 v[48:49], -v[42:43], v[46:47], 1.0
	v_cvt_i32_f64_e32 v5, v[28:29]
	v_fma_f64 v[46:47], v[48:49], v[46:47], v[46:47]
	s_delay_alu instid0(VALU_DEP_1) | instskip(NEXT) | instid1(VALU_DEP_1)
	v_fma_f64 v[48:49], -v[42:43], v[46:47], 1.0
	v_fma_f64 v[44:45], v[48:49], v[46:47], v[46:47]
	s_delay_alu instid0(VALU_DEP_1) | instskip(NEXT) | instid1(VALU_DEP_1)
	v_mul_f64 v[40:41], v[42:43], v[44:45]
	v_fma_f64 v[46:47], v[44:45], v[42:43], -v[40:41]
	s_delay_alu instid0(VALU_DEP_1) | instskip(NEXT) | instid1(VALU_DEP_1)
	v_fma_f64 v[46:47], v[44:45], v[34:35], v[46:47]
	v_add_f64 v[48:49], v[40:41], v[46:47]
	s_delay_alu instid0(VALU_DEP_1) | instskip(SKIP_1) | instid1(VALU_DEP_2)
	v_add_f64 v[50:51], -v[48:49], 1.0
	v_add_f64 v[40:41], v[48:49], -v[40:41]
	v_add_f64 v[52:53], -v[50:51], 1.0
	s_delay_alu instid0(VALU_DEP_2) | instskip(NEXT) | instid1(VALU_DEP_2)
	v_add_f64 v[40:41], v[40:41], -v[46:47]
	v_add_f64 v[46:47], v[52:53], -v[48:49]
	s_delay_alu instid0(VALU_DEP_1) | instskip(NEXT) | instid1(VALU_DEP_1)
	v_add_f64 v[40:41], v[40:41], v[46:47]
	v_add_f64 v[46:47], v[50:51], v[40:41]
	s_delay_alu instid0(VALU_DEP_1) | instskip(SKIP_1) | instid1(VALU_DEP_2)
	v_mul_f64 v[48:49], v[44:45], v[46:47]
	v_add_f64 v[50:51], v[50:51], -v[46:47]
	v_mul_f64 v[52:53], v[42:43], v[48:49]
	s_delay_alu instid0(VALU_DEP_2) | instskip(SKIP_1) | instid1(VALU_DEP_3)
	v_add_f64 v[40:41], v[40:41], v[50:51]
	v_add_f64 v[36:37], v[44:45], v[48:49]
	v_fma_f64 v[54:55], v[48:49], v[42:43], -v[52:53]
	s_delay_alu instid0(VALU_DEP_1) | instskip(NEXT) | instid1(VALU_DEP_1)
	v_fma_f64 v[54:55], v[48:49], v[34:35], v[54:55]
	v_add_f64 v[56:57], v[52:53], v[54:55]
	s_delay_alu instid0(VALU_DEP_1) | instskip(SKIP_1) | instid1(VALU_DEP_2)
	v_add_f64 v[58:59], v[46:47], -v[56:57]
	v_add_f64 v[50:51], v[56:57], -v[52:53]
	;; [unrolled: 1-line block ×3, first 2 shown]
	s_delay_alu instid0(VALU_DEP_2) | instskip(NEXT) | instid1(VALU_DEP_2)
	v_add_f64 v[24:25], v[50:51], -v[54:55]
	v_add_f64 v[46:47], v[46:47], -v[56:57]
	s_delay_alu instid0(VALU_DEP_1) | instskip(NEXT) | instid1(VALU_DEP_1)
	v_add_f64 v[26:27], v[40:41], v[46:47]
	v_add_f64 v[24:25], v[24:25], v[26:27]
	v_add_f64 v[26:27], v[36:37], -v[44:45]
	s_delay_alu instid0(VALU_DEP_2) | instskip(NEXT) | instid1(VALU_DEP_2)
	v_add_f64 v[24:25], v[58:59], v[24:25]
	v_add_f64 v[26:27], v[48:49], -v[26:27]
	v_fma_f64 v[48:49], v[38:39], s[30:31], s[28:29]
	s_delay_alu instid0(VALU_DEP_3) | instskip(NEXT) | instid1(VALU_DEP_1)
	v_mul_f64 v[24:25], v[44:45], v[24:25]
	v_add_f64 v[24:25], v[26:27], v[24:25]
	v_fma_f64 v[26:27], v[28:29], s[56:57], -v[20:21]
	s_delay_alu instid0(VALU_DEP_2) | instskip(NEXT) | instid1(VALU_DEP_2)
	v_add_f64 v[40:41], v[36:37], v[24:25]
	v_fma_f64 v[26:27], v[28:29], s[26:27], v[26:27]
	s_delay_alu instid0(VALU_DEP_2) | instskip(SKIP_1) | instid1(VALU_DEP_3)
	v_add_f64 v[44:45], v[42:43], v[40:41]
	v_add_f64 v[36:37], v[40:41], -v[36:37]
	v_fma_f64 v[46:47], v[26:27], s[30:31], s[28:29]
	v_add_f64 v[52:53], v[42:43], -v[40:41]
	s_delay_alu instid0(VALU_DEP_4) | instskip(NEXT) | instid1(VALU_DEP_4)
	v_add_f64 v[50:51], v[44:45], -v[42:43]
	v_add_f64 v[24:25], v[24:25], -v[36:37]
	s_delay_alu instid0(VALU_DEP_4)
	v_fma_f64 v[36:37], v[26:27], v[46:47], s[34:35]
	v_fma_f64 v[46:47], v[38:39], v[48:49], s[34:35]
	v_add_f64 v[42:43], v[42:43], -v[52:53]
	v_add_f64 v[48:49], v[40:41], -v[50:51]
	v_add_f64 v[50:51], v[34:35], v[24:25]
	v_fma_f64 v[36:37], v[26:27], v[36:37], s[36:37]
	v_fma_f64 v[46:47], v[38:39], v[46:47], s[36:37]
	v_add_f64 v[40:41], v[42:43], -v[40:41]
	s_delay_alu instid0(VALU_DEP_4) | instskip(NEXT) | instid1(VALU_DEP_4)
	v_add_f64 v[48:49], v[50:51], v[48:49]
	v_fma_f64 v[36:37], v[26:27], v[36:37], s[38:39]
	s_delay_alu instid0(VALU_DEP_4) | instskip(NEXT) | instid1(VALU_DEP_4)
	v_fma_f64 v[46:47], v[38:39], v[46:47], s[38:39]
	v_add_f64 v[34:35], v[34:35], v[40:41]
	s_delay_alu instid0(VALU_DEP_4) | instskip(NEXT) | instid1(VALU_DEP_4)
	v_add_f64 v[50:51], v[44:45], v[48:49]
	v_fma_f64 v[36:37], v[26:27], v[36:37], s[40:41]
	s_delay_alu instid0(VALU_DEP_4) | instskip(NEXT) | instid1(VALU_DEP_4)
	v_fma_f64 v[46:47], v[38:39], v[46:47], s[40:41]
	v_add_f64 v[24:25], v[34:35], -v[24:25]
	s_delay_alu instid0(VALU_DEP_4) | instskip(NEXT) | instid1(VALU_DEP_3)
	v_rcp_f64_e32 v[54:55], v[50:51]
	v_fma_f64 v[36:37], v[26:27], v[36:37], s[42:43]
	s_delay_alu instid0(VALU_DEP_3) | instskip(NEXT) | instid1(VALU_DEP_2)
	v_fma_f64 v[46:47], v[38:39], v[46:47], s[42:43]
	v_fma_f64 v[36:37], v[26:27], v[36:37], s[44:45]
	s_waitcnt_depctr 0xfff
	v_fma_f64 v[42:43], -v[50:51], v[54:55], 1.0
	v_fma_f64 v[46:47], v[38:39], v[46:47], s[44:45]
	v_fma_f64 v[36:37], v[26:27], v[36:37], s[46:47]
	s_delay_alu instid0(VALU_DEP_3) | instskip(NEXT) | instid1(VALU_DEP_3)
	v_fma_f64 v[40:41], v[42:43], v[54:55], v[54:55]
	v_fma_f64 v[42:43], v[38:39], v[46:47], s[46:47]
	v_add_f64 v[46:47], v[52:53], v[24:25]
	v_cvt_i32_f64_e32 v54, v[32:33]
	v_add_f64 v[32:33], v[50:51], -v[44:45]
	v_fma_f64 v[36:37], v[26:27], v[36:37], s[48:49]
	v_fma_f64 v[34:35], -v[50:51], v[40:41], 1.0
	v_fma_f64 v[42:43], v[38:39], v[42:43], s[48:49]
	s_delay_alu instid0(VALU_DEP_4) | instskip(NEXT) | instid1(VALU_DEP_4)
	v_add_f64 v[32:33], v[48:49], -v[32:33]
	v_fma_f64 v[36:37], v[26:27], v[36:37], 1.0
	s_delay_alu instid0(VALU_DEP_4) | instskip(NEXT) | instid1(VALU_DEP_4)
	v_fma_f64 v[34:35], v[34:35], v[40:41], v[40:41]
	v_fma_f64 v[40:41], v[38:39], v[42:43], 1.0
	s_delay_alu instid0(VALU_DEP_3) | instskip(NEXT) | instid1(VALU_DEP_3)
	v_fma_f64 v[26:27], v[26:27], v[36:37], 1.0
	v_mul_f64 v[42:43], v[46:47], v[34:35]
	s_delay_alu instid0(VALU_DEP_3) | instskip(NEXT) | instid1(VALU_DEP_3)
	v_fma_f64 v[28:29], v[38:39], v[40:41], 1.0
	v_ldexp_f64 v[26:27], v[26:27], v5
	s_delay_alu instid0(VALU_DEP_3) | instskip(NEXT) | instid1(VALU_DEP_3)
	v_mul_f64 v[36:37], v[50:51], v[42:43]
	v_ldexp_f64 v[28:29], v[28:29], v54
	s_delay_alu instid0(VALU_DEP_3) | instskip(NEXT) | instid1(VALU_DEP_3)
	v_add_f64 v[26:27], v[26:27], 1.0
	v_fma_f64 v[38:39], v[42:43], v[50:51], -v[36:37]
	s_delay_alu instid0(VALU_DEP_3) | instskip(NEXT) | instid1(VALU_DEP_2)
	v_add_f64 v[28:29], v[28:29], 1.0
	v_fma_f64 v[32:33], v[42:43], v[32:33], v[38:39]
	s_delay_alu instid0(VALU_DEP_4) | instskip(NEXT) | instid1(VALU_DEP_3)
	v_div_scale_f64 v[38:39], null, v[26:27], v[26:27], 1.0
	v_div_scale_f64 v[40:41], null, v[28:29], v[28:29], 1.0
	s_delay_alu instid0(VALU_DEP_3) | instskip(NEXT) | instid1(VALU_DEP_3)
	v_add_f64 v[44:45], v[36:37], v[32:33]
	v_rcp_f64_e32 v[48:49], v[38:39]
	s_delay_alu instid0(VALU_DEP_2) | instskip(NEXT) | instid1(VALU_DEP_1)
	v_rcp_f64_e32 v[50:51], v[40:41]
	v_add_f64 v[54:55], v[46:47], -v[44:45]
	v_add_f64 v[36:37], v[44:45], -v[36:37]
	s_waitcnt_depctr 0xfff
	v_fma_f64 v[56:57], -v[38:39], v[48:49], 1.0
	v_fma_f64 v[58:59], -v[40:41], v[50:51], 1.0
	v_add_f64 v[60:61], v[46:47], -v[54:55]
	v_add_f64 v[46:47], v[46:47], -v[52:53]
	;; [unrolled: 1-line block ×3, first 2 shown]
	v_fma_f64 v[48:49], v[48:49], v[56:57], v[48:49]
	v_fma_f64 v[50:51], v[50:51], v[58:59], v[50:51]
	v_add_f64 v[36:37], v[60:61], -v[44:45]
	v_add_f64 v[24:25], v[24:25], -v[46:47]
	v_div_scale_f64 v[46:47], s0, 1.0, v[28:29], 1.0
	v_fma_f64 v[44:45], -v[38:39], v[48:49], 1.0
	v_fma_f64 v[52:53], -v[40:41], v[50:51], 1.0
	v_add_f64 v[32:33], v[36:37], -v[32:33]
	v_div_scale_f64 v[36:37], vcc_lo, 1.0, v[26:27], 1.0
	s_delay_alu instid0(VALU_DEP_4) | instskip(NEXT) | instid1(VALU_DEP_4)
	v_fma_f64 v[44:45], v[48:49], v[44:45], v[48:49]
	v_fma_f64 v[48:49], v[50:51], v[52:53], v[50:51]
	s_delay_alu instid0(VALU_DEP_4) | instskip(NEXT) | instid1(VALU_DEP_3)
	v_add_f64 v[24:25], v[24:25], v[32:33]
	v_mul_f64 v[32:33], v[36:37], v[44:45]
	s_delay_alu instid0(VALU_DEP_3) | instskip(NEXT) | instid1(VALU_DEP_3)
	v_mul_f64 v[50:51], v[46:47], v[48:49]
	v_add_f64 v[24:25], v[54:55], v[24:25]
	s_delay_alu instid0(VALU_DEP_3) | instskip(NEXT) | instid1(VALU_DEP_3)
	v_fma_f64 v[36:37], -v[38:39], v[32:33], v[36:37]
	v_fma_f64 v[38:39], -v[40:41], v[50:51], v[46:47]
	s_delay_alu instid0(VALU_DEP_3) | instskip(NEXT) | instid1(VALU_DEP_3)
	v_mul_f64 v[24:25], v[34:35], v[24:25]
	v_div_fmas_f64 v[32:33], v[36:37], v[44:45], v[32:33]
	s_mov_b32 vcc_lo, s0
	v_cmp_ngt_f64_e64 s0, 0xc0900000, v[20:21]
	s_delay_alu instid0(VALU_DEP_4)
	v_div_fmas_f64 v[34:35], v[38:39], v[48:49], v[50:51]
	v_cmp_nlt_f64_e64 vcc_lo, 0x40331000, |v[30:31]|
	v_and_b32_e32 v21, 0x7fffffff, v31
	v_add_f64 v[24:25], v[42:43], v[24:25]
	v_div_fixup_f64 v[26:27], v[32:33], v[26:27], 1.0
	v_div_fixup_f64 v[28:29], v[34:35], v[28:29], 1.0
	s_delay_alu instid0(VALU_DEP_3) | instskip(NEXT) | instid1(VALU_DEP_4)
	v_cndmask_b32_e32 v5, 0x3ff00000, v25, vcc_lo
	v_cndmask_b32_e32 v24, 0, v24, vcc_lo
	v_cmp_gt_f64_e64 vcc_lo, 0x3e400000, |v[30:31]|
	v_cndmask_b32_e64 v25, 0, v27, s0
	v_cndmask_b32_e64 v27, 0, v29, s2
	s_delay_alu instid0(VALU_DEP_2)
	v_cndmask_b32_e64 v25, 0x3ff00000, v25, s1
	v_dual_cndmask_b32 v20, v24, v30 :: v_dual_cndmask_b32 v5, v5, v21
	s_and_b32 vcc_lo, s1, s0
	v_cmp_ngt_f64_e64 s0, 0xc0900000, v[10:11]
	v_cndmask_b32_e32 v24, 0, v26, vcc_lo
	v_cmp_nlt_f64_e32 vcc_lo, 0x4090cc00, v[22:23]
	v_bfi_b32 v21, 0x7fffffff, v5, v31
	v_cmp_nlt_f64_e64 s1, 0x4090cc00, v[10:11]
	s_delay_alu instid0(VALU_DEP_2) | instskip(SKIP_3) | instid1(VALU_DEP_1)
	v_mul_f64 v[22:23], v[24:25], v[20:21]
	v_cndmask_b32_e32 v27, 0x3ff00000, v27, vcc_lo
	s_and_b32 vcc_lo, vcc_lo, s2
	v_cndmask_b32_e32 v26, 0, v28, vcc_lo
	v_fma_f64 v[14:15], v[14:15], v[26:27], v[22:23]
	s_delay_alu instid0(VALU_DEP_1) | instskip(NEXT) | instid1(VALU_DEP_1)
	v_mul_f64 v[22:23], |v[14:15]|, s[24:25]
	v_rndne_f64_e32 v[22:23], v[22:23]
	s_delay_alu instid0(VALU_DEP_1) | instskip(SKIP_2) | instid1(VALU_DEP_3)
	v_fma_f64 v[28:29], v[22:23], s[54:55], |v[14:15]|
	v_mul_f64 v[30:31], v[22:23], s[50:51]
	v_cvt_i32_f64_e32 v5, v[22:23]
	v_add_f64 v[32:33], v[28:29], 0
	s_delay_alu instid0(VALU_DEP_1) | instskip(SKIP_1) | instid1(VALU_DEP_2)
	v_add_f64 v[34:35], v[32:33], -v[30:31]
	v_add_f64 v[28:29], v[28:29], -v[32:33]
	;; [unrolled: 1-line block ×3, first 2 shown]
	s_delay_alu instid0(VALU_DEP_2) | instskip(NEXT) | instid1(VALU_DEP_2)
	v_add_f64 v[28:29], v[28:29], 0
	v_add_f64 v[30:31], v[32:33], -v[30:31]
	s_delay_alu instid0(VALU_DEP_1) | instskip(SKIP_1) | instid1(VALU_DEP_2)
	v_add_f64 v[28:29], v[28:29], v[30:31]
	v_mul_f64 v[30:31], v[22:23], s[52:53]
	v_add_f64 v[32:33], v[34:35], v[28:29]
	s_delay_alu instid0(VALU_DEP_1) | instskip(SKIP_1) | instid1(VALU_DEP_2)
	v_add_f64 v[36:37], v[32:33], -v[30:31]
	v_add_f64 v[34:35], v[34:35], -v[32:33]
	;; [unrolled: 1-line block ×3, first 2 shown]
	s_delay_alu instid0(VALU_DEP_2) | instskip(NEXT) | instid1(VALU_DEP_2)
	v_add_f64 v[28:29], v[28:29], v[34:35]
	v_add_f64 v[30:31], v[32:33], -v[30:31]
	s_delay_alu instid0(VALU_DEP_1) | instskip(NEXT) | instid1(VALU_DEP_1)
	v_add_f64 v[28:29], v[28:29], v[30:31]
	v_add_f64 v[30:31], v[36:37], v[28:29]
	s_delay_alu instid0(VALU_DEP_1) | instskip(SKIP_2) | instid1(VALU_DEP_3)
	v_fma_f64 v[32:33], v[30:31], s[30:31], s[28:29]
	v_add_f64 v[34:35], v[36:37], -v[30:31]
	v_mul_f64 v[36:37], v[30:31], v[30:31]
	v_fma_f64 v[32:33], v[30:31], v[32:33], s[34:35]
	s_delay_alu instid0(VALU_DEP_3) | instskip(NEXT) | instid1(VALU_DEP_3)
	v_add_f64 v[28:29], v[28:29], v[34:35]
	v_fma_f64 v[34:35], v[30:31], v[30:31], -v[36:37]
	s_delay_alu instid0(VALU_DEP_3) | instskip(NEXT) | instid1(VALU_DEP_3)
	v_fma_f64 v[32:33], v[30:31], v[32:33], s[36:37]
	v_add_f64 v[38:39], v[28:29], v[28:29]
	s_delay_alu instid0(VALU_DEP_2) | instskip(NEXT) | instid1(VALU_DEP_2)
	v_fma_f64 v[32:33], v[30:31], v[32:33], s[38:39]
	v_fma_f64 v[34:35], v[30:31], v[38:39], v[34:35]
	s_delay_alu instid0(VALU_DEP_2) | instskip(NEXT) | instid1(VALU_DEP_2)
	v_fma_f64 v[32:33], v[30:31], v[32:33], s[40:41]
	v_add_f64 v[38:39], v[36:37], v[34:35]
	s_delay_alu instid0(VALU_DEP_2) | instskip(NEXT) | instid1(VALU_DEP_2)
	v_fma_f64 v[32:33], v[30:31], v[32:33], s[42:43]
	v_add_f64 v[36:37], v[38:39], -v[36:37]
	s_delay_alu instid0(VALU_DEP_2) | instskip(NEXT) | instid1(VALU_DEP_2)
	v_fma_f64 v[32:33], v[30:31], v[32:33], s[44:45]
	v_add_f64 v[34:35], v[34:35], -v[36:37]
	s_delay_alu instid0(VALU_DEP_2) | instskip(NEXT) | instid1(VALU_DEP_1)
	v_fma_f64 v[32:33], v[30:31], v[32:33], s[46:47]
	v_fma_f64 v[32:33], v[30:31], v[32:33], s[48:49]
	s_delay_alu instid0(VALU_DEP_1) | instskip(NEXT) | instid1(VALU_DEP_1)
	v_mul_f64 v[40:41], v[38:39], v[32:33]
	v_fma_f64 v[36:37], v[38:39], v[32:33], -v[40:41]
	s_delay_alu instid0(VALU_DEP_1) | instskip(NEXT) | instid1(VALU_DEP_1)
	v_fma_f64 v[32:33], v[34:35], v[32:33], v[36:37]
	v_add_f64 v[34:35], v[40:41], v[32:33]
	s_delay_alu instid0(VALU_DEP_1) | instskip(SKIP_1) | instid1(VALU_DEP_2)
	v_add_f64 v[36:37], v[30:31], v[34:35]
	v_add_f64 v[38:39], v[34:35], -v[40:41]
	v_add_f64 v[30:31], v[36:37], -v[30:31]
	s_delay_alu instid0(VALU_DEP_2) | instskip(NEXT) | instid1(VALU_DEP_2)
	v_add_f64 v[32:33], v[32:33], -v[38:39]
	v_add_f64 v[30:31], v[34:35], -v[30:31]
	s_delay_alu instid0(VALU_DEP_2) | instskip(NEXT) | instid1(VALU_DEP_1)
	v_add_f64 v[28:29], v[28:29], v[32:33]
	v_add_f64 v[28:29], v[28:29], v[30:31]
	s_delay_alu instid0(VALU_DEP_1) | instskip(NEXT) | instid1(VALU_DEP_1)
	v_add_f64 v[30:31], v[36:37], v[28:29]
	v_add_f64 v[32:33], v[30:31], 1.0
	v_add_f64 v[34:35], v[30:31], -v[36:37]
	s_delay_alu instid0(VALU_DEP_2) | instskip(NEXT) | instid1(VALU_DEP_2)
	v_add_f64 v[36:37], v[32:33], -1.0
	v_add_f64 v[28:29], v[28:29], -v[34:35]
	s_delay_alu instid0(VALU_DEP_2) | instskip(NEXT) | instid1(VALU_DEP_1)
	v_add_f64 v[30:31], v[30:31], -v[36:37]
	v_add_f64 v[28:29], v[28:29], v[30:31]
	s_delay_alu instid0(VALU_DEP_1) | instskip(NEXT) | instid1(VALU_DEP_1)
	v_add_f64 v[22:23], v[32:33], v[28:29]
	v_ldexp_f64 v[30:31], v[22:23], v5
	v_add_f64 v[22:23], v[22:23], -v[32:33]
	s_delay_alu instid0(VALU_DEP_2) | instskip(NEXT) | instid1(VALU_DEP_1)
	v_rcp_f64_e32 v[34:35], v[30:31]
	v_add_f64 v[22:23], v[28:29], -v[22:23]
	s_delay_alu instid0(VALU_DEP_1) | instskip(SKIP_2) | instid1(VALU_DEP_1)
	v_ldexp_f64 v[22:23], v[22:23], v5
	s_waitcnt_depctr 0xfff
	v_fma_f64 v[36:37], -v[30:31], v[34:35], 1.0
	v_fma_f64 v[34:35], v[36:37], v[34:35], v[34:35]
	s_delay_alu instid0(VALU_DEP_1) | instskip(NEXT) | instid1(VALU_DEP_1)
	v_fma_f64 v[36:37], -v[30:31], v[34:35], 1.0
	v_fma_f64 v[32:33], v[36:37], v[34:35], v[34:35]
	s_delay_alu instid0(VALU_DEP_1) | instskip(NEXT) | instid1(VALU_DEP_1)
	v_mul_f64 v[28:29], v[30:31], v[32:33]
	v_fma_f64 v[34:35], v[32:33], v[30:31], -v[28:29]
	s_delay_alu instid0(VALU_DEP_1) | instskip(NEXT) | instid1(VALU_DEP_1)
	v_fma_f64 v[34:35], v[32:33], v[22:23], v[34:35]
	v_add_f64 v[36:37], v[28:29], v[34:35]
	s_delay_alu instid0(VALU_DEP_1) | instskip(SKIP_1) | instid1(VALU_DEP_2)
	v_add_f64 v[38:39], -v[36:37], 1.0
	v_add_f64 v[28:29], v[36:37], -v[28:29]
	v_add_f64 v[40:41], -v[38:39], 1.0
	s_delay_alu instid0(VALU_DEP_2) | instskip(NEXT) | instid1(VALU_DEP_2)
	v_add_f64 v[28:29], v[28:29], -v[34:35]
	v_add_f64 v[34:35], v[40:41], -v[36:37]
	s_delay_alu instid0(VALU_DEP_1) | instskip(NEXT) | instid1(VALU_DEP_1)
	v_add_f64 v[28:29], v[28:29], v[34:35]
	v_add_f64 v[34:35], v[38:39], v[28:29]
	s_delay_alu instid0(VALU_DEP_1) | instskip(SKIP_1) | instid1(VALU_DEP_2)
	v_mul_f64 v[36:37], v[32:33], v[34:35]
	v_add_f64 v[38:39], v[38:39], -v[34:35]
	v_mul_f64 v[40:41], v[30:31], v[36:37]
	s_delay_alu instid0(VALU_DEP_2) | instskip(SKIP_1) | instid1(VALU_DEP_3)
	v_add_f64 v[28:29], v[28:29], v[38:39]
	v_add_f64 v[18:19], v[32:33], v[36:37]
	v_fma_f64 v[42:43], v[36:37], v[30:31], -v[40:41]
	s_delay_alu instid0(VALU_DEP_2) | instskip(NEXT) | instid1(VALU_DEP_2)
	v_add_f64 v[16:17], v[18:19], -v[32:33]
	v_fma_f64 v[42:43], v[36:37], v[22:23], v[42:43]
	s_delay_alu instid0(VALU_DEP_2) | instskip(NEXT) | instid1(VALU_DEP_2)
	v_add_f64 v[16:17], v[36:37], -v[16:17]
	v_add_f64 v[44:45], v[40:41], v[42:43]
	s_delay_alu instid0(VALU_DEP_1) | instskip(SKIP_1) | instid1(VALU_DEP_2)
	v_add_f64 v[46:47], v[34:35], -v[44:45]
	v_add_f64 v[38:39], v[44:45], -v[40:41]
	;; [unrolled: 1-line block ×3, first 2 shown]
	s_delay_alu instid0(VALU_DEP_2) | instskip(NEXT) | instid1(VALU_DEP_2)
	v_add_f64 v[12:13], v[38:39], -v[42:43]
	v_add_f64 v[34:35], v[34:35], -v[44:45]
	s_delay_alu instid0(VALU_DEP_1) | instskip(NEXT) | instid1(VALU_DEP_1)
	v_add_f64 v[28:29], v[28:29], v[34:35]
	v_add_f64 v[12:13], v[12:13], v[28:29]
	v_mul_f64 v[28:29], v[10:11], s[22:23]
	s_delay_alu instid0(VALU_DEP_2) | instskip(NEXT) | instid1(VALU_DEP_2)
	v_add_f64 v[12:13], v[46:47], v[12:13]
	v_rndne_f64_e32 v[28:29], v[28:29]
	s_delay_alu instid0(VALU_DEP_2) | instskip(NEXT) | instid1(VALU_DEP_2)
	v_mul_f64 v[12:13], v[32:33], v[12:13]
	v_cvt_i32_f64_e32 v5, v[28:29]
	s_delay_alu instid0(VALU_DEP_2) | instskip(SKIP_3) | instid1(VALU_DEP_2)
	v_add_f64 v[12:13], v[16:17], v[12:13]
	v_fma_f64 v[16:17], v[28:29], s[56:57], -v[10:11]
	v_mul_lo_u32 v10, v7, s61
	v_and_b32_e32 v7, 0x7fffffff, v15
	v_ashrrev_i32_e32 v11, 31, v10
	s_delay_alu instid0(VALU_DEP_1) | instskip(SKIP_2) | instid1(VALU_DEP_2)
	v_lshlrev_b64 v[10:11], 3, v[10:11]
	v_add_f64 v[32:33], v[18:19], v[12:13]
	v_fma_f64 v[16:17], v[28:29], s[26:27], v[16:17]
	v_add_f64 v[34:35], v[30:31], v[32:33]
	v_add_f64 v[18:19], v[32:33], -v[18:19]
	s_delay_alu instid0(VALU_DEP_3) | instskip(SKIP_1) | instid1(VALU_DEP_4)
	v_fma_f64 v[36:37], v[16:17], s[30:31], s[28:29]
	v_add_f64 v[40:41], v[30:31], -v[32:33]
	v_add_f64 v[38:39], v[34:35], -v[30:31]
	s_delay_alu instid0(VALU_DEP_4) | instskip(NEXT) | instid1(VALU_DEP_4)
	v_add_f64 v[12:13], v[12:13], -v[18:19]
	v_fma_f64 v[18:19], v[16:17], v[36:37], s[34:35]
	s_delay_alu instid0(VALU_DEP_4) | instskip(NEXT) | instid1(VALU_DEP_4)
	v_add_f64 v[30:31], v[30:31], -v[40:41]
	v_add_f64 v[36:37], v[32:33], -v[38:39]
	s_delay_alu instid0(VALU_DEP_4) | instskip(NEXT) | instid1(VALU_DEP_4)
	v_add_f64 v[38:39], v[22:23], v[12:13]
	v_fma_f64 v[18:19], v[16:17], v[18:19], s[36:37]
	s_delay_alu instid0(VALU_DEP_4) | instskip(NEXT) | instid1(VALU_DEP_3)
	v_add_f64 v[30:31], v[30:31], -v[32:33]
	v_add_f64 v[36:37], v[38:39], v[36:37]
	s_delay_alu instid0(VALU_DEP_3) | instskip(NEXT) | instid1(VALU_DEP_3)
	v_fma_f64 v[18:19], v[16:17], v[18:19], s[38:39]
	v_add_f64 v[22:23], v[22:23], v[30:31]
	s_delay_alu instid0(VALU_DEP_3) | instskip(NEXT) | instid1(VALU_DEP_3)
	v_add_f64 v[38:39], v[34:35], v[36:37]
	v_fma_f64 v[18:19], v[16:17], v[18:19], s[40:41]
	s_delay_alu instid0(VALU_DEP_3) | instskip(NEXT) | instid1(VALU_DEP_3)
	v_add_f64 v[12:13], v[22:23], -v[12:13]
	v_rcp_f64_e32 v[42:43], v[38:39]
	s_delay_alu instid0(VALU_DEP_2) | instskip(NEXT) | instid1(VALU_DEP_1)
	v_fma_f64 v[18:19], v[16:17], v[18:19], s[42:43]
	v_fma_f64 v[18:19], v[16:17], v[18:19], s[44:45]
	s_waitcnt_depctr 0xfff
	v_fma_f64 v[32:33], -v[38:39], v[42:43], 1.0
	v_fma_f64 v[18:19], v[16:17], v[18:19], s[46:47]
	s_delay_alu instid0(VALU_DEP_2) | instskip(SKIP_1) | instid1(VALU_DEP_3)
	v_fma_f64 v[30:31], v[32:33], v[42:43], v[42:43]
	v_add_f64 v[32:33], v[40:41], v[12:13]
	v_fma_f64 v[18:19], v[16:17], v[18:19], s[48:49]
	s_delay_alu instid0(VALU_DEP_3) | instskip(NEXT) | instid1(VALU_DEP_2)
	v_fma_f64 v[22:23], -v[38:39], v[30:31], 1.0
	v_fma_f64 v[18:19], v[16:17], v[18:19], 1.0
	s_delay_alu instid0(VALU_DEP_2) | instskip(NEXT) | instid1(VALU_DEP_2)
	v_fma_f64 v[22:23], v[22:23], v[30:31], v[30:31]
	v_fma_f64 v[16:17], v[16:17], v[18:19], 1.0
	s_delay_alu instid0(VALU_DEP_2) | instskip(SKIP_1) | instid1(VALU_DEP_3)
	v_mul_f64 v[30:31], v[32:33], v[22:23]
	v_add_f64 v[18:19], v[38:39], -v[34:35]
	v_ldexp_f64 v[16:17], v[16:17], v5
	s_delay_alu instid0(VALU_DEP_3) | instskip(NEXT) | instid1(VALU_DEP_3)
	v_mul_f64 v[28:29], v[38:39], v[30:31]
	v_add_f64 v[18:19], v[36:37], -v[18:19]
	s_delay_alu instid0(VALU_DEP_3) | instskip(NEXT) | instid1(VALU_DEP_3)
	v_add_f64 v[16:17], v[16:17], 1.0
	v_fma_f64 v[34:35], v[30:31], v[38:39], -v[28:29]
	s_delay_alu instid0(VALU_DEP_1) | instskip(NEXT) | instid1(VALU_DEP_3)
	v_fma_f64 v[18:19], v[30:31], v[18:19], v[34:35]
	v_div_scale_f64 v[34:35], null, v[16:17], v[16:17], 1.0
	s_delay_alu instid0(VALU_DEP_2) | instskip(NEXT) | instid1(VALU_DEP_2)
	v_add_f64 v[36:37], v[28:29], v[18:19]
	v_rcp_f64_e32 v[38:39], v[34:35]
	s_delay_alu instid0(VALU_DEP_1)
	v_add_f64 v[42:43], v[32:33], -v[36:37]
	v_add_f64 v[28:29], v[36:37], -v[28:29]
	s_waitcnt_depctr 0xfff
	v_fma_f64 v[44:45], -v[34:35], v[38:39], 1.0
	v_add_f64 v[46:47], v[32:33], -v[42:43]
	v_add_f64 v[32:33], v[32:33], -v[40:41]
	;; [unrolled: 1-line block ×3, first 2 shown]
	s_delay_alu instid0(VALU_DEP_4) | instskip(NEXT) | instid1(VALU_DEP_4)
	v_fma_f64 v[38:39], v[38:39], v[44:45], v[38:39]
	v_add_f64 v[28:29], v[46:47], -v[36:37]
	s_delay_alu instid0(VALU_DEP_4) | instskip(NEXT) | instid1(VALU_DEP_3)
	v_add_f64 v[12:13], v[12:13], -v[32:33]
	v_fma_f64 v[36:37], -v[34:35], v[38:39], 1.0
	s_delay_alu instid0(VALU_DEP_3) | instskip(SKIP_1) | instid1(VALU_DEP_3)
	v_add_f64 v[18:19], v[28:29], -v[18:19]
	v_div_scale_f64 v[28:29], vcc_lo, 1.0, v[16:17], 1.0
	v_fma_f64 v[32:33], v[38:39], v[36:37], v[38:39]
	s_delay_alu instid0(VALU_DEP_3) | instskip(NEXT) | instid1(VALU_DEP_2)
	v_add_f64 v[12:13], v[12:13], v[18:19]
	v_mul_f64 v[18:19], v[28:29], v[32:33]
	s_delay_alu instid0(VALU_DEP_2) | instskip(NEXT) | instid1(VALU_DEP_2)
	v_add_f64 v[12:13], v[42:43], v[12:13]
	v_fma_f64 v[28:29], -v[34:35], v[18:19], v[28:29]
	s_delay_alu instid0(VALU_DEP_2) | instskip(NEXT) | instid1(VALU_DEP_2)
	v_mul_f64 v[12:13], v[22:23], v[12:13]
	v_div_fmas_f64 v[18:19], v[28:29], v[32:33], v[18:19]
	v_cmp_nlt_f64_e64 vcc_lo, 0x40331000, |v[14:15]|
	s_delay_alu instid0(VALU_DEP_3) | instskip(NEXT) | instid1(VALU_DEP_3)
	v_add_f64 v[12:13], v[30:31], v[12:13]
	v_div_fixup_f64 v[16:17], v[18:19], v[16:17], 1.0
	s_delay_alu instid0(VALU_DEP_2) | instskip(NEXT) | instid1(VALU_DEP_3)
	v_cndmask_b32_e32 v5, 0x3ff00000, v13, vcc_lo
	v_cndmask_b32_e32 v13, 0, v12, vcc_lo
	v_cmp_gt_f64_e64 vcc_lo, 0x3e400000, |v[14:15]|
	s_delay_alu instid0(VALU_DEP_4) | instskip(SKIP_3) | instid1(VALU_DEP_4)
	v_cndmask_b32_e64 v19, 0, v17, s0
	v_mul_lo_u32 v12, v3, s61
	v_mul_lo_u32 v17, v9, s61
	v_ashrrev_i32_e32 v9, 31, v8
	v_cndmask_b32_e64 v23, 0x3ff00000, v19, s1
	v_cndmask_b32_e32 v3, v5, v7, vcc_lo
	v_cndmask_b32_e32 v18, v13, v14, vcc_lo
	s_and_b32 vcc_lo, s1, s0
	v_ashrrev_i32_e32 v5, 31, v4
	v_cndmask_b32_e32 v22, 0, v16, vcc_lo
	v_bfi_b32 v19, 0x7fffffff, v3, v15
	v_ashrrev_i32_e32 v7, 31, v6
	v_ashrrev_i32_e32 v13, 31, v12
	v_lshlrev_b64 v[28:29], 3, v[4:5]
	v_cmp_le_i32_e32 vcc_lo, s5, v1
	v_mul_f64 v[30:31], v[22:23], v[18:19]
	v_lshlrev_b64 v[32:33], 3, v[6:7]
	v_lshlrev_b64 v[12:13], 3, v[12:13]
	v_ashrrev_i32_e32 v18, 31, v17
	v_add_co_u32 v28, s0, s16, v28
	s_delay_alu instid0(VALU_DEP_1) | instskip(SKIP_1) | instid1(VALU_DEP_1)
	v_add_co_ci_u32_e64 v29, s0, s17, v29, s0
	v_add_co_u32 v32, s0, s18, v32
	v_add_co_ci_u32_e64 v33, s0, s19, v33, s0
	v_lshlrev_b64 v[7:8], 3, v[8:9]
	v_add_co_u32 v9, s0, s20, v10
	s_delay_alu instid0(VALU_DEP_1) | instskip(SKIP_2) | instid1(VALU_DEP_1)
	v_add_co_ci_u32_e64 v10, s0, s21, v11, s0
	v_lshlrev_b64 v[16:17], 3, v[17:18]
	v_add_co_u32 v11, s0, s20, v12
	v_add_co_ci_u32_e64 v12, s0, s21, v13, s0
	v_add_nc_u32_e32 v4, s69, v4
	v_add_nc_u32_e32 v6, s70, v6
	v_add_co_u32 v7, s0, s20, v7
	s_delay_alu instid0(VALU_DEP_1)
	v_add_co_ci_u32_e64 v8, s0, s21, v8, s0
	v_add_co_u32 v16, s0, s20, v16
	s_or_b32 s3, vcc_lo, s3
	v_add_co_ci_u32_e64 v17, s0, s21, v17, s0
	global_store_b64 v[28:29], v[30:31], off
	global_store_b64 v[32:33], v[14:15], off
	s_clause 0x3
	global_store_b64 v[9:10], v[24:25], off
	global_store_b64 v[11:12], v[26:27], off
	;; [unrolled: 1-line block ×4, first 2 shown]
	s_and_not1_b32 exec_lo, exec_lo, s3
	s_cbranch_execz .LBB0_5
.LBB0_3:                                ; =>This Inner Loop Header: Depth=1
	v_sub_nc_u32_e32 v3, 0, v1
	s_delay_alu instid0(VALU_DEP_1) | instskip(NEXT) | instid1(VALU_DEP_1)
	v_max_i32_e32 v3, v1, v3
	v_mul_hi_u32 v5, v3, v0
	s_delay_alu instid0(VALU_DEP_1) | instskip(NEXT) | instid1(VALU_DEP_1)
	v_mul_lo_u32 v7, v5, s63
	v_sub_nc_u32_e32 v3, v3, v7
	v_add_nc_u32_e32 v7, 1, v5
	s_delay_alu instid0(VALU_DEP_2) | instskip(SKIP_1) | instid1(VALU_DEP_3)
	v_subrev_nc_u32_e32 v8, s63, v3
	v_cmp_le_u32_e32 vcc_lo, s63, v3
	v_cndmask_b32_e32 v7, v5, v7, vcc_lo
	s_delay_alu instid0(VALU_DEP_3) | instskip(SKIP_1) | instid1(VALU_DEP_3)
	v_cndmask_b32_e32 v3, v3, v8, vcc_lo
	v_ashrrev_i32_e32 v5, 31, v1
	v_add_nc_u32_e32 v8, 1, v7
	s_delay_alu instid0(VALU_DEP_3) | instskip(NEXT) | instid1(VALU_DEP_3)
	v_cmp_le_u32_e32 vcc_lo, s63, v3
	v_xor_b32_e32 v5, s66, v5
	s_delay_alu instid0(VALU_DEP_3) | instskip(NEXT) | instid1(VALU_DEP_2)
	v_cndmask_b32_e32 v3, v7, v8, vcc_lo
	v_mul_i32_i24_e32 v9, 3, v5
	s_delay_alu instid0(VALU_DEP_2) | instskip(SKIP_1) | instid1(VALU_DEP_2)
	v_xor_b32_e32 v44, v3, v5
	v_ashrrev_i32_e32 v3, 31, v2
	v_sub_nc_u32_e32 v45, v44, v5
	v_lshl_add_u32 v10, v44, 1, v44
	s_delay_alu instid0(VALU_DEP_3) | instskip(NEXT) | instid1(VALU_DEP_3)
	v_lshlrev_b64 v[11:12], 3, v[2:3]
	v_mad_u64_u32 v[7:8], null, s64, v45, v[1:2]
	s_delay_alu instid0(VALU_DEP_3) | instskip(NEXT) | instid1(VALU_DEP_3)
	v_sub_nc_u32_e32 v8, v10, v9
	v_add_co_u32 v17, vcc_lo, s14, v11
	s_delay_alu instid0(VALU_DEP_4) | instskip(NEXT) | instid1(VALU_DEP_3)
	v_add_co_ci_u32_e32 v18, vcc_lo, s15, v12, vcc_lo
	v_mul_lo_u32 v3, s4, v8
	v_add_nc_u32_e32 v10, 2, v8
	v_add_nc_u32_e32 v14, 3, v8
	v_mul_lo_u32 v13, v7, s33
	v_mul_lo_u32 v15, v7, s58
	s_delay_alu instid0(VALU_DEP_4) | instskip(SKIP_4) | instid1(VALU_DEP_4)
	v_mad_u64_u32 v[8:9], null, s4, v10, v[1:2]
	v_add3_u32 v3, v3, s4, v1
	v_mad_u64_u32 v[9:10], null, s4, v14, v[1:2]
	v_ashrrev_i32_e32 v14, 31, v13
	v_ashrrev_i32_e32 v16, 31, v15
	v_mul_lo_u32 v10, v3, s33
	v_mul_lo_u32 v12, v8, s33
	;; [unrolled: 1-line block ×3, first 2 shown]
	v_lshlrev_b64 v[27:28], 3, v[13:14]
	v_mul_lo_u32 v19, v9, s33
	v_lshlrev_b64 v[14:15], 3, v[15:16]
	v_mul_lo_u32 v23, v8, s58
	v_mul_lo_u32 v25, v9, s58
	v_ashrrev_i32_e32 v11, 31, v10
	v_ashrrev_i32_e32 v13, 31, v12
	v_add_co_u32 v27, vcc_lo, s8, v27
	v_ashrrev_i32_e32 v20, 31, v19
	s_delay_alu instid0(VALU_DEP_4)
	v_lshlrev_b64 v[10:11], 3, v[10:11]
	v_add_co_ci_u32_e32 v28, vcc_lo, s9, v28, vcc_lo
	v_add_co_u32 v14, vcc_lo, s10, v14
	v_lshlrev_b64 v[12:13], 3, v[12:13]
	v_ashrrev_i32_e32 v22, 31, v21
	v_add_co_ci_u32_e32 v15, vcc_lo, s11, v15, vcc_lo
	v_lshlrev_b64 v[19:20], 3, v[19:20]
	v_add_co_u32 v10, vcc_lo, s8, v10
	v_ashrrev_i32_e32 v24, 31, v23
	v_add_co_ci_u32_e32 v11, vcc_lo, s9, v11, vcc_lo
	v_lshlrev_b64 v[21:22], 3, v[21:22]
	v_add_co_u32 v12, vcc_lo, s8, v12
	;; [unrolled: 4-line block ×3, first 2 shown]
	v_add_co_ci_u32_e32 v33, vcc_lo, s9, v20, vcc_lo
	v_lshlrev_b64 v[25:26], 3, v[25:26]
	v_add_co_u32 v34, vcc_lo, s10, v21
	v_add_co_ci_u32_e32 v35, vcc_lo, s11, v22, vcc_lo
	v_add_co_u32 v36, vcc_lo, s10, v23
	v_add_co_ci_u32_e32 v37, vcc_lo, s11, v24, vcc_lo
	;; [unrolled: 2-line block ×3, first 2 shown]
	s_clause 0x3
	global_load_b64 v[20:21], v[27:28], off
	global_load_b64 v[22:23], v[10:11], off
	;; [unrolled: 1-line block ×4, first 2 shown]
	s_clause 0x3
	global_load_b64 v[24:25], v[14:15], off
	global_load_b64 v[26:27], v[34:35], off
	;; [unrolled: 1-line block ×5, first 2 shown]
	v_mov_b32_e32 v28, 0
	v_mov_b32_e32 v29, 0
	s_delay_alu instid0(VALU_DEP_2) | instskip(SKIP_2) | instid1(VALU_DEP_3)
	v_mov_b32_e32 v16, v28
	v_mov_b32_e32 v18, v28
	s_and_not1_b32 vcc_lo, exec_lo, s62
	v_mov_b32_e32 v41, v29
	v_mov_b32_e32 v33, v29
	;; [unrolled: 1-line block ×4, first 2 shown]
	v_dual_mov_b32 v39, v29 :: v_dual_mov_b32 v38, v28
	v_dual_mov_b32 v40, v28 :: v_dual_mov_b32 v17, v29
	;; [unrolled: 1-line block ×3, first 2 shown]
	v_mov_b32_e32 v42, v28
	v_mov_b32_e32 v36, v28
	s_cbranch_vccnz .LBB0_2
; %bb.4:                                ;   in Loop: Header=BB0_3 Depth=1
	v_sub_nc_u32_e32 v5, v5, v44
	v_mad_u64_u32 v[16:17], null, s67, v45, v[1:2]
	s_delay_alu instid0(VALU_DEP_2) | instskip(SKIP_2) | instid1(VALU_DEP_4)
	v_mul_lo_u32 v18, s4, v5
	v_add_nc_u32_e32 v19, 2, v5
	v_add_nc_u32_e32 v5, 3, v5
	v_mul_lo_u32 v17, v16, s59
	v_mul_lo_u32 v36, v16, s60
	s_delay_alu instid0(VALU_DEP_4) | instskip(SKIP_3) | instid1(VALU_DEP_3)
	v_mad_u64_u32 v[28:29], null, s4, v19, v[1:2]
	v_add3_u32 v29, v18, s4, v1
	v_mad_u64_u32 v[32:33], null, s4, v5, v[1:2]
	v_ashrrev_i32_e32 v18, 31, v17
	v_mul_lo_u32 v38, v29, s59
	v_mul_lo_u32 v16, v28, s59
	;; [unrolled: 1-line block ×5, first 2 shown]
	v_lshlrev_b64 v[18:19], 3, v[17:18]
	v_ashrrev_i32_e32 v37, 31, v36
	v_mul_lo_u32 v32, v32, s60
	v_ashrrev_i32_e32 v39, 31, v38
	v_ashrrev_i32_e32 v17, 31, v16
	;; [unrolled: 1-line block ×3, first 2 shown]
	v_add_co_u32 v18, vcc_lo, s6, v18
	s_delay_alu instid0(VALU_DEP_4) | instskip(SKIP_4) | instid1(VALU_DEP_4)
	v_lshlrev_b64 v[38:39], 3, v[38:39]
	v_ashrrev_i32_e32 v41, 31, v40
	v_lshlrev_b64 v[16:17], 3, v[16:17]
	v_add_co_ci_u32_e32 v19, vcc_lo, s7, v19, vcc_lo
	v_lshlrev_b64 v[36:37], 3, v[36:37]
	v_lshlrev_b64 v[40:41], 3, v[40:41]
	v_add_co_u32 v44, vcc_lo, s6, v38
	v_add_co_ci_u32_e32 v45, vcc_lo, s7, v39, vcc_lo
	v_add_co_u32 v16, vcc_lo, s6, v16
	v_ashrrev_i32_e32 v29, 31, v28
	v_add_co_ci_u32_e32 v17, vcc_lo, s7, v17, vcc_lo
	v_add_co_u32 v40, vcc_lo, s6, v40
	v_lshlrev_b64 v[38:39], 3, v[42:43]
	v_ashrrev_i32_e32 v33, 31, v32
	v_add_co_ci_u32_e32 v41, vcc_lo, s7, v41, vcc_lo
	v_add_co_u32 v46, vcc_lo, s12, v36
	v_lshlrev_b64 v[28:29], 3, v[28:29]
	v_add_co_ci_u32_e32 v47, vcc_lo, s13, v37, vcc_lo
	v_add_co_u32 v48, vcc_lo, s12, v38
	v_lshlrev_b64 v[32:33], 3, v[32:33]
	v_add_co_ci_u32_e32 v49, vcc_lo, s13, v39, vcc_lo
	v_add_co_u32 v50, vcc_lo, s12, v28
	v_add_co_ci_u32_e32 v51, vcc_lo, s13, v29, vcc_lo
	s_delay_alu instid0(VALU_DEP_4)
	v_add_co_u32 v52, vcc_lo, s12, v32
	v_add_co_ci_u32_e32 v53, vcc_lo, s13, v33, vcc_lo
	s_clause 0x3
	global_load_b64 v[38:39], v[18:19], off
	global_load_b64 v[36:37], v[44:45], off
	;; [unrolled: 1-line block ×4, first 2 shown]
	s_clause 0x3
	global_load_b64 v[32:33], v[46:47], off
	global_load_b64 v[28:29], v[48:49], off
	;; [unrolled: 1-line block ×4, first 2 shown]
	s_branch .LBB0_2
.LBB0_5:
	s_nop 0
	s_sendmsg sendmsg(MSG_DEALLOC_VGPRS)
	s_endpgm
	.section	.rodata,"a",@progbits
	.p2align	6, 0x0
	.amdhsa_kernel _ZN2at6native12_GLOBAL__N_16kernel17lstm_cell_forwardIddiLi1EEEvNS_4cuda6detail10TensorInfoIT_T1_EES9_S9_S9_S9_S9_S9_S9_S8_S8_
		.amdhsa_group_segment_fixed_size 0
		.amdhsa_private_segment_fixed_size 0
		.amdhsa_kernarg_size 1992
		.amdhsa_user_sgpr_count 15
		.amdhsa_user_sgpr_dispatch_ptr 0
		.amdhsa_user_sgpr_queue_ptr 0
		.amdhsa_user_sgpr_kernarg_segment_ptr 1
		.amdhsa_user_sgpr_dispatch_id 0
		.amdhsa_user_sgpr_private_segment_size 0
		.amdhsa_wavefront_size32 1
		.amdhsa_uses_dynamic_stack 0
		.amdhsa_enable_private_segment 0
		.amdhsa_system_sgpr_workgroup_id_x 1
		.amdhsa_system_sgpr_workgroup_id_y 0
		.amdhsa_system_sgpr_workgroup_id_z 0
		.amdhsa_system_sgpr_workgroup_info 0
		.amdhsa_system_vgpr_workitem_id 0
		.amdhsa_next_free_vgpr 62
		.amdhsa_next_free_sgpr 71
		.amdhsa_reserve_vcc 1
		.amdhsa_float_round_mode_32 0
		.amdhsa_float_round_mode_16_64 0
		.amdhsa_float_denorm_mode_32 3
		.amdhsa_float_denorm_mode_16_64 3
		.amdhsa_dx10_clamp 1
		.amdhsa_ieee_mode 1
		.amdhsa_fp16_overflow 0
		.amdhsa_workgroup_processor_mode 1
		.amdhsa_memory_ordered 1
		.amdhsa_forward_progress 0
		.amdhsa_shared_vgpr_count 0
		.amdhsa_exception_fp_ieee_invalid_op 0
		.amdhsa_exception_fp_denorm_src 0
		.amdhsa_exception_fp_ieee_div_zero 0
		.amdhsa_exception_fp_ieee_overflow 0
		.amdhsa_exception_fp_ieee_underflow 0
		.amdhsa_exception_fp_ieee_inexact 0
		.amdhsa_exception_int_div_zero 0
	.end_amdhsa_kernel
	.section	.text._ZN2at6native12_GLOBAL__N_16kernel17lstm_cell_forwardIddiLi1EEEvNS_4cuda6detail10TensorInfoIT_T1_EES9_S9_S9_S9_S9_S9_S9_S8_S8_,"axG",@progbits,_ZN2at6native12_GLOBAL__N_16kernel17lstm_cell_forwardIddiLi1EEEvNS_4cuda6detail10TensorInfoIT_T1_EES9_S9_S9_S9_S9_S9_S9_S8_S8_,comdat
.Lfunc_end0:
	.size	_ZN2at6native12_GLOBAL__N_16kernel17lstm_cell_forwardIddiLi1EEEvNS_4cuda6detail10TensorInfoIT_T1_EES9_S9_S9_S9_S9_S9_S9_S8_S8_, .Lfunc_end0-_ZN2at6native12_GLOBAL__N_16kernel17lstm_cell_forwardIddiLi1EEEvNS_4cuda6detail10TensorInfoIT_T1_EES9_S9_S9_S9_S9_S9_S9_S8_S8_
                                        ; -- End function
	.section	.AMDGPU.csdata,"",@progbits
; Kernel info:
; codeLenInByte = 5772
; NumSgprs: 73
; NumVgprs: 62
; ScratchSize: 0
; MemoryBound: 0
; FloatMode: 240
; IeeeMode: 1
; LDSByteSize: 0 bytes/workgroup (compile time only)
; SGPRBlocks: 9
; VGPRBlocks: 7
; NumSGPRsForWavesPerEU: 73
; NumVGPRsForWavesPerEU: 62
; Occupancy: 16
; WaveLimiterHint : 1
; COMPUTE_PGM_RSRC2:SCRATCH_EN: 0
; COMPUTE_PGM_RSRC2:USER_SGPR: 15
; COMPUTE_PGM_RSRC2:TRAP_HANDLER: 0
; COMPUTE_PGM_RSRC2:TGID_X_EN: 1
; COMPUTE_PGM_RSRC2:TGID_Y_EN: 0
; COMPUTE_PGM_RSRC2:TGID_Z_EN: 0
; COMPUTE_PGM_RSRC2:TIDIG_COMP_CNT: 0
	.section	.text._ZN2at6native12_GLOBAL__N_16kernel17lstm_cell_forwardIddiLi2EEEvNS_4cuda6detail10TensorInfoIT_T1_EES9_S9_S9_S9_S9_S9_S9_S8_S8_,"axG",@progbits,_ZN2at6native12_GLOBAL__N_16kernel17lstm_cell_forwardIddiLi2EEEvNS_4cuda6detail10TensorInfoIT_T1_EES9_S9_S9_S9_S9_S9_S9_S8_S8_,comdat
	.globl	_ZN2at6native12_GLOBAL__N_16kernel17lstm_cell_forwardIddiLi2EEEvNS_4cuda6detail10TensorInfoIT_T1_EES9_S9_S9_S9_S9_S9_S9_S8_S8_ ; -- Begin function _ZN2at6native12_GLOBAL__N_16kernel17lstm_cell_forwardIddiLi2EEEvNS_4cuda6detail10TensorInfoIT_T1_EES9_S9_S9_S9_S9_S9_S9_S8_S8_
	.p2align	8
	.type	_ZN2at6native12_GLOBAL__N_16kernel17lstm_cell_forwardIddiLi2EEEvNS_4cuda6detail10TensorInfoIT_T1_EES9_S9_S9_S9_S9_S9_S9_S8_S8_,@function
_ZN2at6native12_GLOBAL__N_16kernel17lstm_cell_forwardIddiLi2EEEvNS_4cuda6detail10TensorInfoIT_T1_EES9_S9_S9_S9_S9_S9_S9_S8_S8_: ; @_ZN2at6native12_GLOBAL__N_16kernel17lstm_cell_forwardIddiLi2EEEvNS_4cuda6detail10TensorInfoIT_T1_EES9_S9_S9_S9_S9_S9_S9_S8_S8_
; %bb.0:
	s_clause 0x1
	s_load_b32 s4, s[0:1], 0x6d4
	s_load_b64 s[6:7], s[0:1], 0x6c0
	s_add_u32 s2, s0, 0x6c8
	s_addc_u32 s3, s1, 0
	s_mov_b32 s5, exec_lo
	s_waitcnt lgkmcnt(0)
	s_and_b32 s4, s4, 0xffff
	s_delay_alu instid0(SALU_CYCLE_1) | instskip(NEXT) | instid1(VALU_DEP_1)
	v_mad_u64_u32 v[1:2], null, s15, s4, v[0:1]
	v_cmpx_gt_i32_e64 s7, v1
	s_cbranch_execz .LBB1_5
; %bb.1:
	s_clause 0x9
	s_load_b64 s[8:9], s[0:1], 0x1b0
	s_load_b32 s33, s[0:1], 0xe4
	s_load_b64 s[10:11], s[0:1], 0x144
	s_load_b64 s[12:13], s[0:1], 0x0
	s_load_b32 s70, s[0:1], 0xc
	s_load_b32 s71, s[0:1], 0x21c
	s_load_b64 s[14:15], s[0:1], 0x288
	s_load_b32 s72, s[0:1], 0x2f4
	s_load_b64 s[16:17], s[0:1], 0x360
	s_load_b32 s5, s[0:1], 0x36c
	s_load_b32 s78, s[2:3], 0x0
	s_clause 0xb
	s_load_b64 s[18:19], s[0:1], 0x3cc
	s_load_b64 s[20:21], s[0:1], 0x438
	s_load_b32 s2, s[0:1], 0x444
	s_load_b32 s73, s[0:1], 0x5f4
	s_load_b64 s[22:23], s[0:1], 0x510
	s_load_b32 s3, s[0:1], 0x51c
	s_load_b64 s[24:25], s[0:1], 0x6c
	s_load_b64 s[26:27], s[0:1], 0xd8
	;; [unrolled: 1-line block ×6, first 2 shown]
	s_waitcnt lgkmcnt(0)
	s_cmp_lg_u64 s[8:9], 0
	s_mov_b32 s38, 0x652b82fe
	s_cselect_b32 s74, -1, 0
	s_abs_i32 s75, s6
	s_abs_i32 s77, s70
	v_cvt_f32_u32_e32 v0, s75
	v_cvt_f32_u32_e32 v2, s77
	s_abs_i32 s80, s33
	s_sub_i32 s0, 0, s75
	s_abs_i32 s82, s5
	v_rcp_iflag_f32_e32 v0, v0
	v_cvt_f32_u32_e32 v3, s80
	v_rcp_iflag_f32_e32 v2, v2
	v_cvt_f32_u32_e32 v5, s82
	s_abs_i32 s81, s73
	s_abs_i32 s83, s2
	v_rcp_iflag_f32_e32 v3, v3
	v_cvt_f32_u32_e32 v4, s81
	v_rcp_iflag_f32_e32 v5, v5
	s_abs_i32 s84, s3
	v_mul_f32_e32 v0, 0x4f7ffffe, v0
	v_cvt_f32_u32_e32 v6, s83
	v_mul_f32_e32 v2, 0x4f7ffffe, v2
	v_rcp_iflag_f32_e32 v4, v4
	v_cvt_f32_u32_e32 v8, s84
	s_sub_i32 s1, 0, s81
	v_mul_f32_e32 v3, 0x4f7ffffe, v3
	v_cvt_u32_f32_e32 v0, v0
	v_mul_f32_e32 v5, 0x4f7ffffe, v5
	v_cvt_u32_f32_e32 v2, v2
	v_rcp_iflag_f32_e32 v6, v6
	v_rcp_iflag_f32_e32 v8, v8
	v_mul_lo_u32 v7, s0, v0
	s_sub_i32 s0, 0, s77
	v_cvt_u32_f32_e32 v3, v3
	v_mul_lo_u32 v9, s0, v2
	s_sub_i32 s0, 0, s80
	v_cvt_u32_f32_e32 v5, v5
	s_mov_b32 s40, 0xfefa39ef
	s_mov_b32 s42, 0x3b39803f
	v_mul_hi_u32 v7, v0, v7
	v_mul_f32_e32 v6, 0x4f7ffffe, v6
	s_mov_b32 s44, 0xfca7ab0c
	v_mul_hi_u32 v9, v2, v9
	v_mul_f32_e32 v4, 0x4f7ffffe, v4
	s_mov_b32 s46, 0x6a5dcb37
	v_cvt_u32_f32_e32 v6, v6
	s_mov_b32 s48, 0x623fde64
	v_add_nc_u32_e32 v0, v0, v7
	v_mul_lo_u32 v7, s0, v3
	s_sub_i32 s0, 0, s82
	v_add_nc_u32_e32 v37, v2, v9
	v_cvt_u32_f32_e32 v4, v4
	v_mul_lo_u32 v11, s0, v5
	s_sub_i32 s0, 0, s84
	s_mov_b32 s50, 0x7c89e6b0
	s_mov_b32 s52, 0x14761f6e
	v_mul_lo_u32 v10, s1, v4
	s_sub_i32 s1, 0, s83
	v_mul_hi_u32 v7, v3, v7
	v_mul_lo_u32 v12, s1, v6
	v_mul_hi_u32 v2, v5, v11
	s_mov_b32 s54, 0x1852b7b0
	s_mov_b32 s56, 0x11122322
	s_mov_b32 s58, 0x555502a1
	v_mul_hi_u32 v10, v4, v10
	v_mul_f32_e32 v8, 0x4f7ffffe, v8
	v_add_nc_u32_e32 v38, v3, v7
	v_mul_hi_u32 v9, v6, v12
	v_add_nc_u32_e32 v40, v5, v2
	s_mov_b32 s60, 0x55555511
	s_mov_b32 s62, 11
	;; [unrolled: 1-line block ×3, first 2 shown]
	v_add_nc_u32_e32 v39, v4, v10
	v_cvt_u32_f32_e32 v8, v8
	s_mov_b32 s66, 0xf97b57a0
	v_add_nc_u32_e32 v41, v6, v9
	s_mov_b32 s76, 0
	s_mul_i32 s78, s78, s4
	v_mul_lo_u32 v13, s0, v8
	s_ashr_i32 s79, s6, 31
	s_ashr_i32 s85, s70, 31
	;; [unrolled: 1-line block ×7, first 2 shown]
	v_mul_hi_u32 v3, v8, v13
	s_mul_i32 s91, s6, 3
	s_sub_i32 s92, 0, s6
	s_sub_i32 s93, 0, s5
	;; [unrolled: 1-line block ×3, first 2 shown]
	s_mov_b32 s39, 0xbff71547
	s_mov_b32 s41, 0xbfe62e42
	;; [unrolled: 1-line block ×3, first 2 shown]
	v_add_nc_u32_e32 v42, v8, v3
	s_mov_b32 s45, 0x3e928af3
	s_mov_b32 s47, 0x3e5ade15
	;; [unrolled: 1-line block ×12, first 2 shown]
	s_sub_i32 s95, 0, s3
	s_mov_b32 s5, 0x3ff71547
	s_mov_b32 s68, 0xfefa3000
	s_branch .LBB1_3
.LBB1_2:                                ;   in Loop: Header=BB1_3 Depth=1
	s_waitcnt vmcnt(2)
	v_add_f64 v[21:22], v[21:22], v[27:28]
	s_mov_b32 s4, s38
	s_mov_b32 s69, s41
	v_add_f64 v[13:14], v[13:14], v[17:18]
	v_add_f64 v[15:16], v[15:16], v[19:20]
	s_waitcnt vmcnt(1)
	v_add_f64 v[3:4], v[3:4], v[5:6]
	s_delay_alu instid0(VALU_DEP_4) | instskip(NEXT) | instid1(VALU_DEP_4)
	v_add_f64 v[21:22], v[21:22], v[35:36]
	v_add_f64 v[13:14], v[13:14], v[31:32]
	s_delay_alu instid0(VALU_DEP_4) | instskip(NEXT) | instid1(VALU_DEP_4)
	v_add_f64 v[15:16], v[15:16], v[29:30]
	;; [unrolled: 3-line block ×3, first 2 shown]
	v_add_f64 v[13:14], v[25:26], v[13:14]
	s_delay_alu instid0(VALU_DEP_4) | instskip(SKIP_1) | instid1(VALU_DEP_4)
	v_add_f64 v[15:16], v[23:24], v[15:16]
	s_waitcnt vmcnt(0)
	v_add_f64 v[3:4], v[9:10], v[3:4]
	s_delay_alu instid0(VALU_DEP_4) | instskip(NEXT) | instid1(VALU_DEP_4)
	v_mul_f64 v[27:28], |v[21:22]|, s[4:5]
	v_mul_f64 v[23:24], v[13:14], s[38:39]
	s_delay_alu instid0(VALU_DEP_4)
	v_mul_f64 v[25:26], v[15:16], s[38:39]
	v_cmp_nlt_f64_e64 s1, 0x4090cc00, v[13:14]
	v_cmp_ngt_f64_e64 s2, 0xc0900000, v[15:16]
	v_rndne_f64_e32 v[27:28], v[27:28]
	v_rndne_f64_e32 v[23:24], v[23:24]
	;; [unrolled: 1-line block ×3, first 2 shown]
	s_delay_alu instid0(VALU_DEP_3) | instskip(SKIP_1) | instid1(VALU_DEP_3)
	v_fma_f64 v[33:34], v[27:28], s[68:69], |v[21:22]|
	v_mul_f64 v[35:36], v[27:28], s[64:65]
	v_fma_f64 v[31:32], v[25:26], s[40:41], -v[15:16]
	s_delay_alu instid0(VALU_DEP_3) | instskip(NEXT) | instid1(VALU_DEP_2)
	v_add_f64 v[56:57], v[33:34], 0
	v_fma_f64 v[31:32], v[25:26], s[42:43], v[31:32]
	s_delay_alu instid0(VALU_DEP_2) | instskip(SKIP_1) | instid1(VALU_DEP_2)
	v_add_f64 v[58:59], v[56:57], -v[35:36]
	v_add_f64 v[33:34], v[33:34], -v[56:57]
	;; [unrolled: 1-line block ×3, first 2 shown]
	s_delay_alu instid0(VALU_DEP_2) | instskip(NEXT) | instid1(VALU_DEP_2)
	v_add_f64 v[33:34], v[33:34], 0
	v_add_f64 v[35:36], v[56:57], -v[35:36]
	s_delay_alu instid0(VALU_DEP_1) | instskip(SKIP_1) | instid1(VALU_DEP_2)
	v_add_f64 v[33:34], v[33:34], v[35:36]
	v_mul_f64 v[35:36], v[27:28], s[66:67]
	v_add_f64 v[56:57], v[58:59], v[33:34]
	s_delay_alu instid0(VALU_DEP_1) | instskip(SKIP_1) | instid1(VALU_DEP_2)
	v_add_f64 v[60:61], v[56:57], -v[35:36]
	v_add_f64 v[58:59], v[58:59], -v[56:57]
	;; [unrolled: 1-line block ×3, first 2 shown]
	s_delay_alu instid0(VALU_DEP_2) | instskip(NEXT) | instid1(VALU_DEP_2)
	v_add_f64 v[33:34], v[33:34], v[58:59]
	v_add_f64 v[35:36], v[56:57], -v[35:36]
	s_delay_alu instid0(VALU_DEP_1) | instskip(NEXT) | instid1(VALU_DEP_1)
	v_add_f64 v[33:34], v[33:34], v[35:36]
	v_add_f64 v[35:36], v[60:61], v[33:34]
	s_delay_alu instid0(VALU_DEP_1) | instskip(SKIP_2) | instid1(VALU_DEP_3)
	v_fma_f64 v[56:57], v[35:36], s[46:47], s[44:45]
	v_add_f64 v[58:59], v[60:61], -v[35:36]
	v_mul_f64 v[60:61], v[35:36], v[35:36]
	v_fma_f64 v[56:57], v[35:36], v[56:57], s[48:49]
	s_delay_alu instid0(VALU_DEP_3) | instskip(NEXT) | instid1(VALU_DEP_3)
	v_add_f64 v[33:34], v[33:34], v[58:59]
	v_fma_f64 v[58:59], v[35:36], v[35:36], -v[60:61]
	s_delay_alu instid0(VALU_DEP_3) | instskip(NEXT) | instid1(VALU_DEP_3)
	v_fma_f64 v[56:57], v[35:36], v[56:57], s[50:51]
	v_add_f64 v[62:63], v[33:34], v[33:34]
	s_delay_alu instid0(VALU_DEP_2) | instskip(NEXT) | instid1(VALU_DEP_2)
	v_fma_f64 v[56:57], v[35:36], v[56:57], s[52:53]
	v_fma_f64 v[58:59], v[35:36], v[62:63], v[58:59]
	s_delay_alu instid0(VALU_DEP_2) | instskip(NEXT) | instid1(VALU_DEP_2)
	v_fma_f64 v[56:57], v[35:36], v[56:57], s[54:55]
	v_add_f64 v[62:63], v[60:61], v[58:59]
	s_delay_alu instid0(VALU_DEP_2) | instskip(NEXT) | instid1(VALU_DEP_2)
	v_fma_f64 v[56:57], v[35:36], v[56:57], s[56:57]
	v_add_f64 v[60:61], v[62:63], -v[60:61]
	s_delay_alu instid0(VALU_DEP_2) | instskip(NEXT) | instid1(VALU_DEP_2)
	v_fma_f64 v[56:57], v[35:36], v[56:57], s[58:59]
	v_add_f64 v[58:59], v[58:59], -v[60:61]
	s_delay_alu instid0(VALU_DEP_2) | instskip(NEXT) | instid1(VALU_DEP_1)
	v_fma_f64 v[56:57], v[35:36], v[56:57], s[60:61]
	v_fma_f64 v[56:57], v[35:36], v[56:57], s[62:63]
	s_delay_alu instid0(VALU_DEP_1) | instskip(NEXT) | instid1(VALU_DEP_1)
	v_mul_f64 v[64:65], v[62:63], v[56:57]
	v_fma_f64 v[60:61], v[62:63], v[56:57], -v[64:65]
	s_delay_alu instid0(VALU_DEP_1) | instskip(NEXT) | instid1(VALU_DEP_1)
	v_fma_f64 v[56:57], v[58:59], v[56:57], v[60:61]
	v_add_f64 v[58:59], v[64:65], v[56:57]
	s_delay_alu instid0(VALU_DEP_1) | instskip(SKIP_1) | instid1(VALU_DEP_2)
	v_add_f64 v[60:61], v[35:36], v[58:59]
	v_add_f64 v[62:63], v[58:59], -v[64:65]
	v_add_f64 v[35:36], v[60:61], -v[35:36]
	s_delay_alu instid0(VALU_DEP_2) | instskip(SKIP_1) | instid1(VALU_DEP_3)
	v_add_f64 v[56:57], v[56:57], -v[62:63]
	v_cvt_i32_f64_e32 v62, v[27:28]
	v_add_f64 v[35:36], v[58:59], -v[35:36]
	s_delay_alu instid0(VALU_DEP_3) | instskip(NEXT) | instid1(VALU_DEP_1)
	v_add_f64 v[33:34], v[33:34], v[56:57]
	v_add_f64 v[33:34], v[33:34], v[35:36]
	s_delay_alu instid0(VALU_DEP_1) | instskip(NEXT) | instid1(VALU_DEP_1)
	v_add_f64 v[35:36], v[60:61], v[33:34]
	v_add_f64 v[56:57], v[35:36], 1.0
	v_add_f64 v[58:59], v[35:36], -v[60:61]
	s_delay_alu instid0(VALU_DEP_2) | instskip(NEXT) | instid1(VALU_DEP_2)
	v_add_f64 v[60:61], v[56:57], -1.0
	v_add_f64 v[33:34], v[33:34], -v[58:59]
	s_delay_alu instid0(VALU_DEP_2) | instskip(NEXT) | instid1(VALU_DEP_1)
	v_add_f64 v[35:36], v[35:36], -v[60:61]
	v_add_f64 v[33:34], v[33:34], v[35:36]
	s_delay_alu instid0(VALU_DEP_1) | instskip(NEXT) | instid1(VALU_DEP_1)
	v_add_f64 v[27:28], v[56:57], v[33:34]
	v_ldexp_f64 v[35:36], v[27:28], v62
	v_add_f64 v[27:28], v[27:28], -v[56:57]
	s_delay_alu instid0(VALU_DEP_2) | instskip(NEXT) | instid1(VALU_DEP_1)
	v_rcp_f64_e32 v[58:59], v[35:36]
	v_add_f64 v[27:28], v[33:34], -v[27:28]
	s_delay_alu instid0(VALU_DEP_1) | instskip(SKIP_2) | instid1(VALU_DEP_1)
	v_ldexp_f64 v[27:28], v[27:28], v62
	s_waitcnt_depctr 0xfff
	v_fma_f64 v[60:61], -v[35:36], v[58:59], 1.0
	v_fma_f64 v[58:59], v[60:61], v[58:59], v[58:59]
	s_delay_alu instid0(VALU_DEP_1) | instskip(NEXT) | instid1(VALU_DEP_1)
	v_fma_f64 v[60:61], -v[35:36], v[58:59], 1.0
	v_fma_f64 v[56:57], v[60:61], v[58:59], v[58:59]
	s_delay_alu instid0(VALU_DEP_1) | instskip(NEXT) | instid1(VALU_DEP_1)
	v_mul_f64 v[33:34], v[35:36], v[56:57]
	v_fma_f64 v[58:59], v[56:57], v[35:36], -v[33:34]
	s_delay_alu instid0(VALU_DEP_1) | instskip(NEXT) | instid1(VALU_DEP_1)
	v_fma_f64 v[58:59], v[56:57], v[27:28], v[58:59]
	v_add_f64 v[60:61], v[33:34], v[58:59]
	s_delay_alu instid0(VALU_DEP_1) | instskip(SKIP_1) | instid1(VALU_DEP_2)
	v_add_f64 v[62:63], -v[60:61], 1.0
	v_add_f64 v[33:34], v[60:61], -v[33:34]
	v_add_f64 v[64:65], -v[62:63], 1.0
	s_delay_alu instid0(VALU_DEP_2) | instskip(NEXT) | instid1(VALU_DEP_2)
	v_add_f64 v[33:34], v[33:34], -v[58:59]
	v_add_f64 v[58:59], v[64:65], -v[60:61]
	s_delay_alu instid0(VALU_DEP_1) | instskip(NEXT) | instid1(VALU_DEP_1)
	v_add_f64 v[33:34], v[33:34], v[58:59]
	v_add_f64 v[58:59], v[62:63], v[33:34]
	s_delay_alu instid0(VALU_DEP_1) | instskip(SKIP_1) | instid1(VALU_DEP_2)
	v_mul_f64 v[60:61], v[56:57], v[58:59]
	v_add_f64 v[62:63], v[62:63], -v[58:59]
	v_mul_f64 v[64:65], v[35:36], v[60:61]
	s_delay_alu instid0(VALU_DEP_2) | instskip(SKIP_1) | instid1(VALU_DEP_3)
	v_add_f64 v[33:34], v[33:34], v[62:63]
	v_add_f64 v[29:30], v[56:57], v[60:61]
	v_fma_f64 v[66:67], v[60:61], v[35:36], -v[64:65]
	s_delay_alu instid0(VALU_DEP_1) | instskip(NEXT) | instid1(VALU_DEP_1)
	v_fma_f64 v[66:67], v[60:61], v[27:28], v[66:67]
	v_add_f64 v[68:69], v[64:65], v[66:67]
	s_delay_alu instid0(VALU_DEP_1) | instskip(SKIP_1) | instid1(VALU_DEP_2)
	v_add_f64 v[70:71], v[58:59], -v[68:69]
	v_add_f64 v[62:63], v[68:69], -v[64:65]
	;; [unrolled: 1-line block ×3, first 2 shown]
	s_delay_alu instid0(VALU_DEP_2) | instskip(NEXT) | instid1(VALU_DEP_2)
	v_add_f64 v[17:18], v[62:63], -v[66:67]
	v_add_f64 v[58:59], v[58:59], -v[68:69]
	s_delay_alu instid0(VALU_DEP_1) | instskip(NEXT) | instid1(VALU_DEP_1)
	v_add_f64 v[19:20], v[33:34], v[58:59]
	v_add_f64 v[17:18], v[17:18], v[19:20]
	v_add_f64 v[19:20], v[29:30], -v[56:57]
	s_delay_alu instid0(VALU_DEP_2) | instskip(NEXT) | instid1(VALU_DEP_2)
	v_add_f64 v[17:18], v[70:71], v[17:18]
	v_add_f64 v[19:20], v[60:61], -v[19:20]
	v_fma_f64 v[60:61], v[31:32], s[46:47], s[44:45]
	s_delay_alu instid0(VALU_DEP_3) | instskip(NEXT) | instid1(VALU_DEP_1)
	v_mul_f64 v[17:18], v[56:57], v[17:18]
	v_add_f64 v[17:18], v[19:20], v[17:18]
	v_fma_f64 v[19:20], v[23:24], s[40:41], -v[13:14]
	s_delay_alu instid0(VALU_DEP_2) | instskip(NEXT) | instid1(VALU_DEP_2)
	v_add_f64 v[33:34], v[29:30], v[17:18]
	v_fma_f64 v[19:20], v[23:24], s[42:43], v[19:20]
	s_delay_alu instid0(VALU_DEP_2) | instskip(SKIP_1) | instid1(VALU_DEP_3)
	v_add_f64 v[56:57], v[35:36], v[33:34]
	v_add_f64 v[29:30], v[33:34], -v[29:30]
	v_fma_f64 v[58:59], v[19:20], s[46:47], s[44:45]
	v_add_f64 v[64:65], v[35:36], -v[33:34]
	s_delay_alu instid0(VALU_DEP_4) | instskip(NEXT) | instid1(VALU_DEP_4)
	v_add_f64 v[62:63], v[56:57], -v[35:36]
	v_add_f64 v[17:18], v[17:18], -v[29:30]
	s_delay_alu instid0(VALU_DEP_4)
	v_fma_f64 v[29:30], v[19:20], v[58:59], s[48:49]
	v_fma_f64 v[58:59], v[31:32], v[60:61], s[48:49]
	v_add_f64 v[35:36], v[35:36], -v[64:65]
	v_add_f64 v[60:61], v[33:34], -v[62:63]
	v_add_f64 v[62:63], v[27:28], v[17:18]
	v_fma_f64 v[29:30], v[19:20], v[29:30], s[50:51]
	v_fma_f64 v[58:59], v[31:32], v[58:59], s[50:51]
	v_add_f64 v[33:34], v[35:36], -v[33:34]
	s_delay_alu instid0(VALU_DEP_4) | instskip(NEXT) | instid1(VALU_DEP_4)
	v_add_f64 v[60:61], v[62:63], v[60:61]
	v_fma_f64 v[29:30], v[19:20], v[29:30], s[52:53]
	s_delay_alu instid0(VALU_DEP_4) | instskip(NEXT) | instid1(VALU_DEP_4)
	v_fma_f64 v[58:59], v[31:32], v[58:59], s[52:53]
	v_add_f64 v[27:28], v[27:28], v[33:34]
	s_delay_alu instid0(VALU_DEP_4) | instskip(NEXT) | instid1(VALU_DEP_4)
	v_add_f64 v[62:63], v[56:57], v[60:61]
	v_fma_f64 v[29:30], v[19:20], v[29:30], s[54:55]
	s_delay_alu instid0(VALU_DEP_4) | instskip(NEXT) | instid1(VALU_DEP_4)
	v_fma_f64 v[58:59], v[31:32], v[58:59], s[54:55]
	v_add_f64 v[17:18], v[27:28], -v[17:18]
	s_delay_alu instid0(VALU_DEP_4) | instskip(NEXT) | instid1(VALU_DEP_3)
	v_rcp_f64_e32 v[66:67], v[62:63]
	v_fma_f64 v[29:30], v[19:20], v[29:30], s[56:57]
	s_delay_alu instid0(VALU_DEP_3) | instskip(NEXT) | instid1(VALU_DEP_2)
	v_fma_f64 v[58:59], v[31:32], v[58:59], s[56:57]
	v_fma_f64 v[29:30], v[19:20], v[29:30], s[58:59]
	s_waitcnt_depctr 0xfff
	v_fma_f64 v[35:36], -v[62:63], v[66:67], 1.0
	v_fma_f64 v[58:59], v[31:32], v[58:59], s[58:59]
	v_fma_f64 v[29:30], v[19:20], v[29:30], s[60:61]
	s_delay_alu instid0(VALU_DEP_3) | instskip(NEXT) | instid1(VALU_DEP_3)
	v_fma_f64 v[33:34], v[35:36], v[66:67], v[66:67]
	v_fma_f64 v[35:36], v[31:32], v[58:59], s[60:61]
	v_add_f64 v[58:59], v[64:65], v[17:18]
	v_cvt_i32_f64_e32 v66, v[23:24]
	v_cvt_i32_f64_e32 v67, v[25:26]
	v_add_f64 v[25:26], v[62:63], -v[56:57]
	v_fma_f64 v[29:30], v[19:20], v[29:30], s[62:63]
	v_fma_f64 v[27:28], -v[62:63], v[33:34], 1.0
	v_fma_f64 v[35:36], v[31:32], v[35:36], s[62:63]
	s_delay_alu instid0(VALU_DEP_4) | instskip(NEXT) | instid1(VALU_DEP_4)
	v_add_f64 v[25:26], v[60:61], -v[25:26]
	v_fma_f64 v[29:30], v[19:20], v[29:30], 1.0
	s_delay_alu instid0(VALU_DEP_4) | instskip(NEXT) | instid1(VALU_DEP_4)
	v_fma_f64 v[27:28], v[27:28], v[33:34], v[33:34]
	v_fma_f64 v[33:34], v[31:32], v[35:36], 1.0
	s_delay_alu instid0(VALU_DEP_3) | instskip(NEXT) | instid1(VALU_DEP_3)
	v_fma_f64 v[19:20], v[19:20], v[29:30], 1.0
	v_mul_f64 v[35:36], v[58:59], v[27:28]
	s_delay_alu instid0(VALU_DEP_3) | instskip(NEXT) | instid1(VALU_DEP_3)
	v_fma_f64 v[23:24], v[31:32], v[33:34], 1.0
	v_ldexp_f64 v[19:20], v[19:20], v66
	s_delay_alu instid0(VALU_DEP_3) | instskip(NEXT) | instid1(VALU_DEP_3)
	v_mul_f64 v[29:30], v[62:63], v[35:36]
	v_ldexp_f64 v[23:24], v[23:24], v67
	s_delay_alu instid0(VALU_DEP_3) | instskip(NEXT) | instid1(VALU_DEP_3)
	v_add_f64 v[19:20], v[19:20], 1.0
	v_fma_f64 v[31:32], v[35:36], v[62:63], -v[29:30]
	s_delay_alu instid0(VALU_DEP_3) | instskip(NEXT) | instid1(VALU_DEP_2)
	v_add_f64 v[23:24], v[23:24], 1.0
	v_fma_f64 v[25:26], v[35:36], v[25:26], v[31:32]
	s_delay_alu instid0(VALU_DEP_4) | instskip(NEXT) | instid1(VALU_DEP_3)
	v_div_scale_f64 v[31:32], null, v[19:20], v[19:20], 1.0
	v_div_scale_f64 v[33:34], null, v[23:24], v[23:24], 1.0
	s_delay_alu instid0(VALU_DEP_3) | instskip(NEXT) | instid1(VALU_DEP_3)
	v_add_f64 v[56:57], v[29:30], v[25:26]
	v_rcp_f64_e32 v[60:61], v[31:32]
	s_delay_alu instid0(VALU_DEP_2) | instskip(NEXT) | instid1(VALU_DEP_1)
	v_rcp_f64_e32 v[62:63], v[33:34]
	v_add_f64 v[66:67], v[58:59], -v[56:57]
	v_add_f64 v[29:30], v[56:57], -v[29:30]
	s_waitcnt_depctr 0xfff
	v_fma_f64 v[68:69], -v[31:32], v[60:61], 1.0
	v_fma_f64 v[70:71], -v[33:34], v[62:63], 1.0
	v_add_f64 v[72:73], v[58:59], -v[66:67]
	v_add_f64 v[58:59], v[58:59], -v[64:65]
	;; [unrolled: 1-line block ×3, first 2 shown]
	v_fma_f64 v[60:61], v[60:61], v[68:69], v[60:61]
	v_fma_f64 v[62:63], v[62:63], v[70:71], v[62:63]
	v_add_f64 v[29:30], v[72:73], -v[56:57]
	v_add_f64 v[17:18], v[17:18], -v[58:59]
	v_div_scale_f64 v[58:59], s0, 1.0, v[23:24], 1.0
	v_fma_f64 v[56:57], -v[31:32], v[60:61], 1.0
	v_fma_f64 v[64:65], -v[33:34], v[62:63], 1.0
	v_add_f64 v[25:26], v[29:30], -v[25:26]
	v_div_scale_f64 v[29:30], vcc_lo, 1.0, v[19:20], 1.0
	s_delay_alu instid0(VALU_DEP_4) | instskip(NEXT) | instid1(VALU_DEP_4)
	v_fma_f64 v[56:57], v[60:61], v[56:57], v[60:61]
	v_fma_f64 v[60:61], v[62:63], v[64:65], v[62:63]
	s_delay_alu instid0(VALU_DEP_4) | instskip(NEXT) | instid1(VALU_DEP_3)
	v_add_f64 v[17:18], v[17:18], v[25:26]
	v_mul_f64 v[25:26], v[29:30], v[56:57]
	s_delay_alu instid0(VALU_DEP_3) | instskip(NEXT) | instid1(VALU_DEP_3)
	v_mul_f64 v[62:63], v[58:59], v[60:61]
	v_add_f64 v[17:18], v[66:67], v[17:18]
	s_delay_alu instid0(VALU_DEP_3) | instskip(NEXT) | instid1(VALU_DEP_3)
	v_fma_f64 v[29:30], -v[31:32], v[25:26], v[29:30]
	v_fma_f64 v[31:32], -v[33:34], v[62:63], v[58:59]
	s_delay_alu instid0(VALU_DEP_3) | instskip(NEXT) | instid1(VALU_DEP_3)
	v_mul_f64 v[17:18], v[27:28], v[17:18]
	v_div_fmas_f64 v[25:26], v[29:30], v[56:57], v[25:26]
	s_mov_b32 vcc_lo, s0
	v_cmp_ngt_f64_e64 s0, 0xc0900000, v[13:14]
	s_delay_alu instid0(VALU_DEP_4)
	v_div_fmas_f64 v[27:28], v[31:32], v[60:61], v[62:63]
	v_cmp_nlt_f64_e64 vcc_lo, 0x40331000, |v[21:22]|
	v_and_b32_e32 v14, 0x7fffffff, v22
	v_add_f64 v[17:18], v[35:36], v[17:18]
	v_div_fixup_f64 v[19:20], v[25:26], v[19:20], 1.0
	v_div_fixup_f64 v[23:24], v[27:28], v[23:24], 1.0
	s_delay_alu instid0(VALU_DEP_3) | instskip(NEXT) | instid1(VALU_DEP_4)
	v_cndmask_b32_e32 v18, 0x3ff00000, v18, vcc_lo
	v_cndmask_b32_e32 v17, 0, v17, vcc_lo
	v_cmp_gt_f64_e64 vcc_lo, 0x3e400000, |v[21:22]|
	v_cndmask_b32_e64 v20, 0, v20, s0
	v_cndmask_b32_e64 v24, 0, v24, s2
	s_delay_alu instid0(VALU_DEP_4) | instskip(SKIP_1) | instid1(VALU_DEP_3)
	v_dual_cndmask_b32 v13, v17, v21 :: v_dual_cndmask_b32 v14, v18, v14
	s_and_b32 vcc_lo, s1, s0
	v_cndmask_b32_e64 v18, 0x3ff00000, v20, s1
	v_cndmask_b32_e32 v17, 0, v19, vcc_lo
	v_cmp_nlt_f64_e32 vcc_lo, 0x4090cc00, v[15:16]
	v_bfi_b32 v14, 0x7fffffff, v14, v22
	s_delay_alu instid0(VALU_DEP_1) | instskip(SKIP_3) | instid1(VALU_DEP_1)
	v_mul_f64 v[15:16], v[17:18], v[13:14]
	v_cndmask_b32_e32 v20, 0x3ff00000, v24, vcc_lo
	s_and_b32 vcc_lo, vcc_lo, s2
	v_cndmask_b32_e32 v19, 0, v23, vcc_lo
	v_fma_f64 v[7:8], v[7:8], v[19:20], v[15:16]
	s_delay_alu instid0(VALU_DEP_1) | instskip(NEXT) | instid1(VALU_DEP_1)
	v_mul_f64 v[15:16], |v[7:8]|, s[4:5]
	v_rndne_f64_e32 v[15:16], v[15:16]
	s_delay_alu instid0(VALU_DEP_1) | instskip(SKIP_1) | instid1(VALU_DEP_2)
	v_fma_f64 v[21:22], v[15:16], s[68:69], |v[7:8]|
	v_mul_f64 v[23:24], v[15:16], s[64:65]
	v_add_f64 v[25:26], v[21:22], 0
	s_delay_alu instid0(VALU_DEP_1) | instskip(SKIP_1) | instid1(VALU_DEP_2)
	v_add_f64 v[27:28], v[25:26], -v[23:24]
	v_add_f64 v[21:22], v[21:22], -v[25:26]
	;; [unrolled: 1-line block ×3, first 2 shown]
	s_delay_alu instid0(VALU_DEP_2) | instskip(NEXT) | instid1(VALU_DEP_2)
	v_add_f64 v[21:22], v[21:22], 0
	v_add_f64 v[23:24], v[25:26], -v[23:24]
	s_delay_alu instid0(VALU_DEP_1) | instskip(SKIP_1) | instid1(VALU_DEP_2)
	v_add_f64 v[21:22], v[21:22], v[23:24]
	v_mul_f64 v[23:24], v[15:16], s[66:67]
	v_add_f64 v[25:26], v[27:28], v[21:22]
	s_delay_alu instid0(VALU_DEP_1) | instskip(SKIP_1) | instid1(VALU_DEP_2)
	v_add_f64 v[29:30], v[25:26], -v[23:24]
	v_add_f64 v[27:28], v[27:28], -v[25:26]
	;; [unrolled: 1-line block ×3, first 2 shown]
	s_delay_alu instid0(VALU_DEP_2) | instskip(NEXT) | instid1(VALU_DEP_2)
	v_add_f64 v[21:22], v[21:22], v[27:28]
	v_add_f64 v[23:24], v[25:26], -v[23:24]
	s_delay_alu instid0(VALU_DEP_1) | instskip(NEXT) | instid1(VALU_DEP_1)
	v_add_f64 v[21:22], v[21:22], v[23:24]
	v_add_f64 v[23:24], v[29:30], v[21:22]
	s_delay_alu instid0(VALU_DEP_1) | instskip(SKIP_2) | instid1(VALU_DEP_3)
	v_fma_f64 v[25:26], v[23:24], s[46:47], s[44:45]
	v_add_f64 v[27:28], v[29:30], -v[23:24]
	v_mul_f64 v[29:30], v[23:24], v[23:24]
	v_fma_f64 v[25:26], v[23:24], v[25:26], s[48:49]
	s_delay_alu instid0(VALU_DEP_3) | instskip(NEXT) | instid1(VALU_DEP_3)
	v_add_f64 v[21:22], v[21:22], v[27:28]
	v_fma_f64 v[27:28], v[23:24], v[23:24], -v[29:30]
	s_delay_alu instid0(VALU_DEP_3) | instskip(NEXT) | instid1(VALU_DEP_3)
	v_fma_f64 v[25:26], v[23:24], v[25:26], s[50:51]
	v_add_f64 v[31:32], v[21:22], v[21:22]
	s_delay_alu instid0(VALU_DEP_2) | instskip(NEXT) | instid1(VALU_DEP_2)
	v_fma_f64 v[25:26], v[23:24], v[25:26], s[52:53]
	v_fma_f64 v[27:28], v[23:24], v[31:32], v[27:28]
	s_delay_alu instid0(VALU_DEP_2) | instskip(NEXT) | instid1(VALU_DEP_2)
	v_fma_f64 v[25:26], v[23:24], v[25:26], s[54:55]
	v_add_f64 v[31:32], v[29:30], v[27:28]
	s_delay_alu instid0(VALU_DEP_2) | instskip(NEXT) | instid1(VALU_DEP_2)
	v_fma_f64 v[25:26], v[23:24], v[25:26], s[56:57]
	v_add_f64 v[29:30], v[31:32], -v[29:30]
	s_delay_alu instid0(VALU_DEP_2) | instskip(NEXT) | instid1(VALU_DEP_2)
	v_fma_f64 v[25:26], v[23:24], v[25:26], s[58:59]
	v_add_f64 v[27:28], v[27:28], -v[29:30]
	s_delay_alu instid0(VALU_DEP_2) | instskip(NEXT) | instid1(VALU_DEP_1)
	v_fma_f64 v[25:26], v[23:24], v[25:26], s[60:61]
	v_fma_f64 v[25:26], v[23:24], v[25:26], s[62:63]
	s_delay_alu instid0(VALU_DEP_1) | instskip(NEXT) | instid1(VALU_DEP_1)
	v_mul_f64 v[33:34], v[31:32], v[25:26]
	v_fma_f64 v[29:30], v[31:32], v[25:26], -v[33:34]
	s_delay_alu instid0(VALU_DEP_1) | instskip(NEXT) | instid1(VALU_DEP_1)
	v_fma_f64 v[25:26], v[27:28], v[25:26], v[29:30]
	v_add_f64 v[27:28], v[33:34], v[25:26]
	s_delay_alu instid0(VALU_DEP_1) | instskip(SKIP_1) | instid1(VALU_DEP_2)
	v_add_f64 v[29:30], v[23:24], v[27:28]
	v_add_f64 v[31:32], v[27:28], -v[33:34]
	v_add_f64 v[23:24], v[29:30], -v[23:24]
	s_delay_alu instid0(VALU_DEP_2) | instskip(SKIP_1) | instid1(VALU_DEP_3)
	v_add_f64 v[25:26], v[25:26], -v[31:32]
	v_cvt_i32_f64_e32 v31, v[15:16]
	v_add_f64 v[23:24], v[27:28], -v[23:24]
	s_delay_alu instid0(VALU_DEP_3) | instskip(NEXT) | instid1(VALU_DEP_1)
	v_add_f64 v[21:22], v[21:22], v[25:26]
	v_add_f64 v[21:22], v[21:22], v[23:24]
	s_delay_alu instid0(VALU_DEP_1) | instskip(NEXT) | instid1(VALU_DEP_1)
	v_add_f64 v[23:24], v[29:30], v[21:22]
	v_add_f64 v[25:26], v[23:24], 1.0
	v_add_f64 v[27:28], v[23:24], -v[29:30]
	s_delay_alu instid0(VALU_DEP_2) | instskip(NEXT) | instid1(VALU_DEP_2)
	v_add_f64 v[29:30], v[25:26], -1.0
	v_add_f64 v[21:22], v[21:22], -v[27:28]
	s_delay_alu instid0(VALU_DEP_2) | instskip(NEXT) | instid1(VALU_DEP_1)
	v_add_f64 v[23:24], v[23:24], -v[29:30]
	v_add_f64 v[21:22], v[21:22], v[23:24]
	s_delay_alu instid0(VALU_DEP_1) | instskip(NEXT) | instid1(VALU_DEP_1)
	v_add_f64 v[15:16], v[25:26], v[21:22]
	v_ldexp_f64 v[23:24], v[15:16], v31
	v_add_f64 v[15:16], v[15:16], -v[25:26]
	s_delay_alu instid0(VALU_DEP_2) | instskip(NEXT) | instid1(VALU_DEP_1)
	v_rcp_f64_e32 v[27:28], v[23:24]
	v_add_f64 v[15:16], v[21:22], -v[15:16]
	s_delay_alu instid0(VALU_DEP_1) | instskip(SKIP_2) | instid1(VALU_DEP_1)
	v_ldexp_f64 v[15:16], v[15:16], v31
	s_waitcnt_depctr 0xfff
	v_fma_f64 v[29:30], -v[23:24], v[27:28], 1.0
	v_fma_f64 v[27:28], v[29:30], v[27:28], v[27:28]
	s_delay_alu instid0(VALU_DEP_1) | instskip(NEXT) | instid1(VALU_DEP_1)
	v_fma_f64 v[29:30], -v[23:24], v[27:28], 1.0
	v_fma_f64 v[25:26], v[29:30], v[27:28], v[27:28]
	s_delay_alu instid0(VALU_DEP_1) | instskip(NEXT) | instid1(VALU_DEP_1)
	v_mul_f64 v[21:22], v[23:24], v[25:26]
	v_fma_f64 v[27:28], v[25:26], v[23:24], -v[21:22]
	s_delay_alu instid0(VALU_DEP_1) | instskip(NEXT) | instid1(VALU_DEP_1)
	v_fma_f64 v[27:28], v[25:26], v[15:16], v[27:28]
	v_add_f64 v[29:30], v[21:22], v[27:28]
	s_delay_alu instid0(VALU_DEP_1) | instskip(SKIP_1) | instid1(VALU_DEP_2)
	v_add_f64 v[31:32], -v[29:30], 1.0
	v_add_f64 v[21:22], v[29:30], -v[21:22]
	v_add_f64 v[33:34], -v[31:32], 1.0
	s_delay_alu instid0(VALU_DEP_2) | instskip(NEXT) | instid1(VALU_DEP_2)
	v_add_f64 v[21:22], v[21:22], -v[27:28]
	v_add_f64 v[27:28], v[33:34], -v[29:30]
	s_delay_alu instid0(VALU_DEP_1) | instskip(NEXT) | instid1(VALU_DEP_1)
	v_add_f64 v[21:22], v[21:22], v[27:28]
	v_add_f64 v[27:28], v[31:32], v[21:22]
	s_delay_alu instid0(VALU_DEP_1) | instskip(SKIP_1) | instid1(VALU_DEP_2)
	v_mul_f64 v[29:30], v[25:26], v[27:28]
	v_add_f64 v[31:32], v[31:32], -v[27:28]
	v_mul_f64 v[33:34], v[23:24], v[29:30]
	s_delay_alu instid0(VALU_DEP_2) | instskip(SKIP_1) | instid1(VALU_DEP_3)
	v_add_f64 v[21:22], v[21:22], v[31:32]
	v_add_f64 v[11:12], v[25:26], v[29:30]
	v_fma_f64 v[35:36], v[29:30], v[23:24], -v[33:34]
	s_delay_alu instid0(VALU_DEP_2) | instskip(NEXT) | instid1(VALU_DEP_2)
	v_add_f64 v[9:10], v[11:12], -v[25:26]
	v_fma_f64 v[35:36], v[29:30], v[15:16], v[35:36]
	s_delay_alu instid0(VALU_DEP_2) | instskip(NEXT) | instid1(VALU_DEP_2)
	v_add_f64 v[9:10], v[29:30], -v[9:10]
	v_add_f64 v[56:57], v[33:34], v[35:36]
	s_delay_alu instid0(VALU_DEP_1) | instskip(SKIP_1) | instid1(VALU_DEP_2)
	v_add_f64 v[58:59], v[27:28], -v[56:57]
	v_add_f64 v[31:32], v[56:57], -v[33:34]
	;; [unrolled: 1-line block ×3, first 2 shown]
	s_delay_alu instid0(VALU_DEP_2) | instskip(NEXT) | instid1(VALU_DEP_2)
	v_add_f64 v[5:6], v[31:32], -v[35:36]
	v_add_f64 v[27:28], v[27:28], -v[56:57]
	s_delay_alu instid0(VALU_DEP_1) | instskip(NEXT) | instid1(VALU_DEP_1)
	v_add_f64 v[21:22], v[21:22], v[27:28]
	v_add_f64 v[5:6], v[5:6], v[21:22]
	v_mul_f64 v[21:22], v[3:4], s[38:39]
	s_delay_alu instid0(VALU_DEP_2) | instskip(NEXT) | instid1(VALU_DEP_2)
	v_add_f64 v[5:6], v[58:59], v[5:6]
	v_rndne_f64_e32 v[21:22], v[21:22]
	s_delay_alu instid0(VALU_DEP_2) | instskip(NEXT) | instid1(VALU_DEP_1)
	v_mul_f64 v[5:6], v[25:26], v[5:6]
	v_add_f64 v[5:6], v[9:10], v[5:6]
	s_delay_alu instid0(VALU_DEP_3) | instskip(NEXT) | instid1(VALU_DEP_2)
	v_fma_f64 v[9:10], v[21:22], s[40:41], -v[3:4]
	v_add_f64 v[25:26], v[11:12], v[5:6]
	s_delay_alu instid0(VALU_DEP_2) | instskip(NEXT) | instid1(VALU_DEP_2)
	v_fma_f64 v[9:10], v[21:22], s[42:43], v[9:10]
	v_add_f64 v[27:28], v[23:24], v[25:26]
	v_add_f64 v[11:12], v[25:26], -v[11:12]
	s_delay_alu instid0(VALU_DEP_3) | instskip(SKIP_1) | instid1(VALU_DEP_4)
	v_fma_f64 v[29:30], v[9:10], s[46:47], s[44:45]
	v_add_f64 v[33:34], v[23:24], -v[25:26]
	v_add_f64 v[31:32], v[27:28], -v[23:24]
	s_delay_alu instid0(VALU_DEP_4) | instskip(NEXT) | instid1(VALU_DEP_4)
	v_add_f64 v[5:6], v[5:6], -v[11:12]
	v_fma_f64 v[11:12], v[9:10], v[29:30], s[48:49]
	s_delay_alu instid0(VALU_DEP_4) | instskip(NEXT) | instid1(VALU_DEP_4)
	v_add_f64 v[23:24], v[23:24], -v[33:34]
	v_add_f64 v[29:30], v[25:26], -v[31:32]
	s_delay_alu instid0(VALU_DEP_4) | instskip(NEXT) | instid1(VALU_DEP_4)
	v_add_f64 v[31:32], v[15:16], v[5:6]
	v_fma_f64 v[11:12], v[9:10], v[11:12], s[50:51]
	s_delay_alu instid0(VALU_DEP_4) | instskip(NEXT) | instid1(VALU_DEP_3)
	v_add_f64 v[23:24], v[23:24], -v[25:26]
	v_add_f64 v[29:30], v[31:32], v[29:30]
	s_delay_alu instid0(VALU_DEP_3) | instskip(NEXT) | instid1(VALU_DEP_3)
	v_fma_f64 v[11:12], v[9:10], v[11:12], s[52:53]
	v_add_f64 v[15:16], v[15:16], v[23:24]
	s_delay_alu instid0(VALU_DEP_3) | instskip(NEXT) | instid1(VALU_DEP_3)
	v_add_f64 v[31:32], v[27:28], v[29:30]
	v_fma_f64 v[11:12], v[9:10], v[11:12], s[54:55]
	s_delay_alu instid0(VALU_DEP_3) | instskip(NEXT) | instid1(VALU_DEP_3)
	v_add_f64 v[5:6], v[15:16], -v[5:6]
	v_rcp_f64_e32 v[35:36], v[31:32]
	s_delay_alu instid0(VALU_DEP_2) | instskip(NEXT) | instid1(VALU_DEP_1)
	v_fma_f64 v[11:12], v[9:10], v[11:12], s[56:57]
	v_fma_f64 v[11:12], v[9:10], v[11:12], s[58:59]
	s_waitcnt_depctr 0xfff
	v_fma_f64 v[25:26], -v[31:32], v[35:36], 1.0
	v_fma_f64 v[11:12], v[9:10], v[11:12], s[60:61]
	s_delay_alu instid0(VALU_DEP_2) | instskip(SKIP_2) | instid1(VALU_DEP_4)
	v_fma_f64 v[23:24], v[25:26], v[35:36], v[35:36]
	v_add_f64 v[25:26], v[33:34], v[5:6]
	v_cvt_i32_f64_e32 v35, v[21:22]
	v_fma_f64 v[11:12], v[9:10], v[11:12], s[62:63]
	s_delay_alu instid0(VALU_DEP_4) | instskip(NEXT) | instid1(VALU_DEP_2)
	v_fma_f64 v[15:16], -v[31:32], v[23:24], 1.0
	v_fma_f64 v[11:12], v[9:10], v[11:12], 1.0
	s_delay_alu instid0(VALU_DEP_2) | instskip(NEXT) | instid1(VALU_DEP_2)
	v_fma_f64 v[15:16], v[15:16], v[23:24], v[23:24]
	v_fma_f64 v[9:10], v[9:10], v[11:12], 1.0
	s_delay_alu instid0(VALU_DEP_2) | instskip(SKIP_1) | instid1(VALU_DEP_3)
	v_mul_f64 v[23:24], v[25:26], v[15:16]
	v_add_f64 v[11:12], v[31:32], -v[27:28]
	v_ldexp_f64 v[9:10], v[9:10], v35
	s_delay_alu instid0(VALU_DEP_3) | instskip(NEXT) | instid1(VALU_DEP_3)
	v_mul_f64 v[21:22], v[31:32], v[23:24]
	v_add_f64 v[11:12], v[29:30], -v[11:12]
	s_delay_alu instid0(VALU_DEP_3) | instskip(NEXT) | instid1(VALU_DEP_3)
	v_add_f64 v[9:10], v[9:10], 1.0
	v_fma_f64 v[27:28], v[23:24], v[31:32], -v[21:22]
	s_delay_alu instid0(VALU_DEP_1) | instskip(NEXT) | instid1(VALU_DEP_3)
	v_fma_f64 v[11:12], v[23:24], v[11:12], v[27:28]
	v_div_scale_f64 v[27:28], null, v[9:10], v[9:10], 1.0
	s_delay_alu instid0(VALU_DEP_2) | instskip(NEXT) | instid1(VALU_DEP_2)
	v_add_f64 v[29:30], v[21:22], v[11:12]
	v_rcp_f64_e32 v[31:32], v[27:28]
	s_delay_alu instid0(VALU_DEP_1)
	v_add_f64 v[35:36], v[25:26], -v[29:30]
	v_add_f64 v[21:22], v[29:30], -v[21:22]
	s_waitcnt_depctr 0xfff
	v_fma_f64 v[56:57], -v[27:28], v[31:32], 1.0
	v_add_f64 v[58:59], v[25:26], -v[35:36]
	v_add_f64 v[25:26], v[25:26], -v[33:34]
	;; [unrolled: 1-line block ×3, first 2 shown]
	s_delay_alu instid0(VALU_DEP_4)
	v_fma_f64 v[31:32], v[31:32], v[56:57], v[31:32]
	v_xor_b32_e32 v33, s87, v51
	v_mul_hi_u32 v34, v55, v39
	v_add_f64 v[21:22], v[58:59], -v[29:30]
	v_add_f64 v[5:6], v[5:6], -v[25:26]
	v_fma_f64 v[29:30], -v[27:28], v[31:32], 1.0
	s_delay_alu instid0(VALU_DEP_3) | instskip(SKIP_1) | instid1(VALU_DEP_3)
	v_add_f64 v[11:12], v[21:22], -v[11:12]
	v_div_scale_f64 v[21:22], vcc_lo, 1.0, v[9:10], 1.0
	v_fma_f64 v[25:26], v[31:32], v[29:30], v[31:32]
	v_xor_b32_e32 v29, s87, v49
	v_mul_hi_u32 v30, v53, v39
	v_mul_hi_u32 v32, v54, v39
	v_xor_b32_e32 v31, s87, v52
	s_delay_alu instid0(VALU_DEP_3) | instskip(SKIP_3) | instid1(VALU_DEP_2)
	v_mul_lo_u32 v52, v30, s81
	v_add_nc_u32_e32 v56, 1, v30
	v_add_f64 v[5:6], v[5:6], v[11:12]
	v_mul_f64 v[11:12], v[21:22], v[25:26]
	v_add_f64 v[5:6], v[35:36], v[5:6]
	v_mul_hi_u32 v36, v44, v41
	v_xor_b32_e32 v35, s89, v45
	s_delay_alu instid0(VALU_DEP_4) | instskip(SKIP_4) | instid1(VALU_DEP_4)
	v_fma_f64 v[21:22], -v[27:28], v[11:12], v[21:22]
	v_mul_hi_u32 v28, v50, v39
	v_xor_b32_e32 v27, s87, v48
	v_mul_hi_u32 v48, v44, v42
	v_xor_b32_e32 v45, s90, v45
	v_mul_lo_u32 v49, v28, s81
	v_add_nc_u32_e32 v51, 1, v28
	s_delay_alu instid0(VALU_DEP_4) | instskip(NEXT) | instid1(VALU_DEP_3)
	v_add_nc_u32_e32 v58, 1, v48
	v_sub_nc_u32_e32 v49, v50, v49
	v_sub_nc_u32_e32 v50, v53, v52
	s_delay_alu instid0(VALU_DEP_1) | instskip(NEXT) | instid1(VALU_DEP_1)
	v_cmp_le_u32_e64 s0, s81, v50
	v_cndmask_b32_e64 v30, v30, v56, s0
	v_mul_f64 v[5:6], v[15:16], v[5:6]
	v_add_nc_u32_e32 v16, 1, v32
	v_mul_lo_u32 v15, v32, s81
	v_div_fmas_f64 v[11:12], v[21:22], v[25:26], v[11:12]
	v_mul_lo_u32 v25, v36, s83
	v_mul_lo_u32 v26, v48, s84
	v_cmp_le_u32_e32 vcc_lo, s81, v49
	v_add_nc_u32_e32 v57, 1, v36
	v_mul_lo_u32 v21, v34, s81
	v_sub_nc_u32_e32 v15, v54, v15
	v_cndmask_b32_e32 v28, v28, v51, vcc_lo
	v_sub_nc_u32_e32 v25, v44, v25
	v_sub_nc_u32_e32 v26, v44, v26
	v_subrev_nc_u32_e32 v44, s81, v49
	v_subrev_nc_u32_e32 v51, s81, v50
	v_sub_nc_u32_e32 v21, v55, v21
	v_cmp_le_u32_e64 s1, s81, v15
	v_cmp_le_u32_e64 s3, s83, v25
	v_cndmask_b32_e32 v44, v49, v44, vcc_lo
	v_cmp_nlt_f64_e64 vcc_lo, 0x40331000, |v[7:8]|
	v_cmp_le_u32_e64 s2, s81, v21
	v_cndmask_b32_e64 v16, v32, v16, s1
	v_subrev_nc_u32_e32 v32, s81, v15
	v_subrev_nc_u32_e32 v52, s83, v25
	v_cndmask_b32_e64 v36, v36, v57, s3
	v_cmp_le_u32_e64 s4, s84, v26
	v_subrev_nc_u32_e32 v53, s84, v26
	v_cndmask_b32_e64 v15, v15, v32, s1
	v_cndmask_b32_e64 v25, v25, v52, s3
	v_add_nc_u32_e32 v32, 1, v36
	v_cndmask_b32_e64 v48, v48, v58, s4
	v_cndmask_b32_e64 v26, v26, v53, s4
	v_cmp_nlt_f64_e64 s1, 0x4090cc00, v[3:4]
	v_add_f64 v[5:6], v[23:24], v[5:6]
	v_add_nc_u32_e32 v49, 1, v28
	v_cndmask_b32_e64 v23, v50, v51, s0
	v_div_fixup_f64 v[9:10], v[11:12], v[9:10], 1.0
	v_add_nc_u32_e32 v22, 1, v34
	v_cmp_le_u32_e64 s0, s81, v44
	v_add_nc_u32_e32 v24, 1, v30
	v_add_nc_u32_e32 v11, 1, v16
	s_delay_alu instid0(VALU_DEP_4) | instskip(SKIP_3) | instid1(VALU_DEP_3)
	v_cndmask_b32_e64 v22, v34, v22, s2
	v_subrev_nc_u32_e32 v34, s81, v21
	v_cndmask_b32_e64 v28, v28, v49, s0
	v_cmp_le_u32_e64 s0, s81, v23
	v_cndmask_b32_e64 v12, v21, v34, s2
	v_add_nc_u32_e32 v21, 1, v22
	s_delay_alu instid0(VALU_DEP_3) | instskip(SKIP_3) | instid1(VALU_DEP_3)
	v_cndmask_b32_e64 v23, v30, v24, s0
	v_cmp_le_u32_e64 s0, s81, v15
	v_add_nc_u32_e32 v34, 1, v48
	v_cndmask_b32_e32 v24, 0, v5, vcc_lo
	v_cndmask_b32_e64 v11, v16, v11, s0
	v_cmp_le_u32_e64 s0, s81, v12
	s_delay_alu instid0(VALU_DEP_2) | instskip(NEXT) | instid1(VALU_DEP_2)
	v_xor_b32_e32 v11, v11, v31
	v_cndmask_b32_e64 v12, v22, v21, s0
	v_cmp_le_u32_e64 s0, s83, v25
	v_xor_b32_e32 v21, v28, v27
	v_xor_b32_e32 v22, v23, v29
	s_delay_alu instid0(VALU_DEP_4) | instskip(NEXT) | instid1(VALU_DEP_4)
	v_xor_b32_e32 v12, v12, v33
	v_cndmask_b32_e64 v15, v36, v32, s0
	v_cmp_le_u32_e64 s0, s84, v26
	v_sub_nc_u32_e32 v21, v21, v27
	v_sub_nc_u32_e32 v27, v11, v31
	;; [unrolled: 1-line block ×3, first 2 shown]
	v_xor_b32_e32 v15, v15, v35
	v_cndmask_b32_e64 v16, v48, v34, s0
	v_cmp_ngt_f64_e64 s0, 0xc0900000, v[3:4]
	v_sub_nc_u32_e32 v29, v12, v33
	v_cndmask_b32_e32 v22, 0x3ff00000, v6, vcc_lo
	v_sub_nc_u32_e32 v11, v15, v35
	v_xor_b32_e32 v16, v16, v45
	v_cmp_gt_f64_e64 vcc_lo, 0x3e400000, |v[7:8]|
	v_mul_lo_u32 v6, v23, s73
	v_mul_lo_u32 v15, v21, s73
	v_mad_u64_u32 v[3:4], null, s94, v11, v[1:2]
	v_sub_nc_u32_e32 v12, v16, v45
	v_mul_lo_u32 v16, v29, s73
	v_sub_nc_u32_e32 v6, v2, v6
	s_delay_alu instid0(VALU_DEP_3)
	v_mad_u64_u32 v[4:5], null, s95, v12, v[1:2]
	v_mul_lo_u32 v2, v3, s29
	v_sub_nc_u32_e32 v5, v43, v15
	v_sub_nc_u32_e32 v15, v47, v16
	v_add_nc_u32_e32 v6, v1, v6
	v_mul_lo_u32 v3, v4, s31
	s_delay_alu instid0(VALU_DEP_4) | instskip(NEXT) | instid1(VALU_DEP_2)
	v_add_nc_u32_e32 v16, v1, v5
	v_mad_u64_u32 v[4:5], null, v11, s28, v[2:3]
	s_delay_alu instid0(VALU_DEP_2) | instskip(SKIP_2) | instid1(VALU_DEP_4)
	v_mul_lo_u32 v2, v16, s37
	v_cndmask_b32_e64 v25, 0, v10, s0
	v_mul_lo_u32 v10, v27, s73
	v_ashrrev_i32_e32 v5, 31, v4
	s_delay_alu instid0(VALU_DEP_2) | instskip(NEXT) | instid1(VALU_DEP_1)
	v_sub_nc_u32_e32 v10, v46, v10
	v_add_nc_u32_e32 v26, v1, v10
	v_mad_u64_u32 v[10:11], null, v12, s30, v[3:4]
	v_mul_lo_u32 v3, v6, s37
	s_delay_alu instid0(VALU_DEP_3) | instskip(SKIP_4) | instid1(VALU_DEP_3)
	v_mul_lo_u32 v6, v26, s37
	v_and_b32_e32 v26, 0x7fffffff, v8
	v_add_nc_u32_e32 v15, v1, v15
	v_add_nc_u32_e32 v1, s78, v1
	v_ashrrev_i32_e32 v11, 31, v10
	v_mul_lo_u32 v12, v15, s37
	v_mad_u64_u32 v[15:16], null, v21, s36, v[2:3]
	v_cndmask_b32_e32 v16, v22, v26, vcc_lo
	v_cndmask_b32_e32 v2, v24, v7, vcc_lo
	s_and_b32 vcc_lo, s1, s0
	v_mad_u64_u32 v[21:22], null, v23, s36, v[3:4]
	v_cndmask_b32_e64 v24, 0x3ff00000, v25, s1
	v_cndmask_b32_e32 v23, 0, v9, vcc_lo
	v_bfi_b32 v3, 0x7fffffff, v16, v8
	v_mad_u64_u32 v[25:26], null, v27, s36, v[6:7]
	v_lshlrev_b64 v[4:5], 3, v[4:5]
	v_ashrrev_i32_e32 v16, 31, v15
	s_delay_alu instid0(VALU_DEP_4)
	v_mul_f64 v[2:3], v[23:24], v[2:3]
	v_mad_u64_u32 v[27:28], null, v29, s36, v[12:13]
	v_lshlrev_b64 v[9:10], 3, v[10:11]
	v_ashrrev_i32_e32 v22, 31, v21
	v_add_co_u32 v4, s0, s20, v4
	v_lshlrev_b64 v[11:12], 3, v[15:16]
	v_ashrrev_i32_e32 v26, 31, v25
	v_add_co_ci_u32_e64 v5, s0, s21, v5, s0
	v_add_co_u32 v9, s0, s22, v9
	v_lshlrev_b64 v[15:16], 3, v[21:22]
	v_ashrrev_i32_e32 v28, 31, v27
	v_add_co_ci_u32_e64 v10, s0, s23, v10, s0
	v_lshlrev_b64 v[21:22], 3, v[25:26]
	v_add_co_u32 v11, s0, s34, v11
	s_delay_alu instid0(VALU_DEP_1)
	v_add_co_ci_u32_e64 v12, s0, s35, v12, s0
	v_lshlrev_b64 v[25:26], 3, v[27:28]
	v_add_co_u32 v15, s0, s34, v15
	v_cmp_le_i32_e32 vcc_lo, s7, v1
	v_add_co_ci_u32_e64 v16, s0, s35, v16, s0
	v_add_co_u32 v21, s0, s34, v21
	s_delay_alu instid0(VALU_DEP_1)
	v_add_co_ci_u32_e64 v22, s0, s35, v22, s0
	v_add_co_u32 v25, s0, s34, v25
	s_or_b32 s76, vcc_lo, s76
	v_add_co_ci_u32_e64 v26, s0, s35, v26, s0
	global_store_b64 v[4:5], v[2:3], off
	global_store_b64 v[9:10], v[7:8], off
	s_clause 0x3
	global_store_b64 v[11:12], v[17:18], off
	global_store_b64 v[15:16], v[19:20], off
	;; [unrolled: 1-line block ×4, first 2 shown]
	s_and_not1_b32 exec_lo, exec_lo, s76
	s_cbranch_execz .LBB1_5
.LBB1_3:                                ; =>This Inner Loop Header: Depth=1
	v_sub_nc_u32_e32 v2, 0, v1
	v_ashrrev_i32_e32 v45, 31, v1
	s_delay_alu instid0(VALU_DEP_2) | instskip(NEXT) | instid1(VALU_DEP_2)
	v_max_i32_e32 v44, v1, v2
	v_xor_b32_e32 v56, s79, v45
	s_delay_alu instid0(VALU_DEP_2) | instskip(NEXT) | instid1(VALU_DEP_1)
	v_mul_hi_u32 v2, v44, v0
	v_mul_lo_u32 v3, v2, s75
	s_delay_alu instid0(VALU_DEP_1) | instskip(NEXT) | instid1(VALU_DEP_1)
	v_sub_nc_u32_e32 v3, v44, v3
	v_subrev_nc_u32_e32 v5, s75, v3
	v_cmp_le_u32_e32 vcc_lo, s75, v3
	s_delay_alu instid0(VALU_DEP_2) | instskip(NEXT) | instid1(VALU_DEP_1)
	v_dual_cndmask_b32 v3, v3, v5 :: v_dual_add_nc_u32 v4, 1, v2
	v_cndmask_b32_e32 v2, v2, v4, vcc_lo
	s_delay_alu instid0(VALU_DEP_2) | instskip(NEXT) | instid1(VALU_DEP_2)
	v_cmp_le_u32_e32 vcc_lo, s75, v3
	v_add_nc_u32_e32 v4, 1, v2
	s_delay_alu instid0(VALU_DEP_1) | instskip(NEXT) | instid1(VALU_DEP_1)
	v_cndmask_b32_e32 v2, v2, v4, vcc_lo
	v_xor_b32_e32 v57, v2, v56
	v_mul_i32_i24_e32 v2, 3, v56
	s_delay_alu instid0(VALU_DEP_2) | instskip(SKIP_1) | instid1(VALU_DEP_2)
	v_lshl_add_u32 v3, v57, 1, v57
	v_sub_nc_u32_e32 v58, v57, v56
	v_sub_nc_u32_e32 v4, v3, v2
	s_delay_alu instid0(VALU_DEP_2) | instskip(NEXT) | instid1(VALU_DEP_2)
	v_mul_lo_u32 v43, s91, v58
	v_mad_u64_u32 v[2:3], null, s6, v4, s[6:7]
	v_add_nc_u32_e32 v3, 2, v4
	s_delay_alu instid0(VALU_DEP_3) | instskip(NEXT) | instid1(VALU_DEP_2)
	v_add_nc_u32_e32 v5, v1, v43
	v_mul_lo_u32 v46, s6, v3
	s_delay_alu instid0(VALU_DEP_4) | instskip(NEXT) | instid1(VALU_DEP_3)
	v_add_nc_u32_e32 v3, v1, v2
	v_ashrrev_i32_e32 v48, 31, v5
	s_delay_alu instid0(VALU_DEP_2) | instskip(NEXT) | instid1(VALU_DEP_2)
	v_ashrrev_i32_e32 v49, 31, v3
	v_add3_u32 v5, v48, v43, v1
	v_add_nc_u32_e32 v3, v1, v46
	v_xor_b32_e32 v7, s86, v48
	s_delay_alu instid0(VALU_DEP_4) | instskip(NEXT) | instid1(VALU_DEP_4)
	v_add3_u32 v8, v49, v2, v1
	v_xor_b32_e32 v50, v5, v48
	s_delay_alu instid0(VALU_DEP_4)
	v_ashrrev_i32_e32 v52, 31, v3
	v_xor_b32_e32 v5, s85, v49
	v_xor_b32_e32 v13, s86, v49
	;; [unrolled: 1-line block ×3, first 2 shown]
	v_mul_hi_u32 v3, v50, v37
	v_add3_u32 v8, v52, v46, v1
	v_mul_hi_u32 v11, v50, v38
	v_xor_b32_e32 v14, s86, v52
	v_mul_hi_u32 v12, v53, v37
	s_delay_alu instid0(VALU_DEP_4) | instskip(SKIP_2) | instid1(VALU_DEP_3)
	v_xor_b32_e32 v54, v8, v52
	v_mul_hi_u32 v8, v53, v38
	v_mul_lo_u32 v16, v11, s80
	v_mul_hi_u32 v20, v54, v38
	v_mul_hi_u32 v18, v54, v37
	v_mul_lo_u32 v22, v12, s77
	v_mul_lo_u32 v24, v8, s80
	v_sub_nc_u32_e32 v16, v50, v16
	v_mul_lo_u32 v30, v20, s80
	v_mul_lo_u32 v26, v18, s77
	v_sub_nc_u32_e32 v22, v53, v22
	v_add_nc_u32_e32 v27, 1, v18
	v_cmp_le_u32_e64 s0, s80, v16
	v_add_nc_u32_e32 v23, 1, v12
	v_sub_nc_u32_e32 v24, v53, v24
	v_add_nc_u32_e32 v31, 1, v20
	v_sub_nc_u32_e32 v30, v54, v30
	;; [unrolled: 2-line block ×3, first 2 shown]
	v_add_nc_u32_e32 v15, 1, v3
	s_delay_alu instid0(VALU_DEP_3) | instskip(SKIP_1) | instid1(VALU_DEP_2)
	v_mul_lo_u32 v47, s6, v4
	v_xor_b32_e32 v4, s85, v48
	v_add_nc_u32_e32 v6, v1, v47
	s_delay_alu instid0(VALU_DEP_1) | instskip(SKIP_1) | instid1(VALU_DEP_2)
	v_ashrrev_i32_e32 v51, 31, v6
	v_xor_b32_e32 v6, s85, v52
	v_add3_u32 v10, v51, v47, v1
	v_xor_b32_e32 v9, s85, v51
	s_delay_alu instid0(VALU_DEP_2) | instskip(SKIP_1) | instid1(VALU_DEP_2)
	v_xor_b32_e32 v55, v10, v51
	v_mul_lo_u32 v10, v3, s77
	v_mul_hi_u32 v21, v55, v38
	v_mul_hi_u32 v19, v55, v37
	s_delay_alu instid0(VALU_DEP_3) | instskip(NEXT) | instid1(VALU_DEP_3)
	v_sub_nc_u32_e32 v10, v50, v10
	v_mul_lo_u32 v32, v21, s80
	s_delay_alu instid0(VALU_DEP_2) | instskip(NEXT) | instid1(VALU_DEP_4)
	v_cmp_le_u32_e32 vcc_lo, s77, v10
	v_mul_lo_u32 v28, v19, s77
	v_cndmask_b32_e32 v3, v3, v15, vcc_lo
	v_subrev_nc_u32_e32 v15, s77, v10
	v_sub_nc_u32_e32 v32, v55, v32
	v_add_nc_u32_e32 v17, 1, v11
	v_sub_nc_u32_e32 v28, v55, v28
	s_delay_alu instid0(VALU_DEP_4) | instskip(SKIP_1) | instid1(VALU_DEP_4)
	v_cndmask_b32_e32 v10, v10, v15, vcc_lo
	v_cmp_le_u32_e32 vcc_lo, s77, v22
	v_cndmask_b32_e64 v11, v11, v17, s0
	v_subrev_nc_u32_e32 v17, s80, v16
	v_add_nc_u32_e32 v15, 1, v3
	v_cmp_le_u32_e64 s1, s77, v10
	v_cndmask_b32_e32 v12, v12, v23, vcc_lo
	v_subrev_nc_u32_e32 v23, s77, v22
	v_cndmask_b32_e64 v16, v16, v17, s0
	v_add_nc_u32_e32 v25, 1, v8
	v_add_nc_u32_e32 v17, 1, v11
	v_cndmask_b32_e64 v3, v3, v15, s1
	v_cndmask_b32_e32 v10, v22, v23, vcc_lo
	v_cmp_le_u32_e64 s2, s80, v16
	v_add_nc_u32_e32 v15, 1, v12
	v_cmp_le_u32_e32 vcc_lo, s77, v26
	v_subrev_nc_u32_e32 v22, s77, v26
	v_cmp_le_u32_e64 s1, s77, v28
	v_cndmask_b32_e64 v11, v11, v17, s2
	v_cmp_le_u32_e64 s2, s77, v10
	v_cndmask_b32_e32 v18, v18, v27, vcc_lo
	v_subrev_nc_u32_e32 v23, s77, v28
	v_xor_b32_e32 v3, v3, v4
	v_cmp_le_u32_e64 s0, s80, v24
	v_cndmask_b32_e64 v10, v12, v15, s2
	v_cndmask_b32_e32 v12, v26, v22, vcc_lo
	v_add_nc_u32_e32 v15, 1, v18
	v_cndmask_b32_e64 v16, v28, v23, s1
	v_sub_nc_u32_e32 v22, v3, v4
	v_xor_b32_e32 v3, v10, v5
	v_cmp_le_u32_e32 vcc_lo, s77, v12
	v_cndmask_b32_e64 v8, v8, v25, s0
	v_subrev_nc_u32_e32 v25, s80, v24
	v_mul_lo_u32 v12, v22, s70
	v_xor_b32_e32 v11, v11, v7
	v_cndmask_b32_e32 v4, v18, v15, vcc_lo
	v_cmp_le_u32_e32 vcc_lo, s77, v16
	v_add_nc_u32_e32 v29, 1, v19
	v_sub_nc_u32_e32 v15, v3, v5
	v_add_nc_u32_e32 v5, 1, v8
	v_xor_b32_e32 v3, v4, v6
	v_cndmask_b32_e64 v4, v24, v25, s0
	v_cndmask_b32_e64 v19, v19, v29, s1
	v_mul_lo_u32 v16, v15, s70
	v_sub_nc_u32_e32 v24, v11, v7
	s_delay_alu instid0(VALU_DEP_4) | instskip(NEXT) | instid1(VALU_DEP_4)
	v_cmp_le_u32_e64 s0, s80, v4
	v_add_nc_u32_e32 v17, 1, v19
	s_delay_alu instid0(VALU_DEP_3) | instskip(NEXT) | instid1(VALU_DEP_2)
	v_mul_lo_u32 v11, v24, s33
	v_cndmask_b32_e32 v10, v19, v17, vcc_lo
	v_sub_nc_u32_e32 v17, v3, v6
	v_sub_nc_u32_e32 v3, v43, v12
	v_cmp_le_u32_e32 vcc_lo, s80, v30
	v_subrev_nc_u32_e32 v6, s80, v30
	v_xor_b32_e32 v10, v10, v9
	v_add_nc_u32_e32 v33, 1, v21
	v_add_nc_u32_e32 v3, v1, v3
	v_cndmask_b32_e32 v18, v20, v31, vcc_lo
	v_cndmask_b32_e64 v20, v8, v5, s0
	v_sub_nc_u32_e32 v19, v10, v9
	v_sub_nc_u32_e32 v10, v2, v16
	v_mul_lo_u32 v9, v17, s70
	v_mul_lo_u32 v3, v3, s25
	v_cndmask_b32_e32 v23, v30, v6, vcc_lo
	v_mul_lo_u32 v12, v19, s70
	v_add_nc_u32_e32 v10, v1, v10
	v_subrev_nc_u32_e32 v16, s80, v32
	s_delay_alu instid0(VALU_DEP_4) | instskip(SKIP_1) | instid1(VALU_DEP_4)
	v_cmp_le_u32_e64 s0, s80, v23
	v_sub_nc_u32_e32 v9, v46, v9
	v_mul_lo_u32 v4, v10, s25
	v_sub_nc_u32_e32 v8, v47, v12
	s_delay_alu instid0(VALU_DEP_3) | instskip(NEXT) | instid1(VALU_DEP_3)
	v_add_nc_u32_e32 v9, v1, v9
	v_mad_u64_u32 v[5:6], null, v22, s24, v[3:4]
	s_delay_alu instid0(VALU_DEP_3) | instskip(NEXT) | instid1(VALU_DEP_3)
	v_add_nc_u32_e32 v6, v1, v8
	v_mul_lo_u32 v3, v9, s25
	s_delay_alu instid0(VALU_DEP_3) | instskip(NEXT) | instid1(VALU_DEP_3)
	v_mad_u64_u32 v[7:8], null, v15, s24, v[4:5]
	v_mul_lo_u32 v4, v6, s25
	v_ashrrev_i32_e32 v6, 31, v5
	v_add_nc_u32_e32 v15, 1, v18
	s_delay_alu instid0(VALU_DEP_2)
	v_lshlrev_b64 v[5:6], 3, v[5:6]
	v_ashrrev_i32_e32 v8, 31, v7
	v_mad_u64_u32 v[9:10], null, v17, s24, v[3:4]
	v_xor_b32_e32 v17, v20, v13
	v_sub_nc_u32_e32 v20, v43, v11
	v_mad_u64_u32 v[11:12], null, v19, s24, v[4:5]
	v_lshlrev_b64 v[3:4], 3, v[7:8]
	v_add_co_u32 v5, vcc_lo, s12, v5
	v_ashrrev_i32_e32 v10, 31, v9
	v_add_co_ci_u32_e32 v6, vcc_lo, s13, v6, vcc_lo
	s_delay_alu instid0(VALU_DEP_4) | instskip(NEXT) | instid1(VALU_DEP_3)
	v_add_co_u32 v3, vcc_lo, s12, v3
	v_lshlrev_b64 v[7:8], 3, v[9:10]
	v_add_co_ci_u32_e32 v4, vcc_lo, s13, v4, vcc_lo
	v_cndmask_b32_e64 v10, v18, v15, s0
	v_sub_nc_u32_e32 v13, v17, v13
	v_xor_b32_e32 v18, s86, v51
	v_add_co_u32 v7, vcc_lo, s12, v7
	v_add_co_ci_u32_e32 v8, vcc_lo, s13, v8, vcc_lo
	v_cmp_le_u32_e32 vcc_lo, s80, v32
	v_xor_b32_e32 v10, v10, v14
	v_mul_lo_u32 v17, v13, s33
	v_add_nc_u32_e32 v19, v1, v20
	v_dual_cndmask_b32 v9, v21, v33 :: v_dual_cndmask_b32 v12, v32, v16
	v_mul_hi_u32 v16, v44, v40
	v_sub_nc_u32_e32 v14, v10, v14
	s_delay_alu instid0(VALU_DEP_3) | instskip(NEXT) | instid1(VALU_DEP_4)
	v_add_nc_u32_e32 v15, 1, v9
	v_cmp_le_u32_e32 vcc_lo, s80, v12
	v_ashrrev_i32_e32 v12, 31, v11
	s_delay_alu instid0(VALU_DEP_4) | instskip(SKIP_3) | instid1(VALU_DEP_2)
	v_mul_lo_u32 v21, v14, s33
	v_sub_nc_u32_e32 v17, v2, v17
	v_cndmask_b32_e32 v9, v9, v15, vcc_lo
	v_mul_lo_u32 v15, v16, s82
	v_xor_b32_e32 v20, v9, v18
	v_lshlrev_b64 v[9:10], 3, v[11:12]
	v_mul_lo_u32 v11, v19, s11
	v_sub_nc_u32_e32 v19, v46, v21
	v_sub_nc_u32_e32 v12, v44, v15
	v_add_nc_u32_e32 v15, v1, v17
	v_add_nc_u32_e32 v17, 1, v16
	v_sub_nc_u32_e32 v25, v20, v18
	s_delay_alu instid0(VALU_DEP_4) | instskip(SKIP_1) | instid1(VALU_DEP_3)
	v_subrev_nc_u32_e32 v21, s82, v12
	v_cmp_le_u32_e32 vcc_lo, s82, v12
	v_mul_lo_u32 v20, v25, s33
	v_cndmask_b32_e32 v16, v16, v17, vcc_lo
	v_mad_u64_u32 v[17:18], null, v24, s10, v[11:12]
	v_cndmask_b32_e32 v12, v12, v21, vcc_lo
	v_mul_lo_u32 v11, v15, s11
	s_delay_alu instid0(VALU_DEP_4) | instskip(SKIP_4) | instid1(VALU_DEP_3)
	v_add_nc_u32_e32 v15, 1, v16
	v_xor_b32_e32 v21, s88, v45
	v_add_nc_u32_e32 v18, v1, v19
	v_cmp_le_u32_e32 vcc_lo, s82, v12
	v_sub_nc_u32_e32 v19, v47, v20
	v_mul_lo_u32 v12, v18, s11
	v_cndmask_b32_e32 v15, v16, v15, vcc_lo
	s_delay_alu instid0(VALU_DEP_3) | instskip(SKIP_2) | instid1(VALU_DEP_4)
	v_add_nc_u32_e32 v16, v1, v19
	v_add_co_u32 v9, vcc_lo, s12, v9
	v_add_co_ci_u32_e32 v10, vcc_lo, s13, v10, vcc_lo
	v_xor_b32_e32 v15, v15, v21
	v_mad_u64_u32 v[19:20], null, v13, s10, v[11:12]
	v_mad_u64_u32 v[23:24], null, v14, s10, v[12:13]
	s_delay_alu instid0(VALU_DEP_3) | instskip(SKIP_3) | instid1(VALU_DEP_4)
	v_sub_nc_u32_e32 v26, v15, v21
	v_mul_lo_u32 v11, v16, s11
	v_ashrrev_i32_e32 v18, 31, v17
	v_ashrrev_i32_e32 v20, 31, v19
	v_mad_u64_u32 v[12:13], null, s93, v26, v[1:2]
	s_clause 0x3
	global_load_b64 v[13:14], v[5:6], off
	global_load_b64 v[15:16], v[3:4], off
	;; [unrolled: 1-line block ×4, first 2 shown]
	v_lshlrev_b64 v[5:6], 3, v[17:18]
	v_ashrrev_i32_e32 v24, 31, v23
	v_mul_lo_u32 v7, v12, s19
	v_mad_u64_u32 v[8:9], null, v25, s10, v[11:12]
	v_lshlrev_b64 v[10:11], 3, v[19:20]
	v_add_co_u32 v5, vcc_lo, s26, v5
	v_lshlrev_b64 v[19:20], 3, v[23:24]
	v_add_co_ci_u32_e32 v6, vcc_lo, s27, v6, vcc_lo
	v_mad_u64_u32 v[17:18], null, v26, s18, v[7:8]
	v_ashrrev_i32_e32 v9, 31, v8
	v_add_co_u32 v10, vcc_lo, s26, v10
	v_add_co_ci_u32_e32 v11, vcc_lo, s27, v11, vcc_lo
	s_delay_alu instid0(VALU_DEP_3) | instskip(SKIP_3) | instid1(VALU_DEP_3)
	v_lshlrev_b64 v[7:8], 3, v[8:9]
	v_ashrrev_i32_e32 v18, 31, v17
	v_add_co_u32 v23, vcc_lo, s26, v19
	v_add_co_ci_u32_e32 v24, vcc_lo, s27, v20, vcc_lo
	v_lshlrev_b64 v[17:18], 3, v[17:18]
	v_add_co_u32 v7, vcc_lo, s26, v7
	v_add_co_ci_u32_e32 v8, vcc_lo, s27, v8, vcc_lo
	s_delay_alu instid0(VALU_DEP_3) | instskip(NEXT) | instid1(VALU_DEP_4)
	v_add_co_u32 v25, vcc_lo, s16, v17
	v_add_co_ci_u32_e32 v26, vcc_lo, s17, v18, vcc_lo
	s_clause 0x3
	global_load_b64 v[17:18], v[5:6], off
	global_load_b64 v[19:20], v[10:11], off
	;; [unrolled: 1-line block ×5, first 2 shown]
	v_mov_b32_e32 v23, 0
	v_mov_b32_e32 v24, 0
	s_delay_alu instid0(VALU_DEP_2) | instskip(SKIP_2) | instid1(VALU_DEP_3)
	v_mov_b32_e32 v9, v23
	v_mov_b32_e32 v11, v23
	s_and_not1_b32 vcc_lo, exec_lo, s74
	v_mov_b32_e32 v34, v24
	v_dual_mov_b32 v26, v24 :: v_dual_mov_b32 v25, v23
	v_mov_b32_e32 v36, v24
	v_mov_b32_e32 v30, v24
	v_dual_mov_b32 v32, v24 :: v_dual_mov_b32 v33, v23
	v_mov_b32_e32 v10, v24
	v_dual_mov_b32 v12, v24 :: v_dual_mov_b32 v35, v23
	v_mov_b32_e32 v29, v23
	v_mov_b32_e32 v31, v23
	s_cbranch_vccnz .LBB1_2
; %bb.4:                                ;   in Loop: Header=BB1_3 Depth=1
	v_sub_nc_u32_e32 v11, v56, v57
	v_mad_u64_u32 v[9:10], null, s92, v58, v[1:2]
	s_delay_alu instid0(VALU_DEP_2) | instskip(SKIP_2) | instid1(VALU_DEP_4)
	v_mul_lo_u32 v12, s6, v11
	v_add_nc_u32_e32 v25, 2, v11
	v_add_nc_u32_e32 v11, 3, v11
	v_mul_lo_u32 v10, v9, s71
	s_delay_alu instid0(VALU_DEP_3) | instskip(SKIP_1) | instid1(VALU_DEP_4)
	v_mad_u64_u32 v[23:24], null, s6, v25, v[1:2]
	v_add3_u32 v32, v12, s6, v1
	v_mad_u64_u32 v[24:25], null, s6, v11, v[1:2]
	v_mul_lo_u32 v25, v9, s72
	v_ashrrev_i32_e32 v11, 31, v10
	s_delay_alu instid0(VALU_DEP_4)
	v_mul_lo_u32 v29, v32, s71
	v_mul_lo_u32 v9, v23, s71
	;; [unrolled: 1-line block ×5, first 2 shown]
	v_lshlrev_b64 v[11:12], 3, v[10:11]
	v_ashrrev_i32_e32 v26, 31, v25
	v_ashrrev_i32_e32 v30, 31, v29
	;; [unrolled: 1-line block ×4, first 2 shown]
	v_add_co_u32 v11, vcc_lo, s8, v11
	s_delay_alu instid0(VALU_DEP_4) | instskip(SKIP_4) | instid1(VALU_DEP_4)
	v_lshlrev_b64 v[29:30], 3, v[29:30]
	v_ashrrev_i32_e32 v32, 31, v31
	v_lshlrev_b64 v[9:10], 3, v[9:10]
	v_add_co_ci_u32_e32 v12, vcc_lo, s9, v12, vcc_lo
	v_lshlrev_b64 v[25:26], 3, v[25:26]
	v_lshlrev_b64 v[31:32], 3, v[31:32]
	v_add_co_u32 v29, vcc_lo, s8, v29
	v_add_co_ci_u32_e32 v30, vcc_lo, s9, v30, vcc_lo
	v_add_co_u32 v9, vcc_lo, s8, v9
	v_add_co_ci_u32_e32 v10, vcc_lo, s9, v10, vcc_lo
	v_add_co_u32 v56, vcc_lo, s8, v31
	v_mul_lo_u32 v31, v24, s72
	v_ashrrev_i32_e32 v24, 31, v23
	v_lshlrev_b64 v[33:34], 3, v[33:34]
	v_add_co_ci_u32_e32 v57, vcc_lo, s9, v32, vcc_lo
	v_add_co_u32 v25, vcc_lo, s14, v25
	s_delay_alu instid0(VALU_DEP_4) | instskip(SKIP_3) | instid1(VALU_DEP_3)
	v_lshlrev_b64 v[23:24], 3, v[23:24]
	v_ashrrev_i32_e32 v32, 31, v31
	v_add_co_ci_u32_e32 v26, vcc_lo, s15, v26, vcc_lo
	v_add_co_u32 v33, vcc_lo, s14, v33
	v_lshlrev_b64 v[31:32], 3, v[31:32]
	v_add_co_ci_u32_e32 v34, vcc_lo, s15, v34, vcc_lo
	v_add_co_u32 v58, vcc_lo, s14, v23
	v_add_co_ci_u32_e32 v59, vcc_lo, s15, v24, vcc_lo
	s_delay_alu instid0(VALU_DEP_4)
	v_add_co_u32 v60, vcc_lo, s14, v31
	v_add_co_ci_u32_e32 v61, vcc_lo, s15, v32, vcc_lo
	s_clause 0x3
	global_load_b64 v[31:32], v[11:12], off
	global_load_b64 v[29:30], v[29:30], off
	;; [unrolled: 1-line block ×4, first 2 shown]
	s_clause 0x3
	global_load_b64 v[25:26], v[25:26], off
	global_load_b64 v[23:24], v[33:34], off
	;; [unrolled: 1-line block ×4, first 2 shown]
	s_branch .LBB1_2
.LBB1_5:
	s_nop 0
	s_sendmsg sendmsg(MSG_DEALLOC_VGPRS)
	s_endpgm
	.section	.rodata,"a",@progbits
	.p2align	6, 0x0
	.amdhsa_kernel _ZN2at6native12_GLOBAL__N_16kernel17lstm_cell_forwardIddiLi2EEEvNS_4cuda6detail10TensorInfoIT_T1_EES9_S9_S9_S9_S9_S9_S9_S8_S8_
		.amdhsa_group_segment_fixed_size 0
		.amdhsa_private_segment_fixed_size 0
		.amdhsa_kernarg_size 1992
		.amdhsa_user_sgpr_count 15
		.amdhsa_user_sgpr_dispatch_ptr 0
		.amdhsa_user_sgpr_queue_ptr 0
		.amdhsa_user_sgpr_kernarg_segment_ptr 1
		.amdhsa_user_sgpr_dispatch_id 0
		.amdhsa_user_sgpr_private_segment_size 0
		.amdhsa_wavefront_size32 1
		.amdhsa_uses_dynamic_stack 0
		.amdhsa_enable_private_segment 0
		.amdhsa_system_sgpr_workgroup_id_x 1
		.amdhsa_system_sgpr_workgroup_id_y 0
		.amdhsa_system_sgpr_workgroup_id_z 0
		.amdhsa_system_sgpr_workgroup_info 0
		.amdhsa_system_vgpr_workitem_id 0
		.amdhsa_next_free_vgpr 74
		.amdhsa_next_free_sgpr 96
		.amdhsa_reserve_vcc 1
		.amdhsa_float_round_mode_32 0
		.amdhsa_float_round_mode_16_64 0
		.amdhsa_float_denorm_mode_32 3
		.amdhsa_float_denorm_mode_16_64 3
		.amdhsa_dx10_clamp 1
		.amdhsa_ieee_mode 1
		.amdhsa_fp16_overflow 0
		.amdhsa_workgroup_processor_mode 1
		.amdhsa_memory_ordered 1
		.amdhsa_forward_progress 0
		.amdhsa_shared_vgpr_count 0
		.amdhsa_exception_fp_ieee_invalid_op 0
		.amdhsa_exception_fp_denorm_src 0
		.amdhsa_exception_fp_ieee_div_zero 0
		.amdhsa_exception_fp_ieee_overflow 0
		.amdhsa_exception_fp_ieee_underflow 0
		.amdhsa_exception_fp_ieee_inexact 0
		.amdhsa_exception_int_div_zero 0
	.end_amdhsa_kernel
	.section	.text._ZN2at6native12_GLOBAL__N_16kernel17lstm_cell_forwardIddiLi2EEEvNS_4cuda6detail10TensorInfoIT_T1_EES9_S9_S9_S9_S9_S9_S9_S8_S8_,"axG",@progbits,_ZN2at6native12_GLOBAL__N_16kernel17lstm_cell_forwardIddiLi2EEEvNS_4cuda6detail10TensorInfoIT_T1_EES9_S9_S9_S9_S9_S9_S9_S8_S8_,comdat
.Lfunc_end1:
	.size	_ZN2at6native12_GLOBAL__N_16kernel17lstm_cell_forwardIddiLi2EEEvNS_4cuda6detail10TensorInfoIT_T1_EES9_S9_S9_S9_S9_S9_S9_S8_S8_, .Lfunc_end1-_ZN2at6native12_GLOBAL__N_16kernel17lstm_cell_forwardIddiLi2EEEvNS_4cuda6detail10TensorInfoIT_T1_EES9_S9_S9_S9_S9_S9_S9_S8_S8_
                                        ; -- End function
	.section	.AMDGPU.csdata,"",@progbits
; Kernel info:
; codeLenInByte = 7804
; NumSgprs: 98
; NumVgprs: 74
; ScratchSize: 0
; MemoryBound: 0
; FloatMode: 240
; IeeeMode: 1
; LDSByteSize: 0 bytes/workgroup (compile time only)
; SGPRBlocks: 12
; VGPRBlocks: 9
; NumSGPRsForWavesPerEU: 98
; NumVGPRsForWavesPerEU: 74
; Occupancy: 16
; WaveLimiterHint : 1
; COMPUTE_PGM_RSRC2:SCRATCH_EN: 0
; COMPUTE_PGM_RSRC2:USER_SGPR: 15
; COMPUTE_PGM_RSRC2:TRAP_HANDLER: 0
; COMPUTE_PGM_RSRC2:TGID_X_EN: 1
; COMPUTE_PGM_RSRC2:TGID_Y_EN: 0
; COMPUTE_PGM_RSRC2:TGID_Z_EN: 0
; COMPUTE_PGM_RSRC2:TIDIG_COMP_CNT: 0
	.section	.text._ZN2at6native12_GLOBAL__N_16kernel17lstm_cell_forwardIddlLi1EEEvNS_4cuda6detail10TensorInfoIT_T1_EES9_S9_S9_S9_S9_S9_S9_S8_S8_,"axG",@progbits,_ZN2at6native12_GLOBAL__N_16kernel17lstm_cell_forwardIddlLi1EEEvNS_4cuda6detail10TensorInfoIT_T1_EES9_S9_S9_S9_S9_S9_S9_S8_S8_,comdat
	.globl	_ZN2at6native12_GLOBAL__N_16kernel17lstm_cell_forwardIddlLi1EEEvNS_4cuda6detail10TensorInfoIT_T1_EES9_S9_S9_S9_S9_S9_S9_S8_S8_ ; -- Begin function _ZN2at6native12_GLOBAL__N_16kernel17lstm_cell_forwardIddlLi1EEEvNS_4cuda6detail10TensorInfoIT_T1_EES9_S9_S9_S9_S9_S9_S9_S8_S8_
	.p2align	8
	.type	_ZN2at6native12_GLOBAL__N_16kernel17lstm_cell_forwardIddlLi1EEEvNS_4cuda6detail10TensorInfoIT_T1_EES9_S9_S9_S9_S9_S9_S9_S8_S8_,@function
_ZN2at6native12_GLOBAL__N_16kernel17lstm_cell_forwardIddlLi1EEEvNS_4cuda6detail10TensorInfoIT_T1_EES9_S9_S9_S9_S9_S9_S9_S8_S8_: ; @_ZN2at6native12_GLOBAL__N_16kernel17lstm_cell_forwardIddlLi1EEEvNS_4cuda6detail10TensorInfoIT_T1_EES9_S9_S9_S9_S9_S9_S9_S8_S8_
; %bb.0:
	s_clause 0x1
	s_load_b32 s8, s[0:1], 0xd1c
	s_load_b128 s[4:7], s[0:1], 0xd00
	v_mov_b32_e32 v1, 0
	s_add_u32 s2, s0, 0xd10
	s_addc_u32 s3, s1, 0
	s_waitcnt lgkmcnt(0)
	s_and_b32 s28, s8, 0xffff
	s_mov_b32 s8, exec_lo
	v_mad_u64_u32 v[3:4], null, s15, s28, v[0:1]
	v_mov_b32_e32 v4, v1
	s_delay_alu instid0(VALU_DEP_1)
	v_cmpx_gt_i64_e64 s[6:7], v[3:4]
	s_cbranch_execz .LBB2_9
; %bb.1:
	s_clause 0x4
	s_load_b64 s[30:31], s[0:1], 0x750
	s_load_b64 s[34:35], s[0:1], 0x680
	;; [unrolled: 1-line block ×5, first 2 shown]
	s_load_b32 s29, s[2:3], 0x0
	s_clause 0xa
	s_load_b64 s[10:11], s[0:1], 0x0
	s_load_b64 s[12:13], s[0:1], 0xd0
	;; [unrolled: 1-line block ×11, first 2 shown]
	s_mul_i32 s0, s5, 3
	s_mul_hi_u32 s1, s4, 3
	s_mov_b32 s42, 0xfca7ab0c
	s_waitcnt lgkmcnt(0)
	v_mul_lo_u32 v0, 0, s30
	v_mul_lo_u32 v2, v3, s31
	v_mad_u64_u32 v[5:6], null, v3, s30, 0
	v_mul_lo_u32 v9, 0, s38
	v_mad_u64_u32 v[7:8], null, v3, s38, 0
	s_cmp_lg_u64 s[8:9], 0
	s_mul_i32 s72, s29, s28
	s_cselect_b32 s73, -1, 0
	s_delay_alu instid0(VALU_DEP_3)
	v_add3_u32 v6, v6, v2, v0
	v_mul_lo_u32 v0, v3, s39
	s_add_i32 s74, s1, s0
	s_mul_i32 s0, s72, s31
	v_mul_lo_u32 v2, v3, s41
	v_lshlrev_b64 v[5:6], 3, v[5:6]
	s_mul_hi_u32 s1, s72, s30
	s_sub_u32 s76, 0, s4
	s_subb_u32 s77, 0, s5
	v_add3_u32 v8, v8, v0, v9
	v_mul_lo_u32 v0, 0, s40
	v_mad_u64_u32 v[9:10], null, v3, s40, 0
	v_add_co_u32 v5, vcc_lo, s34, v5
	s_delay_alu instid0(VALU_DEP_4) | instskip(SKIP_2) | instid1(VALU_DEP_4)
	v_lshlrev_b64 v[7:8], 3, v[7:8]
	v_add_co_ci_u32_e32 v6, vcc_lo, s35, v6, vcc_lo
	s_add_i32 s1, s1, s0
	v_add3_u32 v10, v10, v2, v0
	v_cvt_f32_u32_e32 v0, s4
	s_mul_i32 s0, s72, s30
	v_add_co_u32 v7, vcc_lo, s36, v7
	s_delay_alu instid0(VALU_DEP_3) | instskip(NEXT) | instid1(VALU_DEP_3)
	v_lshlrev_b64 v[9:10], 3, v[9:10]
	v_rcp_iflag_f32_e32 v0, v0
	s_lshl_b64 s[28:29], s[0:1], 3
	s_mul_i32 s0, s72, s39
	s_mul_hi_u32 s1, s72, s38
	v_add_co_ci_u32_e32 v8, vcc_lo, s37, v8, vcc_lo
	v_add_co_u32 v9, vcc_lo, s2, v9
	s_add_i32 s1, s1, s0
	s_mul_i32 s0, s72, s38
	s_waitcnt_depctr 0xfff
	v_mul_f32_e32 v0, 0x4f7ffffe, v0
	s_mul_i32 s34, s72, s41
	s_mul_hi_u32 s35, s72, s40
	v_add_co_ci_u32_e32 v10, vcc_lo, s3, v10, vcc_lo
	s_delay_alu instid0(VALU_DEP_2)
	v_cvt_u32_f32_e32 v0, v0
	s_lshl_b64 s[30:31], s[0:1], 3
	s_add_i32 s1, s35, s34
	s_mul_i32 s0, s72, s40
	s_mov_b32 s36, 0x652b82fe
	s_mov_b32 s38, 0xfefa39ef
	;; [unrolled: 1-line block ×15, first 2 shown]
	s_mul_i32 s75, s4, 3
	s_lshl_b64 s[34:35], s[0:1], 3
	s_mov_b32 s37, 0xbff71547
	s_mov_b32 s39, 0xbfe62e42
	;; [unrolled: 1-line block ×15, first 2 shown]
	s_ashr_i32 s66, s5, 31
	s_mov_b32 s69, 0x3ff71547
	s_mov_b32 s70, 0xfefa3000
	s_branch .LBB2_3
.LBB2_2:                                ;   in Loop: Header=BB2_3 Depth=1
	s_waitcnt vmcnt(2)
	v_add_f64 v[34:35], v[34:35], v[36:37]
	s_mov_b32 s68, s36
	s_mov_b32 s71, s39
	v_add_f64 v[26:27], v[26:27], v[30:31]
	v_add_f64 v[28:29], v[28:29], v[32:33]
	s_waitcnt vmcnt(1)
	v_add_f64 v[16:17], v[16:17], v[18:19]
	v_mul_lo_u32 v2, v2, s26
	v_add_f64 v[34:35], v[34:35], v[50:51]
	v_add_f64 v[26:27], v[26:27], v[44:45]
	;; [unrolled: 1-line block ×4, first 2 shown]
	s_delay_alu instid0(VALU_DEP_4) | instskip(NEXT) | instid1(VALU_DEP_4)
	v_add_f64 v[34:35], v[48:49], v[34:35]
	v_add_f64 v[26:27], v[40:41], v[26:27]
	s_delay_alu instid0(VALU_DEP_4) | instskip(SKIP_1) | instid1(VALU_DEP_4)
	v_add_f64 v[28:29], v[38:39], v[28:29]
	s_waitcnt vmcnt(0)
	v_add_f64 v[16:17], v[22:23], v[16:17]
	s_delay_alu instid0(VALU_DEP_4) | instskip(NEXT) | instid1(VALU_DEP_4)
	v_mul_f64 v[36:37], |v[34:35]|, s[68:69]
	v_mul_f64 v[38:39], v[26:27], s[36:37]
	s_delay_alu instid0(VALU_DEP_4)
	v_mul_f64 v[40:41], v[28:29], s[36:37]
	v_cmp_nlt_f64_e64 s1, 0x4090cc00, v[26:27]
	v_cmp_ngt_f64_e64 s2, 0xc0900000, v[28:29]
	v_rndne_f64_e32 v[36:37], v[36:37]
	v_rndne_f64_e32 v[38:39], v[38:39]
	;; [unrolled: 1-line block ×3, first 2 shown]
	s_delay_alu instid0(VALU_DEP_3) | instskip(SKIP_1) | instid1(VALU_DEP_3)
	v_fma_f64 v[46:47], v[36:37], s[70:71], |v[34:35]|
	v_mul_f64 v[48:49], v[36:37], s[62:63]
	v_fma_f64 v[44:45], v[40:41], s[38:39], -v[28:29]
	s_delay_alu instid0(VALU_DEP_3) | instskip(NEXT) | instid1(VALU_DEP_2)
	v_add_f64 v[50:51], v[46:47], 0
	v_fma_f64 v[44:45], v[40:41], s[40:41], v[44:45]
	s_delay_alu instid0(VALU_DEP_2) | instskip(SKIP_1) | instid1(VALU_DEP_2)
	v_add_f64 v[54:55], v[50:51], -v[48:49]
	v_add_f64 v[46:47], v[46:47], -v[50:51]
	;; [unrolled: 1-line block ×3, first 2 shown]
	s_delay_alu instid0(VALU_DEP_2) | instskip(NEXT) | instid1(VALU_DEP_2)
	v_add_f64 v[46:47], v[46:47], 0
	v_add_f64 v[48:49], v[50:51], -v[48:49]
	s_delay_alu instid0(VALU_DEP_1) | instskip(SKIP_1) | instid1(VALU_DEP_2)
	v_add_f64 v[46:47], v[46:47], v[48:49]
	v_mul_f64 v[48:49], v[36:37], s[64:65]
	v_add_f64 v[50:51], v[54:55], v[46:47]
	s_delay_alu instid0(VALU_DEP_1) | instskip(SKIP_1) | instid1(VALU_DEP_2)
	v_add_f64 v[56:57], v[50:51], -v[48:49]
	v_add_f64 v[54:55], v[54:55], -v[50:51]
	;; [unrolled: 1-line block ×3, first 2 shown]
	s_delay_alu instid0(VALU_DEP_2) | instskip(NEXT) | instid1(VALU_DEP_2)
	v_add_f64 v[46:47], v[46:47], v[54:55]
	v_add_f64 v[48:49], v[50:51], -v[48:49]
	s_delay_alu instid0(VALU_DEP_1) | instskip(NEXT) | instid1(VALU_DEP_1)
	v_add_f64 v[46:47], v[46:47], v[48:49]
	v_add_f64 v[48:49], v[56:57], v[46:47]
	s_delay_alu instid0(VALU_DEP_1) | instskip(SKIP_2) | instid1(VALU_DEP_3)
	v_fma_f64 v[50:51], v[48:49], s[44:45], s[42:43]
	v_add_f64 v[54:55], v[56:57], -v[48:49]
	v_mul_f64 v[56:57], v[48:49], v[48:49]
	v_fma_f64 v[50:51], v[48:49], v[50:51], s[46:47]
	s_delay_alu instid0(VALU_DEP_3) | instskip(NEXT) | instid1(VALU_DEP_3)
	v_add_f64 v[46:47], v[46:47], v[54:55]
	v_fma_f64 v[54:55], v[48:49], v[48:49], -v[56:57]
	s_delay_alu instid0(VALU_DEP_3) | instskip(NEXT) | instid1(VALU_DEP_3)
	v_fma_f64 v[50:51], v[48:49], v[50:51], s[48:49]
	v_add_f64 v[58:59], v[46:47], v[46:47]
	s_delay_alu instid0(VALU_DEP_2) | instskip(NEXT) | instid1(VALU_DEP_2)
	v_fma_f64 v[50:51], v[48:49], v[50:51], s[50:51]
	v_fma_f64 v[54:55], v[48:49], v[58:59], v[54:55]
	s_delay_alu instid0(VALU_DEP_2) | instskip(NEXT) | instid1(VALU_DEP_2)
	v_fma_f64 v[50:51], v[48:49], v[50:51], s[52:53]
	v_add_f64 v[58:59], v[56:57], v[54:55]
	s_delay_alu instid0(VALU_DEP_2) | instskip(NEXT) | instid1(VALU_DEP_2)
	v_fma_f64 v[50:51], v[48:49], v[50:51], s[54:55]
	v_add_f64 v[56:57], v[58:59], -v[56:57]
	s_delay_alu instid0(VALU_DEP_2) | instskip(NEXT) | instid1(VALU_DEP_2)
	v_fma_f64 v[50:51], v[48:49], v[50:51], s[56:57]
	v_add_f64 v[54:55], v[54:55], -v[56:57]
	s_delay_alu instid0(VALU_DEP_2) | instskip(NEXT) | instid1(VALU_DEP_1)
	v_fma_f64 v[50:51], v[48:49], v[50:51], s[58:59]
	v_fma_f64 v[50:51], v[48:49], v[50:51], s[60:61]
	s_delay_alu instid0(VALU_DEP_1) | instskip(NEXT) | instid1(VALU_DEP_1)
	v_mul_f64 v[60:61], v[58:59], v[50:51]
	v_fma_f64 v[56:57], v[58:59], v[50:51], -v[60:61]
	s_delay_alu instid0(VALU_DEP_1) | instskip(NEXT) | instid1(VALU_DEP_1)
	v_fma_f64 v[50:51], v[54:55], v[50:51], v[56:57]
	v_add_f64 v[54:55], v[60:61], v[50:51]
	s_delay_alu instid0(VALU_DEP_1) | instskip(SKIP_1) | instid1(VALU_DEP_2)
	v_add_f64 v[56:57], v[48:49], v[54:55]
	v_add_f64 v[58:59], v[54:55], -v[60:61]
	v_add_f64 v[48:49], v[56:57], -v[48:49]
	s_delay_alu instid0(VALU_DEP_2) | instskip(SKIP_1) | instid1(VALU_DEP_3)
	v_add_f64 v[50:51], v[50:51], -v[58:59]
	v_cvt_i32_f64_e32 v58, v[36:37]
	v_add_f64 v[48:49], v[54:55], -v[48:49]
	s_delay_alu instid0(VALU_DEP_3) | instskip(NEXT) | instid1(VALU_DEP_1)
	v_add_f64 v[46:47], v[46:47], v[50:51]
	v_add_f64 v[46:47], v[46:47], v[48:49]
	s_delay_alu instid0(VALU_DEP_1) | instskip(NEXT) | instid1(VALU_DEP_1)
	v_add_f64 v[48:49], v[56:57], v[46:47]
	v_add_f64 v[50:51], v[48:49], 1.0
	v_add_f64 v[54:55], v[48:49], -v[56:57]
	s_delay_alu instid0(VALU_DEP_2) | instskip(NEXT) | instid1(VALU_DEP_2)
	v_add_f64 v[56:57], v[50:51], -1.0
	v_add_f64 v[46:47], v[46:47], -v[54:55]
	s_delay_alu instid0(VALU_DEP_2) | instskip(NEXT) | instid1(VALU_DEP_1)
	v_add_f64 v[48:49], v[48:49], -v[56:57]
	v_add_f64 v[46:47], v[46:47], v[48:49]
	s_delay_alu instid0(VALU_DEP_1) | instskip(NEXT) | instid1(VALU_DEP_1)
	v_add_f64 v[36:37], v[50:51], v[46:47]
	v_ldexp_f64 v[48:49], v[36:37], v58
	v_add_f64 v[36:37], v[36:37], -v[50:51]
	s_delay_alu instid0(VALU_DEP_2) | instskip(NEXT) | instid1(VALU_DEP_1)
	v_rcp_f64_e32 v[54:55], v[48:49]
	v_add_f64 v[36:37], v[46:47], -v[36:37]
	s_delay_alu instid0(VALU_DEP_1) | instskip(SKIP_2) | instid1(VALU_DEP_1)
	v_ldexp_f64 v[36:37], v[36:37], v58
	s_waitcnt_depctr 0xfff
	v_fma_f64 v[56:57], -v[48:49], v[54:55], 1.0
	v_fma_f64 v[54:55], v[56:57], v[54:55], v[54:55]
	s_delay_alu instid0(VALU_DEP_1) | instskip(NEXT) | instid1(VALU_DEP_1)
	v_fma_f64 v[56:57], -v[48:49], v[54:55], 1.0
	v_fma_f64 v[50:51], v[56:57], v[54:55], v[54:55]
	s_delay_alu instid0(VALU_DEP_1) | instskip(NEXT) | instid1(VALU_DEP_1)
	v_mul_f64 v[46:47], v[48:49], v[50:51]
	v_fma_f64 v[54:55], v[50:51], v[48:49], -v[46:47]
	s_delay_alu instid0(VALU_DEP_1) | instskip(NEXT) | instid1(VALU_DEP_1)
	v_fma_f64 v[54:55], v[50:51], v[36:37], v[54:55]
	v_add_f64 v[56:57], v[46:47], v[54:55]
	s_delay_alu instid0(VALU_DEP_1) | instskip(SKIP_1) | instid1(VALU_DEP_2)
	v_add_f64 v[58:59], -v[56:57], 1.0
	v_add_f64 v[46:47], v[56:57], -v[46:47]
	v_add_f64 v[60:61], -v[58:59], 1.0
	s_delay_alu instid0(VALU_DEP_2) | instskip(NEXT) | instid1(VALU_DEP_2)
	v_add_f64 v[46:47], v[46:47], -v[54:55]
	v_add_f64 v[54:55], v[60:61], -v[56:57]
	s_delay_alu instid0(VALU_DEP_1) | instskip(NEXT) | instid1(VALU_DEP_1)
	v_add_f64 v[46:47], v[46:47], v[54:55]
	v_add_f64 v[54:55], v[58:59], v[46:47]
	s_delay_alu instid0(VALU_DEP_1) | instskip(SKIP_1) | instid1(VALU_DEP_2)
	v_mul_f64 v[56:57], v[50:51], v[54:55]
	v_add_f64 v[58:59], v[58:59], -v[54:55]
	v_mul_f64 v[60:61], v[48:49], v[56:57]
	s_delay_alu instid0(VALU_DEP_2) | instskip(SKIP_1) | instid1(VALU_DEP_3)
	v_add_f64 v[46:47], v[46:47], v[58:59]
	v_add_f64 v[42:43], v[50:51], v[56:57]
	v_fma_f64 v[62:63], v[56:57], v[48:49], -v[60:61]
	s_delay_alu instid0(VALU_DEP_1) | instskip(NEXT) | instid1(VALU_DEP_1)
	v_fma_f64 v[62:63], v[56:57], v[36:37], v[62:63]
	v_add_f64 v[64:65], v[60:61], v[62:63]
	s_delay_alu instid0(VALU_DEP_1) | instskip(SKIP_1) | instid1(VALU_DEP_2)
	v_add_f64 v[66:67], v[54:55], -v[64:65]
	v_add_f64 v[58:59], v[64:65], -v[60:61]
	;; [unrolled: 1-line block ×3, first 2 shown]
	s_delay_alu instid0(VALU_DEP_2) | instskip(NEXT) | instid1(VALU_DEP_2)
	v_add_f64 v[30:31], v[58:59], -v[62:63]
	v_add_f64 v[54:55], v[54:55], -v[64:65]
	s_delay_alu instid0(VALU_DEP_1) | instskip(NEXT) | instid1(VALU_DEP_1)
	v_add_f64 v[32:33], v[46:47], v[54:55]
	v_add_f64 v[30:31], v[30:31], v[32:33]
	v_add_f64 v[32:33], v[42:43], -v[50:51]
	s_delay_alu instid0(VALU_DEP_2) | instskip(NEXT) | instid1(VALU_DEP_2)
	v_add_f64 v[30:31], v[66:67], v[30:31]
	v_add_f64 v[32:33], v[56:57], -v[32:33]
	v_fma_f64 v[56:57], v[44:45], s[44:45], s[42:43]
	s_delay_alu instid0(VALU_DEP_3) | instskip(NEXT) | instid1(VALU_DEP_1)
	v_mul_f64 v[30:31], v[50:51], v[30:31]
	v_add_f64 v[30:31], v[32:33], v[30:31]
	v_fma_f64 v[32:33], v[38:39], s[38:39], -v[26:27]
	s_delay_alu instid0(VALU_DEP_2) | instskip(NEXT) | instid1(VALU_DEP_2)
	v_add_f64 v[46:47], v[42:43], v[30:31]
	v_fma_f64 v[32:33], v[38:39], s[40:41], v[32:33]
	s_delay_alu instid0(VALU_DEP_2) | instskip(SKIP_1) | instid1(VALU_DEP_3)
	v_add_f64 v[50:51], v[48:49], v[46:47]
	v_add_f64 v[42:43], v[46:47], -v[42:43]
	v_fma_f64 v[54:55], v[32:33], s[44:45], s[42:43]
	v_add_f64 v[60:61], v[48:49], -v[46:47]
	s_delay_alu instid0(VALU_DEP_4) | instskip(NEXT) | instid1(VALU_DEP_4)
	v_add_f64 v[58:59], v[50:51], -v[48:49]
	v_add_f64 v[30:31], v[30:31], -v[42:43]
	s_delay_alu instid0(VALU_DEP_4)
	v_fma_f64 v[42:43], v[32:33], v[54:55], s[46:47]
	v_fma_f64 v[54:55], v[44:45], v[56:57], s[46:47]
	v_add_f64 v[48:49], v[48:49], -v[60:61]
	v_add_f64 v[56:57], v[46:47], -v[58:59]
	v_add_f64 v[58:59], v[36:37], v[30:31]
	v_fma_f64 v[42:43], v[32:33], v[42:43], s[48:49]
	v_fma_f64 v[54:55], v[44:45], v[54:55], s[48:49]
	v_add_f64 v[46:47], v[48:49], -v[46:47]
	s_delay_alu instid0(VALU_DEP_4) | instskip(NEXT) | instid1(VALU_DEP_4)
	v_add_f64 v[56:57], v[58:59], v[56:57]
	v_fma_f64 v[42:43], v[32:33], v[42:43], s[50:51]
	s_delay_alu instid0(VALU_DEP_4) | instskip(NEXT) | instid1(VALU_DEP_4)
	v_fma_f64 v[54:55], v[44:45], v[54:55], s[50:51]
	v_add_f64 v[36:37], v[36:37], v[46:47]
	s_delay_alu instid0(VALU_DEP_4) | instskip(NEXT) | instid1(VALU_DEP_4)
	v_add_f64 v[58:59], v[50:51], v[56:57]
	v_fma_f64 v[42:43], v[32:33], v[42:43], s[52:53]
	s_delay_alu instid0(VALU_DEP_4) | instskip(NEXT) | instid1(VALU_DEP_4)
	v_fma_f64 v[54:55], v[44:45], v[54:55], s[52:53]
	v_add_f64 v[30:31], v[36:37], -v[30:31]
	s_delay_alu instid0(VALU_DEP_4) | instskip(NEXT) | instid1(VALU_DEP_3)
	v_rcp_f64_e32 v[62:63], v[58:59]
	v_fma_f64 v[42:43], v[32:33], v[42:43], s[54:55]
	s_delay_alu instid0(VALU_DEP_3) | instskip(NEXT) | instid1(VALU_DEP_2)
	v_fma_f64 v[54:55], v[44:45], v[54:55], s[54:55]
	v_fma_f64 v[42:43], v[32:33], v[42:43], s[56:57]
	s_waitcnt_depctr 0xfff
	v_fma_f64 v[48:49], -v[58:59], v[62:63], 1.0
	v_fma_f64 v[54:55], v[44:45], v[54:55], s[56:57]
	v_fma_f64 v[42:43], v[32:33], v[42:43], s[58:59]
	s_delay_alu instid0(VALU_DEP_3) | instskip(NEXT) | instid1(VALU_DEP_3)
	v_fma_f64 v[46:47], v[48:49], v[62:63], v[62:63]
	v_fma_f64 v[48:49], v[44:45], v[54:55], s[58:59]
	v_add_f64 v[54:55], v[60:61], v[30:31]
	v_cvt_i32_f64_e32 v62, v[38:39]
	v_cvt_i32_f64_e32 v63, v[40:41]
	v_add_f64 v[40:41], v[58:59], -v[50:51]
	v_fma_f64 v[42:43], v[32:33], v[42:43], s[60:61]
	v_fma_f64 v[36:37], -v[58:59], v[46:47], 1.0
	v_fma_f64 v[48:49], v[44:45], v[48:49], s[60:61]
	s_delay_alu instid0(VALU_DEP_4) | instskip(NEXT) | instid1(VALU_DEP_4)
	v_add_f64 v[40:41], v[56:57], -v[40:41]
	v_fma_f64 v[42:43], v[32:33], v[42:43], 1.0
	s_delay_alu instid0(VALU_DEP_4) | instskip(NEXT) | instid1(VALU_DEP_4)
	v_fma_f64 v[36:37], v[36:37], v[46:47], v[46:47]
	v_fma_f64 v[46:47], v[44:45], v[48:49], 1.0
	s_delay_alu instid0(VALU_DEP_3) | instskip(NEXT) | instid1(VALU_DEP_3)
	v_fma_f64 v[32:33], v[32:33], v[42:43], 1.0
	v_mul_f64 v[48:49], v[54:55], v[36:37]
	s_delay_alu instid0(VALU_DEP_3) | instskip(NEXT) | instid1(VALU_DEP_3)
	v_fma_f64 v[38:39], v[44:45], v[46:47], 1.0
	v_ldexp_f64 v[32:33], v[32:33], v62
	s_delay_alu instid0(VALU_DEP_3) | instskip(NEXT) | instid1(VALU_DEP_3)
	v_mul_f64 v[42:43], v[58:59], v[48:49]
	v_ldexp_f64 v[38:39], v[38:39], v63
	s_delay_alu instid0(VALU_DEP_3) | instskip(NEXT) | instid1(VALU_DEP_3)
	v_add_f64 v[32:33], v[32:33], 1.0
	v_fma_f64 v[44:45], v[48:49], v[58:59], -v[42:43]
	s_delay_alu instid0(VALU_DEP_3) | instskip(NEXT) | instid1(VALU_DEP_2)
	v_add_f64 v[38:39], v[38:39], 1.0
	v_fma_f64 v[40:41], v[48:49], v[40:41], v[44:45]
	s_delay_alu instid0(VALU_DEP_4) | instskip(NEXT) | instid1(VALU_DEP_3)
	v_div_scale_f64 v[44:45], null, v[32:33], v[32:33], 1.0
	v_div_scale_f64 v[46:47], null, v[38:39], v[38:39], 1.0
	s_delay_alu instid0(VALU_DEP_3) | instskip(NEXT) | instid1(VALU_DEP_3)
	v_add_f64 v[50:51], v[42:43], v[40:41]
	v_rcp_f64_e32 v[56:57], v[44:45]
	s_delay_alu instid0(VALU_DEP_2) | instskip(NEXT) | instid1(VALU_DEP_1)
	v_rcp_f64_e32 v[58:59], v[46:47]
	v_add_f64 v[62:63], v[54:55], -v[50:51]
	v_add_f64 v[42:43], v[50:51], -v[42:43]
	s_waitcnt_depctr 0xfff
	v_fma_f64 v[64:65], -v[44:45], v[56:57], 1.0
	v_fma_f64 v[66:67], -v[46:47], v[58:59], 1.0
	v_add_f64 v[68:69], v[54:55], -v[62:63]
	v_add_f64 v[54:55], v[54:55], -v[60:61]
	;; [unrolled: 1-line block ×3, first 2 shown]
	v_fma_f64 v[56:57], v[56:57], v[64:65], v[56:57]
	v_fma_f64 v[58:59], v[58:59], v[66:67], v[58:59]
	v_add_f64 v[42:43], v[68:69], -v[50:51]
	v_add_f64 v[30:31], v[30:31], -v[54:55]
	v_div_scale_f64 v[54:55], s0, 1.0, v[38:39], 1.0
	v_fma_f64 v[50:51], -v[44:45], v[56:57], 1.0
	v_fma_f64 v[60:61], -v[46:47], v[58:59], 1.0
	v_add_f64 v[40:41], v[42:43], -v[40:41]
	v_div_scale_f64 v[42:43], vcc_lo, 1.0, v[32:33], 1.0
	s_delay_alu instid0(VALU_DEP_4) | instskip(NEXT) | instid1(VALU_DEP_4)
	v_fma_f64 v[50:51], v[56:57], v[50:51], v[56:57]
	v_fma_f64 v[56:57], v[58:59], v[60:61], v[58:59]
	s_delay_alu instid0(VALU_DEP_4) | instskip(NEXT) | instid1(VALU_DEP_3)
	v_add_f64 v[30:31], v[30:31], v[40:41]
	v_mul_f64 v[40:41], v[42:43], v[50:51]
	s_delay_alu instid0(VALU_DEP_3) | instskip(NEXT) | instid1(VALU_DEP_3)
	v_mul_f64 v[58:59], v[54:55], v[56:57]
	v_add_f64 v[30:31], v[62:63], v[30:31]
	s_delay_alu instid0(VALU_DEP_3) | instskip(NEXT) | instid1(VALU_DEP_3)
	v_fma_f64 v[42:43], -v[44:45], v[40:41], v[42:43]
	v_fma_f64 v[44:45], -v[46:47], v[58:59], v[54:55]
	s_delay_alu instid0(VALU_DEP_3) | instskip(NEXT) | instid1(VALU_DEP_3)
	v_mul_f64 v[30:31], v[36:37], v[30:31]
	v_div_fmas_f64 v[36:37], v[42:43], v[50:51], v[40:41]
	s_mov_b32 vcc_lo, s0
	v_cmp_ngt_f64_e64 s0, 0xc0900000, v[26:27]
	s_delay_alu instid0(VALU_DEP_4)
	v_div_fmas_f64 v[40:41], v[44:45], v[56:57], v[58:59]
	v_cmp_nlt_f64_e64 vcc_lo, 0x40331000, |v[34:35]|
	v_and_b32_e32 v27, 0x7fffffff, v35
	v_add_f64 v[30:31], v[48:49], v[30:31]
	v_div_fixup_f64 v[32:33], v[36:37], v[32:33], 1.0
	v_div_fixup_f64 v[36:37], v[40:41], v[38:39], 1.0
	s_delay_alu instid0(VALU_DEP_3) | instskip(NEXT) | instid1(VALU_DEP_4)
	v_cndmask_b32_e32 v31, 0x3ff00000, v31, vcc_lo
	v_cndmask_b32_e32 v30, 0, v30, vcc_lo
	v_cmp_gt_f64_e64 vcc_lo, 0x3e400000, |v[34:35]|
	v_cndmask_b32_e64 v33, 0, v33, s0
	v_cndmask_b32_e64 v37, 0, v37, s2
	s_delay_alu instid0(VALU_DEP_4) | instskip(SKIP_1) | instid1(VALU_DEP_3)
	v_dual_cndmask_b32 v26, v30, v34 :: v_dual_cndmask_b32 v27, v31, v27
	s_and_b32 vcc_lo, s1, s0
	v_cndmask_b32_e64 v31, 0x3ff00000, v33, s1
	v_cndmask_b32_e32 v30, 0, v32, vcc_lo
	v_cmp_nlt_f64_e32 vcc_lo, 0x4090cc00, v[28:29]
	v_bfi_b32 v27, 0x7fffffff, v27, v35
	v_cmp_ngt_f64_e64 s0, 0xc0900000, v[16:17]
	v_cmp_nlt_f64_e64 s1, 0x4090cc00, v[16:17]
	s_delay_alu instid0(VALU_DEP_3) | instskip(SKIP_3) | instid1(VALU_DEP_1)
	v_mul_f64 v[28:29], v[30:31], v[26:27]
	v_cndmask_b32_e32 v33, 0x3ff00000, v37, vcc_lo
	s_and_b32 vcc_lo, vcc_lo, s2
	v_cndmask_b32_e32 v32, 0, v36, vcc_lo
	v_fma_f64 v[20:21], v[20:21], v[32:33], v[28:29]
	s_delay_alu instid0(VALU_DEP_1) | instskip(NEXT) | instid1(VALU_DEP_1)
	v_mul_f64 v[28:29], |v[20:21]|, s[68:69]
	v_rndne_f64_e32 v[28:29], v[28:29]
	s_delay_alu instid0(VALU_DEP_1) | instskip(SKIP_1) | instid1(VALU_DEP_2)
	v_fma_f64 v[34:35], v[28:29], s[70:71], |v[20:21]|
	v_mul_f64 v[36:37], v[28:29], s[62:63]
	v_add_f64 v[38:39], v[34:35], 0
	s_delay_alu instid0(VALU_DEP_1) | instskip(SKIP_1) | instid1(VALU_DEP_2)
	v_add_f64 v[40:41], v[38:39], -v[36:37]
	v_add_f64 v[34:35], v[34:35], -v[38:39]
	;; [unrolled: 1-line block ×3, first 2 shown]
	s_delay_alu instid0(VALU_DEP_2) | instskip(NEXT) | instid1(VALU_DEP_2)
	v_add_f64 v[34:35], v[34:35], 0
	v_add_f64 v[36:37], v[38:39], -v[36:37]
	s_delay_alu instid0(VALU_DEP_1) | instskip(SKIP_1) | instid1(VALU_DEP_2)
	v_add_f64 v[34:35], v[34:35], v[36:37]
	v_mul_f64 v[36:37], v[28:29], s[64:65]
	v_add_f64 v[38:39], v[40:41], v[34:35]
	s_delay_alu instid0(VALU_DEP_1) | instskip(SKIP_1) | instid1(VALU_DEP_2)
	v_add_f64 v[42:43], v[38:39], -v[36:37]
	v_add_f64 v[40:41], v[40:41], -v[38:39]
	;; [unrolled: 1-line block ×3, first 2 shown]
	s_delay_alu instid0(VALU_DEP_2) | instskip(NEXT) | instid1(VALU_DEP_2)
	v_add_f64 v[34:35], v[34:35], v[40:41]
	v_add_f64 v[36:37], v[38:39], -v[36:37]
	s_delay_alu instid0(VALU_DEP_1) | instskip(NEXT) | instid1(VALU_DEP_1)
	v_add_f64 v[34:35], v[34:35], v[36:37]
	v_add_f64 v[36:37], v[42:43], v[34:35]
	s_delay_alu instid0(VALU_DEP_1) | instskip(SKIP_2) | instid1(VALU_DEP_3)
	v_fma_f64 v[38:39], v[36:37], s[44:45], s[42:43]
	v_add_f64 v[40:41], v[42:43], -v[36:37]
	v_mul_f64 v[42:43], v[36:37], v[36:37]
	v_fma_f64 v[38:39], v[36:37], v[38:39], s[46:47]
	s_delay_alu instid0(VALU_DEP_3) | instskip(NEXT) | instid1(VALU_DEP_3)
	v_add_f64 v[34:35], v[34:35], v[40:41]
	v_fma_f64 v[40:41], v[36:37], v[36:37], -v[42:43]
	s_delay_alu instid0(VALU_DEP_3) | instskip(NEXT) | instid1(VALU_DEP_3)
	v_fma_f64 v[38:39], v[36:37], v[38:39], s[48:49]
	v_add_f64 v[44:45], v[34:35], v[34:35]
	s_delay_alu instid0(VALU_DEP_2) | instskip(NEXT) | instid1(VALU_DEP_2)
	v_fma_f64 v[38:39], v[36:37], v[38:39], s[50:51]
	v_fma_f64 v[40:41], v[36:37], v[44:45], v[40:41]
	s_delay_alu instid0(VALU_DEP_2) | instskip(NEXT) | instid1(VALU_DEP_2)
	v_fma_f64 v[38:39], v[36:37], v[38:39], s[52:53]
	v_add_f64 v[44:45], v[42:43], v[40:41]
	s_delay_alu instid0(VALU_DEP_2) | instskip(NEXT) | instid1(VALU_DEP_2)
	v_fma_f64 v[38:39], v[36:37], v[38:39], s[54:55]
	v_add_f64 v[42:43], v[44:45], -v[42:43]
	s_delay_alu instid0(VALU_DEP_2) | instskip(NEXT) | instid1(VALU_DEP_2)
	v_fma_f64 v[38:39], v[36:37], v[38:39], s[56:57]
	v_add_f64 v[40:41], v[40:41], -v[42:43]
	s_delay_alu instid0(VALU_DEP_2) | instskip(NEXT) | instid1(VALU_DEP_1)
	v_fma_f64 v[38:39], v[36:37], v[38:39], s[58:59]
	v_fma_f64 v[38:39], v[36:37], v[38:39], s[60:61]
	s_delay_alu instid0(VALU_DEP_1) | instskip(NEXT) | instid1(VALU_DEP_1)
	v_mul_f64 v[46:47], v[44:45], v[38:39]
	v_fma_f64 v[42:43], v[44:45], v[38:39], -v[46:47]
	s_delay_alu instid0(VALU_DEP_1) | instskip(NEXT) | instid1(VALU_DEP_1)
	v_fma_f64 v[38:39], v[40:41], v[38:39], v[42:43]
	v_add_f64 v[40:41], v[46:47], v[38:39]
	s_delay_alu instid0(VALU_DEP_1) | instskip(SKIP_1) | instid1(VALU_DEP_2)
	v_add_f64 v[42:43], v[36:37], v[40:41]
	v_add_f64 v[44:45], v[40:41], -v[46:47]
	v_add_f64 v[36:37], v[42:43], -v[36:37]
	s_delay_alu instid0(VALU_DEP_2) | instskip(SKIP_1) | instid1(VALU_DEP_3)
	v_add_f64 v[38:39], v[38:39], -v[44:45]
	v_cvt_i32_f64_e32 v44, v[28:29]
	v_add_f64 v[36:37], v[40:41], -v[36:37]
	s_delay_alu instid0(VALU_DEP_3) | instskip(NEXT) | instid1(VALU_DEP_1)
	v_add_f64 v[34:35], v[34:35], v[38:39]
	v_add_f64 v[34:35], v[34:35], v[36:37]
	s_delay_alu instid0(VALU_DEP_1) | instskip(NEXT) | instid1(VALU_DEP_1)
	v_add_f64 v[36:37], v[42:43], v[34:35]
	v_add_f64 v[38:39], v[36:37], 1.0
	v_add_f64 v[40:41], v[36:37], -v[42:43]
	s_delay_alu instid0(VALU_DEP_2) | instskip(NEXT) | instid1(VALU_DEP_2)
	v_add_f64 v[42:43], v[38:39], -1.0
	v_add_f64 v[34:35], v[34:35], -v[40:41]
	s_delay_alu instid0(VALU_DEP_2) | instskip(NEXT) | instid1(VALU_DEP_1)
	v_add_f64 v[36:37], v[36:37], -v[42:43]
	v_add_f64 v[34:35], v[34:35], v[36:37]
	s_delay_alu instid0(VALU_DEP_1) | instskip(NEXT) | instid1(VALU_DEP_1)
	v_add_f64 v[28:29], v[38:39], v[34:35]
	v_ldexp_f64 v[36:37], v[28:29], v44
	v_add_f64 v[28:29], v[28:29], -v[38:39]
	s_delay_alu instid0(VALU_DEP_2) | instskip(NEXT) | instid1(VALU_DEP_1)
	v_rcp_f64_e32 v[40:41], v[36:37]
	v_add_f64 v[28:29], v[34:35], -v[28:29]
	s_delay_alu instid0(VALU_DEP_1) | instskip(SKIP_2) | instid1(VALU_DEP_1)
	v_ldexp_f64 v[28:29], v[28:29], v44
	s_waitcnt_depctr 0xfff
	v_fma_f64 v[42:43], -v[36:37], v[40:41], 1.0
	v_fma_f64 v[40:41], v[42:43], v[40:41], v[40:41]
	s_delay_alu instid0(VALU_DEP_1) | instskip(NEXT) | instid1(VALU_DEP_1)
	v_fma_f64 v[42:43], -v[36:37], v[40:41], 1.0
	v_fma_f64 v[38:39], v[42:43], v[40:41], v[40:41]
	s_delay_alu instid0(VALU_DEP_1) | instskip(NEXT) | instid1(VALU_DEP_1)
	v_mul_f64 v[34:35], v[36:37], v[38:39]
	v_fma_f64 v[40:41], v[38:39], v[36:37], -v[34:35]
	s_delay_alu instid0(VALU_DEP_1) | instskip(NEXT) | instid1(VALU_DEP_1)
	v_fma_f64 v[40:41], v[38:39], v[28:29], v[40:41]
	v_add_f64 v[42:43], v[34:35], v[40:41]
	s_delay_alu instid0(VALU_DEP_1) | instskip(SKIP_1) | instid1(VALU_DEP_2)
	v_add_f64 v[44:45], -v[42:43], 1.0
	v_add_f64 v[34:35], v[42:43], -v[34:35]
	v_add_f64 v[46:47], -v[44:45], 1.0
	s_delay_alu instid0(VALU_DEP_2) | instskip(NEXT) | instid1(VALU_DEP_2)
	v_add_f64 v[34:35], v[34:35], -v[40:41]
	v_add_f64 v[40:41], v[46:47], -v[42:43]
	s_delay_alu instid0(VALU_DEP_1) | instskip(NEXT) | instid1(VALU_DEP_1)
	v_add_f64 v[34:35], v[34:35], v[40:41]
	v_add_f64 v[40:41], v[44:45], v[34:35]
	s_delay_alu instid0(VALU_DEP_1) | instskip(SKIP_1) | instid1(VALU_DEP_2)
	v_mul_f64 v[42:43], v[38:39], v[40:41]
	v_add_f64 v[44:45], v[44:45], -v[40:41]
	v_mul_f64 v[46:47], v[36:37], v[42:43]
	s_delay_alu instid0(VALU_DEP_2) | instskip(SKIP_1) | instid1(VALU_DEP_3)
	v_add_f64 v[34:35], v[34:35], v[44:45]
	v_add_f64 v[24:25], v[38:39], v[42:43]
	v_fma_f64 v[48:49], v[42:43], v[36:37], -v[46:47]
	s_delay_alu instid0(VALU_DEP_2) | instskip(NEXT) | instid1(VALU_DEP_2)
	v_add_f64 v[22:23], v[24:25], -v[38:39]
	v_fma_f64 v[48:49], v[42:43], v[28:29], v[48:49]
	s_delay_alu instid0(VALU_DEP_2) | instskip(NEXT) | instid1(VALU_DEP_2)
	v_add_f64 v[22:23], v[42:43], -v[22:23]
	v_add_f64 v[50:51], v[46:47], v[48:49]
	s_delay_alu instid0(VALU_DEP_1) | instskip(SKIP_1) | instid1(VALU_DEP_2)
	v_add_f64 v[54:55], v[40:41], -v[50:51]
	v_add_f64 v[44:45], v[50:51], -v[46:47]
	;; [unrolled: 1-line block ×3, first 2 shown]
	s_delay_alu instid0(VALU_DEP_2) | instskip(NEXT) | instid1(VALU_DEP_2)
	v_add_f64 v[18:19], v[44:45], -v[48:49]
	v_add_f64 v[40:41], v[40:41], -v[50:51]
	s_delay_alu instid0(VALU_DEP_1) | instskip(NEXT) | instid1(VALU_DEP_1)
	v_add_f64 v[34:35], v[34:35], v[40:41]
	v_add_f64 v[18:19], v[18:19], v[34:35]
	v_mul_f64 v[34:35], v[16:17], s[36:37]
	s_delay_alu instid0(VALU_DEP_2) | instskip(NEXT) | instid1(VALU_DEP_2)
	v_add_f64 v[18:19], v[54:55], v[18:19]
	v_rndne_f64_e32 v[34:35], v[34:35]
	s_delay_alu instid0(VALU_DEP_2) | instskip(NEXT) | instid1(VALU_DEP_1)
	v_mul_f64 v[18:19], v[38:39], v[18:19]
	v_add_f64 v[18:19], v[22:23], v[18:19]
	s_delay_alu instid0(VALU_DEP_3) | instskip(SKIP_1) | instid1(VALU_DEP_3)
	v_fma_f64 v[22:23], v[34:35], s[38:39], -v[16:17]
	v_mad_u64_u32 v[16:17], null, v11, s26, 0
	v_add_f64 v[38:39], v[24:25], v[18:19]
	s_delay_alu instid0(VALU_DEP_3) | instskip(NEXT) | instid1(VALU_DEP_2)
	v_fma_f64 v[22:23], v[34:35], s[40:41], v[22:23]
	v_add_f64 v[40:41], v[36:37], v[38:39]
	v_add_f64 v[24:25], v[38:39], -v[24:25]
	s_delay_alu instid0(VALU_DEP_3) | instskip(SKIP_1) | instid1(VALU_DEP_4)
	v_fma_f64 v[42:43], v[22:23], s[44:45], s[42:43]
	v_add_f64 v[46:47], v[36:37], -v[38:39]
	v_add_f64 v[44:45], v[40:41], -v[36:37]
	s_delay_alu instid0(VALU_DEP_4) | instskip(NEXT) | instid1(VALU_DEP_4)
	v_add_f64 v[18:19], v[18:19], -v[24:25]
	v_fma_f64 v[24:25], v[22:23], v[42:43], s[46:47]
	s_delay_alu instid0(VALU_DEP_4) | instskip(NEXT) | instid1(VALU_DEP_4)
	v_add_f64 v[36:37], v[36:37], -v[46:47]
	v_add_f64 v[42:43], v[38:39], -v[44:45]
	s_delay_alu instid0(VALU_DEP_4) | instskip(NEXT) | instid1(VALU_DEP_4)
	v_add_f64 v[44:45], v[28:29], v[18:19]
	v_fma_f64 v[24:25], v[22:23], v[24:25], s[48:49]
	s_delay_alu instid0(VALU_DEP_4) | instskip(NEXT) | instid1(VALU_DEP_3)
	v_add_f64 v[36:37], v[36:37], -v[38:39]
	v_add_f64 v[42:43], v[44:45], v[42:43]
	s_delay_alu instid0(VALU_DEP_3) | instskip(NEXT) | instid1(VALU_DEP_3)
	v_fma_f64 v[24:25], v[22:23], v[24:25], s[50:51]
	v_add_f64 v[28:29], v[28:29], v[36:37]
	s_delay_alu instid0(VALU_DEP_3) | instskip(NEXT) | instid1(VALU_DEP_3)
	v_add_f64 v[44:45], v[40:41], v[42:43]
	v_fma_f64 v[24:25], v[22:23], v[24:25], s[52:53]
	s_delay_alu instid0(VALU_DEP_3) | instskip(NEXT) | instid1(VALU_DEP_3)
	v_add_f64 v[18:19], v[28:29], -v[18:19]
	v_rcp_f64_e32 v[48:49], v[44:45]
	s_delay_alu instid0(VALU_DEP_2) | instskip(NEXT) | instid1(VALU_DEP_1)
	v_fma_f64 v[24:25], v[22:23], v[24:25], s[54:55]
	v_fma_f64 v[24:25], v[22:23], v[24:25], s[56:57]
	s_waitcnt_depctr 0xfff
	v_fma_f64 v[38:39], -v[44:45], v[48:49], 1.0
	v_fma_f64 v[24:25], v[22:23], v[24:25], s[58:59]
	s_delay_alu instid0(VALU_DEP_2) | instskip(SKIP_2) | instid1(VALU_DEP_4)
	v_fma_f64 v[36:37], v[38:39], v[48:49], v[48:49]
	v_add_f64 v[38:39], v[46:47], v[18:19]
	v_cvt_i32_f64_e32 v48, v[34:35]
	v_fma_f64 v[24:25], v[22:23], v[24:25], s[60:61]
	s_delay_alu instid0(VALU_DEP_4) | instskip(NEXT) | instid1(VALU_DEP_2)
	v_fma_f64 v[28:29], -v[44:45], v[36:37], 1.0
	v_fma_f64 v[24:25], v[22:23], v[24:25], 1.0
	s_delay_alu instid0(VALU_DEP_2) | instskip(NEXT) | instid1(VALU_DEP_2)
	v_fma_f64 v[28:29], v[28:29], v[36:37], v[36:37]
	v_fma_f64 v[22:23], v[22:23], v[24:25], 1.0
	s_delay_alu instid0(VALU_DEP_2) | instskip(SKIP_1) | instid1(VALU_DEP_3)
	v_mul_f64 v[36:37], v[38:39], v[28:29]
	v_add_f64 v[24:25], v[44:45], -v[40:41]
	v_ldexp_f64 v[22:23], v[22:23], v48
	s_delay_alu instid0(VALU_DEP_3) | instskip(NEXT) | instid1(VALU_DEP_3)
	v_mul_f64 v[34:35], v[44:45], v[36:37]
	v_add_f64 v[24:25], v[42:43], -v[24:25]
	s_delay_alu instid0(VALU_DEP_3) | instskip(NEXT) | instid1(VALU_DEP_3)
	v_add_f64 v[22:23], v[22:23], 1.0
	v_fma_f64 v[40:41], v[36:37], v[44:45], -v[34:35]
	s_delay_alu instid0(VALU_DEP_1) | instskip(NEXT) | instid1(VALU_DEP_3)
	v_fma_f64 v[24:25], v[36:37], v[24:25], v[40:41]
	v_div_scale_f64 v[40:41], null, v[22:23], v[22:23], 1.0
	s_delay_alu instid0(VALU_DEP_2) | instskip(NEXT) | instid1(VALU_DEP_2)
	v_add_f64 v[42:43], v[34:35], v[24:25]
	v_rcp_f64_e32 v[44:45], v[40:41]
	s_delay_alu instid0(VALU_DEP_1)
	v_add_f64 v[48:49], v[38:39], -v[42:43]
	v_add_f64 v[34:35], v[42:43], -v[34:35]
	s_waitcnt_depctr 0xfff
	v_fma_f64 v[50:51], -v[40:41], v[44:45], 1.0
	v_add_f64 v[54:55], v[38:39], -v[48:49]
	v_add_f64 v[38:39], v[38:39], -v[46:47]
	;; [unrolled: 1-line block ×3, first 2 shown]
	s_delay_alu instid0(VALU_DEP_4) | instskip(NEXT) | instid1(VALU_DEP_4)
	v_fma_f64 v[44:45], v[44:45], v[50:51], v[44:45]
	v_add_f64 v[34:35], v[54:55], -v[42:43]
	s_delay_alu instid0(VALU_DEP_4) | instskip(NEXT) | instid1(VALU_DEP_3)
	v_add_f64 v[18:19], v[18:19], -v[38:39]
	v_fma_f64 v[42:43], -v[40:41], v[44:45], 1.0
	s_delay_alu instid0(VALU_DEP_3) | instskip(SKIP_1) | instid1(VALU_DEP_3)
	v_add_f64 v[24:25], v[34:35], -v[24:25]
	v_div_scale_f64 v[34:35], vcc_lo, 1.0, v[22:23], 1.0
	v_fma_f64 v[38:39], v[44:45], v[42:43], v[44:45]
	s_delay_alu instid0(VALU_DEP_3) | instskip(NEXT) | instid1(VALU_DEP_2)
	v_add_f64 v[18:19], v[18:19], v[24:25]
	v_mul_f64 v[24:25], v[34:35], v[38:39]
	s_delay_alu instid0(VALU_DEP_2) | instskip(NEXT) | instid1(VALU_DEP_2)
	v_add_f64 v[18:19], v[48:49], v[18:19]
	v_fma_f64 v[34:35], -v[40:41], v[24:25], v[34:35]
	s_delay_alu instid0(VALU_DEP_2) | instskip(SKIP_2) | instid1(VALU_DEP_4)
	v_mul_f64 v[18:19], v[28:29], v[18:19]
	v_mul_lo_u32 v28, v11, s27
	v_mul_lo_u32 v29, v53, s26
	v_div_fmas_f64 v[24:25], v[34:35], v[38:39], v[24:25]
	v_cmp_nlt_f64_e64 vcc_lo, 0x40331000, |v[20:21]|
	v_mul_lo_u32 v34, v12, s27
	v_mul_lo_u32 v35, v52, s26
	;; [unrolled: 1-line block ×3, first 2 shown]
	v_add3_u32 v17, v17, v28, v2
	s_delay_alu instid0(VALU_DEP_1) | instskip(SKIP_4) | instid1(VALU_DEP_4)
	v_lshlrev_b64 v[16:17], 3, v[16:17]
	v_add_f64 v[18:19], v[36:37], v[18:19]
	v_mul_lo_u32 v36, v15, s27
	v_mul_lo_u32 v37, v14, s26
	v_div_fixup_f64 v[22:23], v[24:25], v[22:23], 1.0
	v_cndmask_b32_e32 v19, 0x3ff00000, v19, vcc_lo
	v_cndmask_b32_e32 v18, 0, v18, vcc_lo
	v_cmp_gt_f64_e64 vcc_lo, 0x3e400000, |v[20:21]|
	v_and_b32_e32 v24, 0x7fffffff, v21
	v_cndmask_b32_e64 v23, 0, v23, s0
	s_delay_alu instid0(VALU_DEP_1) | instskip(SKIP_1) | instid1(VALU_DEP_4)
	v_cndmask_b32_e64 v23, 0x3ff00000, v23, s1
	v_cndmask_b32_e32 v11, v18, v20, vcc_lo
	v_cndmask_b32_e32 v24, v19, v24, vcc_lo
	s_and_b32 vcc_lo, s1, s0
	v_mad_u64_u32 v[18:19], null, v12, s26, 0
	v_cndmask_b32_e32 v22, 0, v22, vcc_lo
	s_delay_alu instid0(VALU_DEP_3) | instskip(SKIP_2) | instid1(VALU_DEP_3)
	v_bfi_b32 v12, 0x7fffffff, v24, v21
	v_mad_u64_u32 v[24:25], null, v15, s26, 0
	v_mad_u64_u32 v[14:15], null, v13, s26, 0
	v_mul_f64 v[11:12], v[22:23], v[11:12]
	v_add3_u32 v19, v19, v34, v29
	v_add_co_u32 v3, vcc_lo, v3, s72
	v_add3_u32 v25, v25, v36, v35
	v_add_co_ci_u32_e32 v4, vcc_lo, 0, v4, vcc_lo
	v_add3_u32 v15, v15, v38, v37
	v_lshlrev_b64 v[18:19], 3, v[18:19]
	s_delay_alu instid0(VALU_DEP_4) | instskip(SKIP_1) | instid1(VALU_DEP_4)
	v_lshlrev_b64 v[24:25], 3, v[24:25]
	v_add_co_u32 v5, vcc_lo, v5, s28
	v_lshlrev_b64 v[13:14], 3, v[14:15]
	v_add_co_u32 v15, s0, s24, v16
	s_delay_alu instid0(VALU_DEP_1) | instskip(SKIP_1) | instid1(VALU_DEP_1)
	v_add_co_ci_u32_e64 v16, s0, s25, v17, s0
	v_add_co_u32 v17, s0, s24, v18
	v_add_co_ci_u32_e64 v18, s0, s25, v19, s0
	v_add_co_u32 v24, s0, s24, v24
	s_delay_alu instid0(VALU_DEP_1) | instskip(SKIP_1) | instid1(VALU_DEP_1)
	v_add_co_ci_u32_e64 v25, s0, s25, v25, s0
	v_add_co_u32 v13, s0, s24, v13
	v_add_co_ci_u32_e64 v14, s0, s25, v14, s0
	global_store_b64 v[7:8], v[11:12], off
	global_store_b64 v[9:10], v[20:21], off
	;; [unrolled: 1-line block ×3, first 2 shown]
	v_add_co_u32 v7, s0, v7, s30
	v_add_co_ci_u32_e32 v6, vcc_lo, s29, v6, vcc_lo
	v_cmp_le_i64_e32 vcc_lo, s[6:7], v[3:4]
	v_add_co_ci_u32_e64 v8, s0, s31, v8, s0
	v_add_co_u32 v9, s0, v9, s34
	s_delay_alu instid0(VALU_DEP_1)
	v_add_co_ci_u32_e64 v10, s0, s35, v10, s0
	s_or_b32 s33, vcc_lo, s33
	s_clause 0x2
	global_store_b64 v[17:18], v[32:33], off
	global_store_b64 v[24:25], v[26:27], off
	;; [unrolled: 1-line block ×3, first 2 shown]
	s_and_not1_b32 exec_lo, exec_lo, s33
	s_cbranch_execz .LBB2_9
.LBB2_3:                                ; =>This Inner Loop Header: Depth=1
	v_or_b32_e32 v2, s5, v4
                                        ; implicit-def: $vgpr46_vgpr47
	s_mov_b32 s0, exec_lo
	s_delay_alu instid0(VALU_DEP_1)
	v_cmpx_ne_u64_e32 0, v[1:2]
	s_xor_b32 s1, exec_lo, s0
	s_cbranch_execz .LBB2_5
; %bb.4:                                ;   in Loop: Header=BB2_3 Depth=1
	s_add_u32 s2, s4, s66
	s_mov_b32 s67, s66
	s_addc_u32 s3, s5, s66
	s_delay_alu instid0(SALU_CYCLE_1) | instskip(NEXT) | instid1(SALU_CYCLE_1)
	s_xor_b64 s[2:3], s[2:3], s[66:67]
	v_cvt_f32_u32_e32 v2, s2
	v_cvt_f32_u32_e32 v11, s3
	s_sub_u32 s0, 0, s2
	s_subb_u32 s67, 0, s3
	s_delay_alu instid0(VALU_DEP_1) | instskip(NEXT) | instid1(VALU_DEP_1)
	v_fmac_f32_e32 v2, 0x4f800000, v11
	v_rcp_f32_e32 v2, v2
	s_waitcnt_depctr 0xfff
	v_mul_f32_e32 v2, 0x5f7ffffc, v2
	s_delay_alu instid0(VALU_DEP_1) | instskip(NEXT) | instid1(VALU_DEP_1)
	v_mul_f32_e32 v11, 0x2f800000, v2
	v_trunc_f32_e32 v11, v11
	s_delay_alu instid0(VALU_DEP_1) | instskip(SKIP_1) | instid1(VALU_DEP_2)
	v_fmac_f32_e32 v2, 0xcf800000, v11
	v_cvt_u32_f32_e32 v11, v11
	v_cvt_u32_f32_e32 v2, v2
	s_delay_alu instid0(VALU_DEP_2) | instskip(NEXT) | instid1(VALU_DEP_2)
	v_mul_lo_u32 v12, s0, v11
	v_mul_hi_u32 v13, s0, v2
	v_mul_lo_u32 v14, s67, v2
	s_delay_alu instid0(VALU_DEP_2) | instskip(SKIP_1) | instid1(VALU_DEP_2)
	v_add_nc_u32_e32 v12, v13, v12
	v_mul_lo_u32 v13, s0, v2
	v_add_nc_u32_e32 v12, v12, v14
	s_delay_alu instid0(VALU_DEP_2) | instskip(NEXT) | instid1(VALU_DEP_2)
	v_mul_hi_u32 v14, v2, v13
	v_mul_lo_u32 v15, v2, v12
	v_mul_hi_u32 v16, v2, v12
	v_mul_hi_u32 v17, v11, v13
	v_mul_lo_u32 v13, v11, v13
	v_mul_hi_u32 v18, v11, v12
	v_mul_lo_u32 v12, v11, v12
	v_add_co_u32 v14, vcc_lo, v14, v15
	v_add_co_ci_u32_e32 v15, vcc_lo, 0, v16, vcc_lo
	s_delay_alu instid0(VALU_DEP_2) | instskip(NEXT) | instid1(VALU_DEP_2)
	v_add_co_u32 v13, vcc_lo, v14, v13
	v_add_co_ci_u32_e32 v13, vcc_lo, v15, v17, vcc_lo
	v_add_co_ci_u32_e32 v14, vcc_lo, 0, v18, vcc_lo
	v_ashrrev_i32_e32 v17, 31, v4
	s_delay_alu instid0(VALU_DEP_3) | instskip(NEXT) | instid1(VALU_DEP_3)
	v_add_co_u32 v12, vcc_lo, v13, v12
	v_add_co_ci_u32_e32 v13, vcc_lo, 0, v14, vcc_lo
	s_delay_alu instid0(VALU_DEP_2) | instskip(NEXT) | instid1(VALU_DEP_2)
	v_add_co_u32 v2, vcc_lo, v2, v12
	v_add_co_ci_u32_e32 v11, vcc_lo, v11, v13, vcc_lo
	s_delay_alu instid0(VALU_DEP_2) | instskip(SKIP_1) | instid1(VALU_DEP_3)
	v_mul_hi_u32 v12, s0, v2
	v_mul_lo_u32 v14, s67, v2
	v_mul_lo_u32 v13, s0, v11
	s_delay_alu instid0(VALU_DEP_1) | instskip(SKIP_1) | instid1(VALU_DEP_2)
	v_add_nc_u32_e32 v12, v12, v13
	v_mul_lo_u32 v13, s0, v2
	v_add_nc_u32_e32 v12, v12, v14
	s_delay_alu instid0(VALU_DEP_2) | instskip(NEXT) | instid1(VALU_DEP_2)
	v_mul_hi_u32 v14, v2, v13
	v_mul_lo_u32 v15, v2, v12
	v_mul_hi_u32 v16, v2, v12
	v_mul_hi_u32 v18, v11, v13
	v_mul_lo_u32 v13, v11, v13
	v_mul_hi_u32 v19, v11, v12
	v_mul_lo_u32 v12, v11, v12
	v_add_co_u32 v14, vcc_lo, v14, v15
	v_add_co_ci_u32_e32 v15, vcc_lo, 0, v16, vcc_lo
	s_delay_alu instid0(VALU_DEP_2) | instskip(NEXT) | instid1(VALU_DEP_2)
	v_add_co_u32 v13, vcc_lo, v14, v13
	v_add_co_ci_u32_e32 v13, vcc_lo, v15, v18, vcc_lo
	v_add_co_ci_u32_e32 v14, vcc_lo, 0, v19, vcc_lo
	v_add_co_u32 v15, vcc_lo, v3, v17
	v_add_co_ci_u32_e32 v16, vcc_lo, v4, v17, vcc_lo
	s_delay_alu instid0(VALU_DEP_4) | instskip(NEXT) | instid1(VALU_DEP_4)
	v_add_co_u32 v12, vcc_lo, v13, v12
	v_add_co_ci_u32_e32 v13, vcc_lo, 0, v14, vcc_lo
	s_delay_alu instid0(VALU_DEP_4) | instskip(NEXT) | instid1(VALU_DEP_3)
	v_xor_b32_e32 v18, v15, v17
	v_add_co_u32 v2, vcc_lo, v2, v12
	s_delay_alu instid0(VALU_DEP_3) | instskip(SKIP_1) | instid1(VALU_DEP_3)
	v_add_co_ci_u32_e32 v19, vcc_lo, v11, v13, vcc_lo
	v_xor_b32_e32 v20, v16, v17
	v_mul_hi_u32 v21, v18, v2
	s_delay_alu instid0(VALU_DEP_3) | instskip(NEXT) | instid1(VALU_DEP_3)
	v_mad_u64_u32 v[11:12], null, v18, v19, 0
	v_mad_u64_u32 v[13:14], null, v20, v2, 0
	;; [unrolled: 1-line block ×3, first 2 shown]
	s_delay_alu instid0(VALU_DEP_3) | instskip(NEXT) | instid1(VALU_DEP_4)
	v_add_co_u32 v2, vcc_lo, v21, v11
	v_add_co_ci_u32_e32 v11, vcc_lo, 0, v12, vcc_lo
	s_delay_alu instid0(VALU_DEP_2) | instskip(NEXT) | instid1(VALU_DEP_2)
	v_add_co_u32 v2, vcc_lo, v2, v13
	v_add_co_ci_u32_e32 v2, vcc_lo, v11, v14, vcc_lo
	v_add_co_ci_u32_e32 v11, vcc_lo, 0, v16, vcc_lo
	s_delay_alu instid0(VALU_DEP_2) | instskip(NEXT) | instid1(VALU_DEP_2)
	v_add_co_u32 v2, vcc_lo, v2, v15
	v_add_co_ci_u32_e32 v13, vcc_lo, 0, v11, vcc_lo
	s_delay_alu instid0(VALU_DEP_2) | instskip(SKIP_1) | instid1(VALU_DEP_3)
	v_mul_lo_u32 v14, s3, v2
	v_mad_u64_u32 v[11:12], null, s2, v2, 0
	v_mul_lo_u32 v15, s2, v13
	s_delay_alu instid0(VALU_DEP_2) | instskip(NEXT) | instid1(VALU_DEP_2)
	v_sub_co_u32 v11, vcc_lo, v18, v11
	v_add3_u32 v12, v12, v15, v14
	s_delay_alu instid0(VALU_DEP_1) | instskip(NEXT) | instid1(VALU_DEP_1)
	v_sub_nc_u32_e32 v14, v20, v12
	v_subrev_co_ci_u32_e64 v14, s0, s3, v14, vcc_lo
	v_add_co_u32 v15, s0, v2, 2
	s_delay_alu instid0(VALU_DEP_1) | instskip(SKIP_3) | instid1(VALU_DEP_3)
	v_add_co_ci_u32_e64 v16, s0, 0, v13, s0
	v_sub_co_u32 v18, s0, v11, s2
	v_sub_co_ci_u32_e32 v12, vcc_lo, v20, v12, vcc_lo
	v_subrev_co_ci_u32_e64 v14, s0, 0, v14, s0
	v_cmp_le_u32_e32 vcc_lo, s2, v18
	s_delay_alu instid0(VALU_DEP_3) | instskip(SKIP_1) | instid1(VALU_DEP_4)
	v_cmp_eq_u32_e64 s0, s3, v12
	v_cndmask_b32_e64 v18, 0, -1, vcc_lo
	v_cmp_le_u32_e32 vcc_lo, s3, v14
	v_cndmask_b32_e64 v19, 0, -1, vcc_lo
	v_cmp_le_u32_e32 vcc_lo, s2, v11
	v_cndmask_b32_e64 v11, 0, -1, vcc_lo
	v_cmp_le_u32_e32 vcc_lo, s3, v12
	v_cndmask_b32_e64 v20, 0, -1, vcc_lo
	v_cmp_eq_u32_e32 vcc_lo, s3, v14
	s_delay_alu instid0(VALU_DEP_2) | instskip(SKIP_3) | instid1(VALU_DEP_3)
	v_cndmask_b32_e64 v11, v20, v11, s0
	v_cndmask_b32_e32 v14, v19, v18, vcc_lo
	v_add_co_u32 v18, vcc_lo, v2, 1
	v_add_co_ci_u32_e32 v19, vcc_lo, 0, v13, vcc_lo
	v_cmp_ne_u32_e32 vcc_lo, 0, v14
	s_delay_alu instid0(VALU_DEP_2) | instskip(NEXT) | instid1(VALU_DEP_4)
	v_cndmask_b32_e32 v12, v19, v16, vcc_lo
	v_cndmask_b32_e32 v14, v18, v15, vcc_lo
	v_cmp_ne_u32_e32 vcc_lo, 0, v11
	v_xor_b32_e32 v11, s66, v17
	s_delay_alu instid0(VALU_DEP_3) | instskip(SKIP_1) | instid1(VALU_DEP_2)
	v_cndmask_b32_e32 v2, v2, v14, vcc_lo
	v_cndmask_b32_e32 v12, v13, v12, vcc_lo
	v_xor_b32_e32 v2, v2, v11
	s_delay_alu instid0(VALU_DEP_2) | instskip(NEXT) | instid1(VALU_DEP_2)
	v_xor_b32_e32 v12, v12, v11
	v_sub_co_u32 v46, vcc_lo, v2, v11
	s_delay_alu instid0(VALU_DEP_2)
	v_sub_co_ci_u32_e32 v47, vcc_lo, v12, v11, vcc_lo
.LBB2_5:                                ;   in Loop: Header=BB2_3 Depth=1
	s_and_not1_saveexec_b32 s0, s1
	s_cbranch_execz .LBB2_7
; %bb.6:                                ;   in Loop: Header=BB2_3 Depth=1
	s_sub_i32 s1, 0, s4
	v_mov_b32_e32 v47, v1
	v_mul_lo_u32 v2, s1, v0
	s_delay_alu instid0(VALU_DEP_1) | instskip(NEXT) | instid1(VALU_DEP_1)
	v_mul_hi_u32 v2, v0, v2
	v_add_nc_u32_e32 v2, v0, v2
	s_delay_alu instid0(VALU_DEP_1) | instskip(NEXT) | instid1(VALU_DEP_1)
	v_mul_hi_u32 v2, v3, v2
	v_mul_lo_u32 v11, v2, s4
	v_add_nc_u32_e32 v12, 1, v2
	s_delay_alu instid0(VALU_DEP_2) | instskip(NEXT) | instid1(VALU_DEP_1)
	v_sub_nc_u32_e32 v11, v3, v11
	v_subrev_nc_u32_e32 v13, s4, v11
	v_cmp_le_u32_e32 vcc_lo, s4, v11
	s_delay_alu instid0(VALU_DEP_2) | instskip(NEXT) | instid1(VALU_DEP_1)
	v_dual_cndmask_b32 v11, v11, v13 :: v_dual_cndmask_b32 v2, v2, v12
	v_cmp_le_u32_e32 vcc_lo, s4, v11
	s_delay_alu instid0(VALU_DEP_2) | instskip(NEXT) | instid1(VALU_DEP_1)
	v_add_nc_u32_e32 v12, 1, v2
	v_cndmask_b32_e32 v46, v2, v12, vcc_lo
.LBB2_7:                                ;   in Loop: Header=BB2_3 Depth=1
	s_or_b32 exec_lo, exec_lo, s0
	s_delay_alu instid0(VALU_DEP_1) | instskip(SKIP_3) | instid1(VALU_DEP_4)
	v_mad_u64_u32 v[14:15], null, v46, 3, 0
	v_mad_u64_u32 v[11:12], null, s75, v46, v[3:4]
	v_mul_lo_u32 v2, s75, v47
	v_mul_lo_u32 v16, s74, v46
	v_mov_b32_e32 v13, v15
	s_delay_alu instid0(VALU_DEP_4) | instskip(SKIP_1) | instid1(VALU_DEP_4)
	v_mad_u64_u32 v[17:18], null, v11, s12, 0
	v_mul_lo_u32 v28, v11, s17
	v_add3_u32 v2, v16, v12, v2
	s_delay_alu instid0(VALU_DEP_4) | instskip(SKIP_1) | instid1(VALU_DEP_3)
	v_mad_u64_u32 v[15:16], null, v47, 3, v[13:14]
	v_mul_lo_u32 v12, v11, s13
	v_mul_lo_u32 v13, v2, s12
	;; [unrolled: 1-line block ×3, first 2 shown]
	s_delay_alu instid0(VALU_DEP_4) | instskip(SKIP_1) | instid1(VALU_DEP_4)
	v_mov_b32_e32 v19, v15
	v_add_co_u32 v15, vcc_lo, v14, 1
	v_add3_u32 v18, v18, v12, v13
	s_delay_alu instid0(VALU_DEP_3) | instskip(SKIP_4) | instid1(VALU_DEP_4)
	v_add_co_ci_u32_e32 v16, vcc_lo, 0, v19, vcc_lo
	v_add_co_u32 v21, vcc_lo, v14, 2
	v_add_co_ci_u32_e32 v22, vcc_lo, 0, v19, vcc_lo
	v_mul_lo_u32 v20, s5, v15
	v_mad_u64_u32 v[12:13], null, s4, v15, v[3:4]
	v_mul_lo_u32 v23, s5, v21
	v_mul_lo_u32 v24, s4, v16
	v_mad_u64_u32 v[15:16], null, s4, v21, v[3:4]
	v_mul_lo_u32 v21, s4, v22
	v_add_co_u32 v25, vcc_lo, v14, 3
	v_add_co_ci_u32_e32 v19, vcc_lo, 0, v19, vcc_lo
	v_add3_u32 v53, v20, v13, v24
	s_delay_alu instid0(VALU_DEP_3) | instskip(SKIP_1) | instid1(VALU_DEP_4)
	v_mul_lo_u32 v26, s5, v25
	v_mad_u64_u32 v[13:14], null, s4, v25, v[3:4]
	v_mul_lo_u32 v24, s4, v19
	v_add3_u32 v52, v23, v16, v21
	v_mul_lo_u32 v25, v12, s13
	v_mul_lo_u32 v16, v53, s12
	v_mad_u64_u32 v[19:20], null, v12, s12, 0
	v_mul_lo_u32 v23, v15, s13
	v_mad_u64_u32 v[21:22], null, v15, s12, 0
	v_mul_lo_u32 v27, v52, s12
	v_add3_u32 v14, v26, v14, v24
	v_mul_lo_u32 v30, v53, s16
	v_add3_u32 v20, v20, v25, v16
	v_mul_lo_u32 v25, v13, s13
	v_lshlrev_b64 v[16:17], 3, v[17:18]
	v_mul_lo_u32 v26, v14, s12
	v_mul_lo_u32 v31, v12, s17
	v_add3_u32 v22, v22, v23, v27
	v_mad_u64_u32 v[23:24], null, v13, s12, 0
	v_lshlrev_b64 v[18:19], 3, v[19:20]
	v_add_co_u32 v16, vcc_lo, s10, v16
	s_delay_alu instid0(VALU_DEP_4)
	v_lshlrev_b64 v[20:21], 3, v[21:22]
	v_mul_lo_u32 v32, v52, s16
	v_mul_lo_u32 v33, v15, s17
	v_add3_u32 v24, v24, v25, v26
	v_mad_u64_u32 v[26:27], null, v12, s16, 0
	v_add_co_ci_u32_e32 v17, vcc_lo, s11, v17, vcc_lo
	s_delay_alu instid0(VALU_DEP_3)
	v_lshlrev_b64 v[22:23], 3, v[23:24]
	v_mad_u64_u32 v[24:25], null, v11, s16, 0
	v_add_co_u32 v18, vcc_lo, s10, v18
	v_add3_u32 v27, v27, v31, v30
	v_mul_lo_u32 v34, v14, s16
	v_mul_lo_u32 v35, v13, s17
	v_mad_u64_u32 v[30:31], null, v13, s16, 0
	v_add3_u32 v25, v25, v28, v29
	v_mad_u64_u32 v[28:29], null, v15, s16, 0
	v_add_co_ci_u32_e32 v19, vcc_lo, s11, v19, vcc_lo
	v_add_co_u32 v20, vcc_lo, s10, v20
	s_delay_alu instid0(VALU_DEP_4)
	v_lshlrev_b64 v[24:25], 3, v[24:25]
	v_add_co_ci_u32_e32 v21, vcc_lo, s11, v21, vcc_lo
	v_add_co_u32 v22, vcc_lo, s10, v22
	v_lshlrev_b64 v[26:27], 3, v[26:27]
	v_add3_u32 v29, v29, v33, v32
	v_add_co_ci_u32_e32 v23, vcc_lo, s11, v23, vcc_lo
	v_add_co_u32 v24, vcc_lo, s14, v24
	v_add3_u32 v31, v31, v35, v34
	v_add_co_ci_u32_e32 v25, vcc_lo, s15, v25, vcc_lo
	v_lshlrev_b64 v[28:29], 3, v[28:29]
	v_add_co_u32 v32, vcc_lo, s14, v26
	v_add_co_ci_u32_e32 v33, vcc_lo, s15, v27, vcc_lo
	v_lshlrev_b64 v[26:27], 3, v[30:31]
	s_delay_alu instid0(VALU_DEP_4) | instskip(SKIP_1) | instid1(VALU_DEP_3)
	v_add_co_u32 v36, vcc_lo, s14, v28
	v_add_co_ci_u32_e32 v37, vcc_lo, s15, v29, vcc_lo
	v_add_co_u32 v38, vcc_lo, s14, v26
	s_delay_alu instid0(VALU_DEP_4)
	v_add_co_ci_u32_e32 v39, vcc_lo, s15, v27, vcc_lo
	s_clause 0x3
	global_load_b64 v[26:27], v[16:17], off
	global_load_b64 v[28:29], v[18:19], off
	;; [unrolled: 1-line block ×4, first 2 shown]
	s_clause 0x3
	global_load_b64 v[30:31], v[24:25], off
	global_load_b64 v[32:33], v[32:33], off
	global_load_b64 v[36:37], v[36:37], off
	global_load_b64 v[18:19], v[38:39], off
	global_load_b64 v[20:21], v[5:6], off
	v_mov_b32_e32 v38, 0
	v_mov_b32_e32 v39, 0
	s_delay_alu instid0(VALU_DEP_2) | instskip(SKIP_2) | instid1(VALU_DEP_3)
	v_mov_b32_e32 v22, v38
	v_mov_b32_e32 v24, v38
	s_and_not1_b32 vcc_lo, exec_lo, s73
	v_mov_b32_e32 v49, v39
	v_mov_b32_e32 v41, v39
	;; [unrolled: 1-line block ×4, first 2 shown]
	v_dual_mov_b32 v45, v39 :: v_dual_mov_b32 v44, v38
	v_dual_mov_b32 v48, v38 :: v_dual_mov_b32 v23, v39
	;; [unrolled: 1-line block ×3, first 2 shown]
	v_mov_b32_e32 v50, v38
	v_mov_b32_e32 v42, v38
	s_cbranch_vccnz .LBB2_2
; %bb.8:                                ;   in Loop: Header=BB2_3 Depth=1
	v_sub_co_u32 v38, vcc_lo, 1, v46
	v_sub_co_ci_u32_e32 v24, vcc_lo, 0, v47, vcc_lo
	v_mad_u64_u32 v[22:23], null, s76, v46, v[3:4]
	s_delay_alu instid0(VALU_DEP_3) | instskip(NEXT) | instid1(VALU_DEP_3)
	v_mul_lo_u32 v42, s5, v38
	v_mul_lo_u32 v41, s4, v24
	v_mad_u64_u32 v[24:25], null, s4, v38, v[3:4]
	v_mul_lo_u32 v39, s76, v47
	v_mul_lo_u32 v40, s77, v46
	;; [unrolled: 1-line block ×3, first 2 shown]
	s_delay_alu instid0(VALU_DEP_4) | instskip(SKIP_1) | instid1(VALU_DEP_4)
	v_add3_u32 v25, v42, v25, v41
	v_sub_co_u32 v42, vcc_lo, 2, v46
	v_add3_u32 v23, v40, v23, v39
	v_sub_co_ci_u32_e32 v40, vcc_lo, 0, v47, vcc_lo
	s_delay_alu instid0(VALU_DEP_3) | instskip(SKIP_1) | instid1(VALU_DEP_3)
	v_mul_lo_u32 v45, s5, v42
	v_sub_co_u32 v46, vcc_lo, 3, v46
	v_mul_lo_u32 v44, s4, v40
	v_mad_u64_u32 v[40:41], null, s4, v42, v[3:4]
	v_sub_co_ci_u32_e32 v47, vcc_lo, 0, v47, vcc_lo
	v_mul_lo_u32 v49, v23, s18
	v_mad_u64_u32 v[38:39], null, v22, s18, 0
	v_mul_lo_u32 v50, v25, s18
	v_mul_lo_u32 v51, v24, s19
	v_mad_u64_u32 v[42:43], null, v24, s18, 0
	v_add3_u32 v54, v45, v41, v44
	v_mul_lo_u32 v41, s4, v47
	v_mul_lo_u32 v55, s5, v46
	v_mad_u64_u32 v[44:45], null, s4, v46, v[3:4]
	s_delay_alu instid0(VALU_DEP_4)
	v_mul_lo_u32 v56, v54, s18
	v_mul_lo_u32 v57, v40, s19
	v_mad_u64_u32 v[46:47], null, v40, s18, 0
	v_add3_u32 v39, v39, v48, v49
	v_add3_u32 v43, v43, v51, v50
	;; [unrolled: 1-line block ×3, first 2 shown]
	v_mul_lo_u32 v50, v44, s19
	v_mad_u64_u32 v[48:49], null, v44, s18, 0
	v_lshlrev_b64 v[38:39], 3, v[38:39]
	v_lshlrev_b64 v[41:42], 3, v[42:43]
	v_add3_u32 v47, v47, v57, v56
	v_mul_lo_u32 v43, v55, s18
	v_mul_lo_u32 v56, v25, s22
	;; [unrolled: 1-line block ×3, first 2 shown]
	v_add_co_u32 v38, vcc_lo, s8, v38
	v_lshlrev_b64 v[45:46], 3, v[46:47]
	v_add_co_ci_u32_e32 v39, vcc_lo, s9, v39, vcc_lo
	v_add_co_u32 v41, vcc_lo, s8, v41
	v_add3_u32 v49, v49, v50, v43
	v_add_co_ci_u32_e32 v42, vcc_lo, s9, v42, vcc_lo
	v_add_co_u32 v50, vcc_lo, s8, v45
	v_add_co_ci_u32_e32 v51, vcc_lo, s9, v46, vcc_lo
	s_delay_alu instid0(VALU_DEP_4)
	v_lshlrev_b64 v[45:46], 3, v[48:49]
	v_mul_lo_u32 v43, v22, s23
	v_mul_lo_u32 v49, v23, s22
	v_mad_u64_u32 v[47:48], null, v22, s22, 0
	v_mad_u64_u32 v[22:23], null, v24, s22, 0
	v_add_co_u32 v24, vcc_lo, s8, v45
	v_add_co_ci_u32_e32 v25, vcc_lo, s9, v46, vcc_lo
	s_delay_alu instid0(VALU_DEP_4)
	v_add3_u32 v48, v48, v43, v49
	v_mul_lo_u32 v43, v54, s22
	v_mul_lo_u32 v49, v40, s23
	v_mad_u64_u32 v[45:46], null, v40, s22, 0
	v_add3_u32 v23, v23, v57, v56
	v_mul_lo_u32 v40, v55, s22
	v_mul_lo_u32 v56, v44, s23
	v_mad_u64_u32 v[54:55], null, v44, s22, 0
	v_lshlrev_b64 v[47:48], 3, v[47:48]
	v_add3_u32 v46, v46, v49, v43
	v_lshlrev_b64 v[22:23], 3, v[22:23]
	s_delay_alu instid0(VALU_DEP_4) | instskip(NEXT) | instid1(VALU_DEP_4)
	v_add3_u32 v55, v55, v56, v40
	v_add_co_u32 v47, vcc_lo, s20, v47
	s_delay_alu instid0(VALU_DEP_4)
	v_lshlrev_b64 v[43:44], 3, v[45:46]
	v_add_co_ci_u32_e32 v48, vcc_lo, s21, v48, vcc_lo
	v_add_co_u32 v22, vcc_lo, s20, v22
	v_lshlrev_b64 v[45:46], 3, v[54:55]
	v_add_co_ci_u32_e32 v23, vcc_lo, s21, v23, vcc_lo
	v_add_co_u32 v54, vcc_lo, s20, v43
	v_add_co_ci_u32_e32 v55, vcc_lo, s21, v44, vcc_lo
	s_delay_alu instid0(VALU_DEP_4)
	v_add_co_u32 v56, vcc_lo, s20, v45
	v_add_co_ci_u32_e32 v57, vcc_lo, s21, v46, vcc_lo
	s_clause 0x3
	global_load_b64 v[44:45], v[38:39], off
	global_load_b64 v[42:43], v[41:42], off
	;; [unrolled: 1-line block ×4, first 2 shown]
	s_clause 0x3
	global_load_b64 v[40:41], v[47:48], off
	global_load_b64 v[38:39], v[22:23], off
	;; [unrolled: 1-line block ×4, first 2 shown]
	s_branch .LBB2_2
.LBB2_9:
	s_nop 0
	s_sendmsg sendmsg(MSG_DEALLOC_VGPRS)
	s_endpgm
	.section	.rodata,"a",@progbits
	.p2align	6, 0x0
	.amdhsa_kernel _ZN2at6native12_GLOBAL__N_16kernel17lstm_cell_forwardIddlLi1EEEvNS_4cuda6detail10TensorInfoIT_T1_EES9_S9_S9_S9_S9_S9_S9_S8_S8_
		.amdhsa_group_segment_fixed_size 0
		.amdhsa_private_segment_fixed_size 0
		.amdhsa_kernarg_size 3600
		.amdhsa_user_sgpr_count 15
		.amdhsa_user_sgpr_dispatch_ptr 0
		.amdhsa_user_sgpr_queue_ptr 0
		.amdhsa_user_sgpr_kernarg_segment_ptr 1
		.amdhsa_user_sgpr_dispatch_id 0
		.amdhsa_user_sgpr_private_segment_size 0
		.amdhsa_wavefront_size32 1
		.amdhsa_uses_dynamic_stack 0
		.amdhsa_enable_private_segment 0
		.amdhsa_system_sgpr_workgroup_id_x 1
		.amdhsa_system_sgpr_workgroup_id_y 0
		.amdhsa_system_sgpr_workgroup_id_z 0
		.amdhsa_system_sgpr_workgroup_info 0
		.amdhsa_system_vgpr_workitem_id 0
		.amdhsa_next_free_vgpr 70
		.amdhsa_next_free_sgpr 78
		.amdhsa_reserve_vcc 1
		.amdhsa_float_round_mode_32 0
		.amdhsa_float_round_mode_16_64 0
		.amdhsa_float_denorm_mode_32 3
		.amdhsa_float_denorm_mode_16_64 3
		.amdhsa_dx10_clamp 1
		.amdhsa_ieee_mode 1
		.amdhsa_fp16_overflow 0
		.amdhsa_workgroup_processor_mode 1
		.amdhsa_memory_ordered 1
		.amdhsa_forward_progress 0
		.amdhsa_shared_vgpr_count 0
		.amdhsa_exception_fp_ieee_invalid_op 0
		.amdhsa_exception_fp_denorm_src 0
		.amdhsa_exception_fp_ieee_div_zero 0
		.amdhsa_exception_fp_ieee_overflow 0
		.amdhsa_exception_fp_ieee_underflow 0
		.amdhsa_exception_fp_ieee_inexact 0
		.amdhsa_exception_int_div_zero 0
	.end_amdhsa_kernel
	.section	.text._ZN2at6native12_GLOBAL__N_16kernel17lstm_cell_forwardIddlLi1EEEvNS_4cuda6detail10TensorInfoIT_T1_EES9_S9_S9_S9_S9_S9_S9_S8_S8_,"axG",@progbits,_ZN2at6native12_GLOBAL__N_16kernel17lstm_cell_forwardIddlLi1EEEvNS_4cuda6detail10TensorInfoIT_T1_EES9_S9_S9_S9_S9_S9_S9_S8_S8_,comdat
.Lfunc_end2:
	.size	_ZN2at6native12_GLOBAL__N_16kernel17lstm_cell_forwardIddlLi1EEEvNS_4cuda6detail10TensorInfoIT_T1_EES9_S9_S9_S9_S9_S9_S9_S8_S8_, .Lfunc_end2-_ZN2at6native12_GLOBAL__N_16kernel17lstm_cell_forwardIddlLi1EEEvNS_4cuda6detail10TensorInfoIT_T1_EES9_S9_S9_S9_S9_S9_S9_S8_S8_
                                        ; -- End function
	.section	.AMDGPU.csdata,"",@progbits
; Kernel info:
; codeLenInByte = 7460
; NumSgprs: 80
; NumVgprs: 70
; ScratchSize: 0
; MemoryBound: 0
; FloatMode: 240
; IeeeMode: 1
; LDSByteSize: 0 bytes/workgroup (compile time only)
; SGPRBlocks: 9
; VGPRBlocks: 8
; NumSGPRsForWavesPerEU: 80
; NumVGPRsForWavesPerEU: 70
; Occupancy: 16
; WaveLimiterHint : 1
; COMPUTE_PGM_RSRC2:SCRATCH_EN: 0
; COMPUTE_PGM_RSRC2:USER_SGPR: 15
; COMPUTE_PGM_RSRC2:TRAP_HANDLER: 0
; COMPUTE_PGM_RSRC2:TGID_X_EN: 1
; COMPUTE_PGM_RSRC2:TGID_Y_EN: 0
; COMPUTE_PGM_RSRC2:TGID_Z_EN: 0
; COMPUTE_PGM_RSRC2:TIDIG_COMP_CNT: 0
	.section	.text._ZN2at6native12_GLOBAL__N_16kernel17lstm_cell_forwardIddlLi2EEEvNS_4cuda6detail10TensorInfoIT_T1_EES9_S9_S9_S9_S9_S9_S9_S8_S8_,"axG",@progbits,_ZN2at6native12_GLOBAL__N_16kernel17lstm_cell_forwardIddlLi2EEEvNS_4cuda6detail10TensorInfoIT_T1_EES9_S9_S9_S9_S9_S9_S9_S8_S8_,comdat
	.globl	_ZN2at6native12_GLOBAL__N_16kernel17lstm_cell_forwardIddlLi2EEEvNS_4cuda6detail10TensorInfoIT_T1_EES9_S9_S9_S9_S9_S9_S9_S8_S8_ ; -- Begin function _ZN2at6native12_GLOBAL__N_16kernel17lstm_cell_forwardIddlLi2EEEvNS_4cuda6detail10TensorInfoIT_T1_EES9_S9_S9_S9_S9_S9_S9_S8_S8_
	.p2align	8
	.type	_ZN2at6native12_GLOBAL__N_16kernel17lstm_cell_forwardIddlLi2EEEvNS_4cuda6detail10TensorInfoIT_T1_EES9_S9_S9_S9_S9_S9_S9_S8_S8_,@function
_ZN2at6native12_GLOBAL__N_16kernel17lstm_cell_forwardIddlLi2EEEvNS_4cuda6detail10TensorInfoIT_T1_EES9_S9_S9_S9_S9_S9_S9_S8_S8_: ; @_ZN2at6native12_GLOBAL__N_16kernel17lstm_cell_forwardIddlLi2EEEvNS_4cuda6detail10TensorInfoIT_T1_EES9_S9_S9_S9_S9_S9_S9_S8_S8_
; %bb.0:
	s_clause 0x1
	s_load_b32 s8, s[0:1], 0xd1c
	s_load_b128 s[4:7], s[0:1], 0xd00
	v_mov_b32_e32 v1, 0
	s_add_u32 s2, s0, 0xd10
	s_addc_u32 s3, s1, 0
	s_waitcnt lgkmcnt(0)
	s_and_b32 s50, s8, 0xffff
	s_mov_b32 s8, exec_lo
	v_mad_u64_u32 v[3:4], null, s15, s50, v[0:1]
	v_mov_b32_e32 v4, v1
	s_delay_alu instid0(VALU_DEP_1)
	v_cmpx_gt_i64_e64 s[6:7], v[3:4]
	s_cbranch_execz .LBB3_69
; %bb.1:
	s_clause 0x4
	s_load_b64 s[34:35], s[0:1], 0x340
	s_load_b64 s[36:37], s[0:1], 0x0
	s_load_b64 s[38:39], s[0:1], 0x10
	s_load_b128 s[8:11], s[0:1], 0xd0
	s_load_b64 s[40:41], s[0:1], 0x1a0
	s_load_b32 s2, s[2:3], 0x0
	s_clause 0x5
	s_load_b64 s[42:43], s[0:1], 0x1b0
	s_load_b128 s[12:15], s[0:1], 0x270
	s_load_b64 s[44:45], s[0:1], 0x410
	s_load_b64 s[46:47], s[0:1], 0x4e0
	;; [unrolled: 1-line block ×4, first 2 shown]
                                        ; implicit-def: $vgpr67 : SGPR spill to VGPR lane
	v_cvt_f32_u32_e32 v0, s4
	s_mov_b32 s66, 0x652b82fe
	s_mov_b32 s68, 0xfefa39ef
	;; [unrolled: 1-line block ×4, first 2 shown]
	v_rcp_iflag_f32_e32 v0, v0
	s_mov_b32 s74, 0x6a5dcb37
	s_mov_b32 s76, 0x623fde64
	s_waitcnt lgkmcnt(0)
	s_cmp_lg_u64 s[34:35], 0
	s_mov_b32 s78, 0x7c89e6b0
	s_cselect_b32 s33, -1, 0
	s_mov_b32 s80, 0x14761f6e
	s_mov_b32 s82, 0x1852b7b0
	;; [unrolled: 1-line block ×4, first 2 shown]
	s_waitcnt_depctr 0xfff
	v_mul_f32_e32 v0, 0x4f7ffffe, v0
	s_mov_b32 s88, 0x55555511
	s_mov_b32 s90, 11
	;; [unrolled: 1-line block ×3, first 2 shown]
	v_writelane_b32 v67, s16, 0
	v_cvt_u32_f32_e32 v0, v0
	s_mov_b32 s94, 0xf97b57a0
	s_mov_b32 s103, 0
	s_mul_i32 vcc_hi, s4, 3
	v_writelane_b32 v67, s17, 1
	s_clause 0x2
	s_load_b64 s[52:53], s[0:1], 0x690
	s_load_b128 s[16:19], s[0:1], 0x750
	s_load_b64 s[20:21], s[0:1], 0x820
	s_mov_b32 s67, 0xbff71547
	s_mov_b32 s69, 0xbfe62e42
	;; [unrolled: 1-line block ×17, first 2 shown]
	s_waitcnt lgkmcnt(0)
	v_writelane_b32 v67, s20, 2
	v_writelane_b32 v67, s21, 3
	s_clause 0x1
	s_load_b64 s[56:57], s[0:1], 0x830
	s_load_b64 s[20:21], s[0:1], 0x9c0
	s_waitcnt lgkmcnt(0)
	v_writelane_b32 v67, s20, 4
	v_writelane_b32 v67, s21, 5
	s_clause 0x5
	s_load_b64 s[60:61], s[0:1], 0x9d0
	s_load_b128 s[20:23], s[0:1], 0x8f0
	s_load_b128 s[24:27], s[0:1], 0xa90
	s_load_b64 s[62:63], s[0:1], 0xb60
	s_load_b64 s[64:65], s[0:1], 0xb70
	s_load_b128 s[28:31], s[0:1], 0xc30
	s_mul_i32 s0, s2, s50
	s_mul_hi_u32 s1, s4, 3
	v_writelane_b32 v67, s0, 6
	s_mul_i32 s0, s5, 3
	s_delay_alu instid0(SALU_CYCLE_1)
	s_add_i32 s104, s1, s0
	s_sub_u32 s102, 0, s4
	s_subb_u32 s0, 0, s5
	s_sub_u32 s50, 0, s52
	s_subb_u32 s51, 0, s53
	;; [unrolled: 2-line block ×3, first 2 shown]
	v_writelane_b32 v67, s0, 7
	s_waitcnt lgkmcnt(0)
	s_sub_u32 s58, 0, s60
	s_subb_u32 s59, 0, s61
	s_branch .LBB3_3
.LBB3_2:                                ;   in Loop: Header=BB3_3 Depth=1
	s_waitcnt vmcnt(2)
	v_add_f64 v[15:16], v[21:22], v[35:36]
	s_mov_b32 s96, s66
	s_mov_b32 s99, s69
	v_add_f64 v[13:14], v[13:14], v[23:24]
	v_add_f64 v[17:18], v[17:18], v[25:26]
	s_delay_alu instid0(VALU_DEP_3) | instskip(NEXT) | instid1(VALU_DEP_3)
	v_add_f64 v[15:16], v[15:16], v[55:56]
	v_add_f64 v[13:14], v[13:14], v[61:62]
	s_delay_alu instid0(VALU_DEP_3) | instskip(SKIP_1) | instid1(VALU_DEP_3)
	v_add_f64 v[17:18], v[17:18], v[51:52]
	s_waitcnt vmcnt(1)
	v_add_f64 v[15:16], v[53:54], v[15:16]
	s_delay_alu instid0(VALU_DEP_3) | instskip(NEXT) | instid1(VALU_DEP_3)
	v_add_f64 v[13:14], v[59:60], v[13:14]
	v_add_f64 v[25:26], v[49:50], v[17:18]
	s_delay_alu instid0(VALU_DEP_3) | instskip(NEXT) | instid1(VALU_DEP_3)
	v_mul_f64 v[21:22], |v[15:16]|, s[96:97]
	v_mul_f64 v[23:24], v[13:14], s[66:67]
	s_delay_alu instid0(VALU_DEP_3)
	v_mul_f64 v[17:18], v[25:26], s[66:67]
	v_cmp_nlt_f64_e64 s0, 0x4090cc00, v[13:14]
	v_cmp_ngt_f64_e64 s1, 0xc0900000, v[25:26]
	v_cmp_nlt_f64_e64 s2, 0x4090cc00, v[25:26]
	v_rndne_f64_e32 v[21:22], v[21:22]
	v_rndne_f64_e32 v[23:24], v[23:24]
	;; [unrolled: 1-line block ×3, first 2 shown]
	s_delay_alu instid0(VALU_DEP_3) | instskip(SKIP_1) | instid1(VALU_DEP_4)
	v_fma_f64 v[35:36], v[21:22], s[98:99], |v[15:16]|
	v_mul_f64 v[55:56], v[21:22], s[92:93]
	v_fma_f64 v[59:60], v[23:24], s[68:69], -v[13:14]
	s_delay_alu instid0(VALU_DEP_4) | instskip(SKIP_2) | instid1(VALU_DEP_4)
	v_fma_f64 v[49:50], v[17:18], s[68:69], -v[25:26]
	v_cvt_i32_f64_e32 v2, v[23:24]
	v_add_f64 v[53:54], v[35:36], 0
	v_fma_f64 v[59:60], v[23:24], s[70:71], v[59:60]
	s_delay_alu instid0(VALU_DEP_4) | instskip(NEXT) | instid1(VALU_DEP_3)
	v_fma_f64 v[49:50], v[17:18], s[70:71], v[49:50]
	v_add_f64 v[57:58], v[53:54], -v[55:56]
	v_add_f64 v[35:36], v[35:36], -v[53:54]
	s_delay_alu instid0(VALU_DEP_4) | instskip(NEXT) | instid1(VALU_DEP_4)
	v_fma_f64 v[61:62], v[59:60], s[74:75], s[72:73]
	v_fma_f64 v[51:52], v[49:50], s[74:75], s[72:73]
	s_delay_alu instid0(VALU_DEP_4) | instskip(NEXT) | instid1(VALU_DEP_4)
	v_add_f64 v[53:54], v[53:54], -v[57:58]
	v_add_f64 v[35:36], v[35:36], 0
	s_delay_alu instid0(VALU_DEP_4) | instskip(NEXT) | instid1(VALU_DEP_4)
	v_fma_f64 v[61:62], v[59:60], v[61:62], s[76:77]
	v_fma_f64 v[51:52], v[49:50], v[51:52], s[76:77]
	s_delay_alu instid0(VALU_DEP_4) | instskip(NEXT) | instid1(VALU_DEP_3)
	v_add_f64 v[53:54], v[53:54], -v[55:56]
	v_fma_f64 v[61:62], v[59:60], v[61:62], s[78:79]
	s_delay_alu instid0(VALU_DEP_3) | instskip(NEXT) | instid1(VALU_DEP_3)
	v_fma_f64 v[51:52], v[49:50], v[51:52], s[78:79]
	v_add_f64 v[35:36], v[35:36], v[53:54]
	s_delay_alu instid0(VALU_DEP_3) | instskip(NEXT) | instid1(VALU_DEP_3)
	v_fma_f64 v[61:62], v[59:60], v[61:62], s[80:81]
	v_fma_f64 v[51:52], v[49:50], v[51:52], s[80:81]
	s_delay_alu instid0(VALU_DEP_3) | instskip(NEXT) | instid1(VALU_DEP_3)
	v_add_f64 v[53:54], v[57:58], v[35:36]
	v_fma_f64 v[61:62], v[59:60], v[61:62], s[82:83]
	s_delay_alu instid0(VALU_DEP_3) | instskip(NEXT) | instid1(VALU_DEP_3)
	v_fma_f64 v[51:52], v[49:50], v[51:52], s[82:83]
	v_add_f64 v[55:56], v[57:58], -v[53:54]
	s_delay_alu instid0(VALU_DEP_3) | instskip(NEXT) | instid1(VALU_DEP_3)
	v_fma_f64 v[61:62], v[59:60], v[61:62], s[84:85]
	v_fma_f64 v[51:52], v[49:50], v[51:52], s[84:85]
	s_delay_alu instid0(VALU_DEP_3) | instskip(SKIP_1) | instid1(VALU_DEP_4)
	v_add_f64 v[35:36], v[35:36], v[55:56]
	v_mul_f64 v[55:56], v[21:22], s[94:95]
	v_fma_f64 v[61:62], v[59:60], v[61:62], s[86:87]
	s_delay_alu instid0(VALU_DEP_4) | instskip(NEXT) | instid1(VALU_DEP_3)
	v_fma_f64 v[51:52], v[49:50], v[51:52], s[86:87]
	v_add_f64 v[57:58], v[53:54], -v[55:56]
	s_delay_alu instid0(VALU_DEP_3) | instskip(NEXT) | instid1(VALU_DEP_3)
	v_fma_f64 v[61:62], v[59:60], v[61:62], s[88:89]
	v_fma_f64 v[51:52], v[49:50], v[51:52], s[88:89]
	s_delay_alu instid0(VALU_DEP_3) | instskip(NEXT) | instid1(VALU_DEP_3)
	v_add_f64 v[53:54], v[53:54], -v[57:58]
	v_fma_f64 v[61:62], v[59:60], v[61:62], s[90:91]
	s_delay_alu instid0(VALU_DEP_3) | instskip(NEXT) | instid1(VALU_DEP_3)
	v_fma_f64 v[51:52], v[49:50], v[51:52], s[90:91]
	v_add_f64 v[53:54], v[53:54], -v[55:56]
	s_delay_alu instid0(VALU_DEP_3) | instskip(NEXT) | instid1(VALU_DEP_3)
	v_fma_f64 v[61:62], v[59:60], v[61:62], 1.0
	v_fma_f64 v[51:52], v[49:50], v[51:52], 1.0
	s_delay_alu instid0(VALU_DEP_3) | instskip(NEXT) | instid1(VALU_DEP_3)
	v_add_f64 v[53:54], v[35:36], v[53:54]
	v_fma_f64 v[59:60], v[59:60], v[61:62], 1.0
	s_delay_alu instid0(VALU_DEP_3) | instskip(NEXT) | instid1(VALU_DEP_3)
	v_fma_f64 v[49:50], v[49:50], v[51:52], 1.0
	v_add_f64 v[35:36], v[57:58], v[53:54]
	s_delay_alu instid0(VALU_DEP_3) | instskip(SKIP_1) | instid1(VALU_DEP_3)
	v_ldexp_f64 v[23:24], v[59:60], v2
	v_cvt_i32_f64_e32 v2, v[17:18]
	v_add_f64 v[55:56], v[57:58], -v[35:36]
	s_delay_alu instid0(VALU_DEP_3) | instskip(NEXT) | instid1(VALU_DEP_3)
	v_add_f64 v[23:24], v[23:24], 1.0
	v_ldexp_f64 v[17:18], v[49:50], v2
	s_delay_alu instid0(VALU_DEP_3) | instskip(SKIP_1) | instid1(VALU_DEP_4)
	v_add_f64 v[53:54], v[53:54], v[55:56]
	v_mul_f64 v[55:56], v[35:36], v[35:36]
	v_div_scale_f64 v[59:60], null, v[23:24], v[23:24], 1.0
	s_delay_alu instid0(VALU_DEP_4) | instskip(NEXT) | instid1(VALU_DEP_4)
	v_add_f64 v[49:50], v[17:18], 1.0
	v_add_f64 v[63:64], v[53:54], v[53:54]
	s_delay_alu instid0(VALU_DEP_4) | instskip(NEXT) | instid1(VALU_DEP_4)
	v_fma_f64 v[57:58], v[35:36], v[35:36], -v[55:56]
	v_rcp_f64_e32 v[61:62], v[59:60]
	s_delay_alu instid0(VALU_DEP_3) | instskip(NEXT) | instid1(VALU_DEP_2)
	v_div_scale_f64 v[17:18], null, v[49:50], v[49:50], 1.0
	v_fma_f64 v[57:58], v[35:36], v[63:64], v[57:58]
	s_delay_alu instid0(VALU_DEP_2) | instskip(NEXT) | instid1(VALU_DEP_1)
	v_rcp_f64_e32 v[51:52], v[17:18]
	v_add_f64 v[63:64], v[55:56], v[57:58]
	s_delay_alu instid0(VALU_DEP_1) | instskip(NEXT) | instid1(VALU_DEP_1)
	v_add_f64 v[55:56], v[63:64], -v[55:56]
	v_add_f64 v[57:58], v[57:58], -v[55:56]
	v_fma_f64 v[55:56], v[35:36], s[74:75], s[72:73]
	s_delay_alu instid0(VALU_DEP_1) | instskip(NEXT) | instid1(VALU_DEP_1)
	v_fma_f64 v[55:56], v[35:36], v[55:56], s[76:77]
	v_fma_f64 v[55:56], v[35:36], v[55:56], s[78:79]
	s_delay_alu instid0(VALU_DEP_1) | instskip(NEXT) | instid1(VALU_DEP_1)
	v_fma_f64 v[55:56], v[35:36], v[55:56], s[80:81]
	;; [unrolled: 3-line block ×4, first 2 shown]
	v_fma_f64 v[65:66], v[35:36], v[55:56], s[90:91]
	s_delay_alu instid0(VALU_DEP_1) | instskip(NEXT) | instid1(VALU_DEP_1)
	v_mul_f64 v[55:56], v[63:64], v[65:66]
	v_fma_f64 v[63:64], v[63:64], v[65:66], -v[55:56]
	s_delay_alu instid0(VALU_DEP_1) | instskip(NEXT) | instid1(TRANS32_DEP_2)
	v_fma_f64 v[57:58], v[57:58], v[65:66], v[63:64]
	v_fma_f64 v[63:64], -v[59:60], v[61:62], 1.0
	s_delay_alu instid0(VALU_DEP_1) | instskip(NEXT) | instid1(VALU_DEP_1)
	v_fma_f64 v[61:62], v[61:62], v[63:64], v[61:62]
	v_fma_f64 v[63:64], -v[59:60], v[61:62], 1.0
	s_delay_alu instid0(VALU_DEP_1) | instskip(SKIP_1) | instid1(VALU_DEP_1)
	v_fma_f64 v[61:62], v[61:62], v[63:64], v[61:62]
	v_div_scale_f64 v[63:64], vcc_lo, 1.0, v[23:24], 1.0
	v_mul_f64 v[65:66], v[63:64], v[61:62]
	s_delay_alu instid0(VALU_DEP_1) | instskip(NEXT) | instid1(VALU_DEP_1)
	v_fma_f64 v[59:60], -v[59:60], v[65:66], v[63:64]
	v_div_fmas_f64 v[59:60], v[59:60], v[61:62], v[65:66]
	s_delay_alu instid0(TRANS32_DEP_1) | instskip(NEXT) | instid1(VALU_DEP_1)
	v_fma_f64 v[61:62], -v[17:18], v[51:52], 1.0
	v_fma_f64 v[51:52], v[51:52], v[61:62], v[51:52]
	s_delay_alu instid0(VALU_DEP_1) | instskip(NEXT) | instid1(VALU_DEP_1)
	v_fma_f64 v[61:62], -v[17:18], v[51:52], 1.0
	v_fma_f64 v[51:52], v[51:52], v[61:62], v[51:52]
	v_div_scale_f64 v[61:62], vcc_lo, 1.0, v[49:50], 1.0
	s_delay_alu instid0(VALU_DEP_1) | instskip(NEXT) | instid1(VALU_DEP_1)
	v_mul_f64 v[63:64], v[61:62], v[51:52]
	v_fma_f64 v[17:18], -v[17:18], v[63:64], v[61:62]
	s_delay_alu instid0(VALU_DEP_1) | instskip(SKIP_1) | instid1(VALU_DEP_1)
	v_div_fmas_f64 v[51:52], v[17:18], v[51:52], v[63:64]
	v_add_f64 v[17:18], v[19:20], v[31:32]
	v_add_f64 v[17:18], v[17:18], v[47:48]
	s_waitcnt vmcnt(0)
	s_delay_alu instid0(VALU_DEP_1) | instskip(NEXT) | instid1(VALU_DEP_1)
	v_add_f64 v[17:18], v[45:46], v[17:18]
	v_mul_f64 v[19:20], v[17:18], s[66:67]
	s_delay_alu instid0(VALU_DEP_1) | instskip(NEXT) | instid1(VALU_DEP_1)
	v_rndne_f64_e32 v[19:20], v[19:20]
	v_fma_f64 v[31:32], v[19:20], s[68:69], -v[17:18]
	v_cvt_i32_f64_e32 v2, v[19:20]
	s_delay_alu instid0(VALU_DEP_2) | instskip(NEXT) | instid1(VALU_DEP_1)
	v_fma_f64 v[31:32], v[19:20], s[70:71], v[31:32]
	v_fma_f64 v[45:46], v[31:32], s[74:75], s[72:73]
	s_delay_alu instid0(VALU_DEP_1) | instskip(NEXT) | instid1(VALU_DEP_1)
	v_fma_f64 v[45:46], v[31:32], v[45:46], s[76:77]
	v_fma_f64 v[45:46], v[31:32], v[45:46], s[78:79]
	s_delay_alu instid0(VALU_DEP_1) | instskip(NEXT) | instid1(VALU_DEP_1)
	;; [unrolled: 3-line block ×5, first 2 shown]
	v_fma_f64 v[45:46], v[31:32], v[45:46], 1.0
	v_fma_f64 v[31:32], v[31:32], v[45:46], 1.0
	s_delay_alu instid0(VALU_DEP_1) | instskip(SKIP_1) | instid1(VALU_DEP_2)
	v_ldexp_f64 v[19:20], v[31:32], v2
	v_cvt_i32_f64_e32 v2, v[21:22]
	v_add_f64 v[19:20], v[19:20], 1.0
	s_delay_alu instid0(VALU_DEP_1) | instskip(NEXT) | instid1(VALU_DEP_1)
	v_div_scale_f64 v[31:32], null, v[19:20], v[19:20], 1.0
	v_rcp_f64_e32 v[45:46], v[31:32]
	s_waitcnt_depctr 0xfff
	v_fma_f64 v[47:48], -v[31:32], v[45:46], 1.0
	s_delay_alu instid0(VALU_DEP_1) | instskip(NEXT) | instid1(VALU_DEP_1)
	v_fma_f64 v[45:46], v[45:46], v[47:48], v[45:46]
	v_fma_f64 v[47:48], -v[31:32], v[45:46], 1.0
	s_delay_alu instid0(VALU_DEP_1) | instskip(SKIP_1) | instid1(VALU_DEP_1)
	v_fma_f64 v[45:46], v[45:46], v[47:48], v[45:46]
	v_div_scale_f64 v[47:48], vcc_lo, 1.0, v[19:20], 1.0
	v_mul_f64 v[61:62], v[47:48], v[45:46]
	s_delay_alu instid0(VALU_DEP_1) | instskip(NEXT) | instid1(VALU_DEP_1)
	v_fma_f64 v[31:32], -v[31:32], v[61:62], v[47:48]
	v_div_fmas_f64 v[31:32], v[31:32], v[45:46], v[61:62]
	v_add_f64 v[45:46], v[55:56], v[57:58]
	v_cmp_nlt_f64_e64 vcc_lo, 0x40331000, |v[15:16]|
	s_delay_alu instid0(VALU_DEP_2) | instskip(SKIP_1) | instid1(VALU_DEP_2)
	v_add_f64 v[47:48], v[45:46], -v[55:56]
	v_add_f64 v[55:56], v[35:36], v[45:46]
	v_add_f64 v[47:48], v[57:58], -v[47:48]
	s_delay_alu instid0(VALU_DEP_2) | instskip(NEXT) | instid1(VALU_DEP_1)
	v_add_f64 v[35:36], v[55:56], -v[35:36]
	v_add_f64 v[35:36], v[45:46], -v[35:36]
	s_delay_alu instid0(VALU_DEP_3) | instskip(NEXT) | instid1(VALU_DEP_1)
	v_add_f64 v[45:46], v[53:54], v[47:48]
	v_add_f64 v[35:36], v[45:46], v[35:36]
	s_delay_alu instid0(VALU_DEP_1) | instskip(NEXT) | instid1(VALU_DEP_1)
	v_add_f64 v[45:46], v[55:56], v[35:36]
	v_add_f64 v[47:48], v[45:46], -v[55:56]
	s_delay_alu instid0(VALU_DEP_1) | instskip(SKIP_1) | instid1(VALU_DEP_1)
	v_add_f64 v[35:36], v[35:36], -v[47:48]
	v_add_f64 v[47:48], v[45:46], 1.0
	v_add_f64 v[53:54], v[47:48], -1.0
	s_delay_alu instid0(VALU_DEP_1) | instskip(NEXT) | instid1(VALU_DEP_1)
	v_add_f64 v[45:46], v[45:46], -v[53:54]
	v_add_f64 v[35:36], v[35:36], v[45:46]
	s_delay_alu instid0(VALU_DEP_1) | instskip(NEXT) | instid1(VALU_DEP_1)
	v_add_f64 v[21:22], v[47:48], v[35:36]
	v_add_f64 v[45:46], v[21:22], -v[47:48]
	v_ldexp_f64 v[21:22], v[21:22], v2
	s_delay_alu instid0(VALU_DEP_2) | instskip(NEXT) | instid1(VALU_DEP_2)
	v_add_f64 v[35:36], v[35:36], -v[45:46]
	v_rcp_f64_e32 v[47:48], v[21:22]
	s_delay_alu instid0(VALU_DEP_1) | instskip(SKIP_2) | instid1(VALU_DEP_1)
	v_ldexp_f64 v[35:36], v[35:36], v2
	s_waitcnt_depctr 0xfff
	v_fma_f64 v[53:54], -v[21:22], v[47:48], 1.0
	v_fma_f64 v[47:48], v[53:54], v[47:48], v[47:48]
	s_delay_alu instid0(VALU_DEP_1) | instskip(NEXT) | instid1(VALU_DEP_1)
	v_fma_f64 v[45:46], -v[21:22], v[47:48], 1.0
	v_fma_f64 v[45:46], v[45:46], v[47:48], v[47:48]
	s_delay_alu instid0(VALU_DEP_1) | instskip(NEXT) | instid1(VALU_DEP_1)
	v_mul_f64 v[47:48], v[21:22], v[45:46]
	v_fma_f64 v[53:54], v[45:46], v[21:22], -v[47:48]
	s_delay_alu instid0(VALU_DEP_1) | instskip(NEXT) | instid1(VALU_DEP_1)
	v_fma_f64 v[53:54], v[45:46], v[35:36], v[53:54]
	v_add_f64 v[55:56], v[47:48], v[53:54]
	s_delay_alu instid0(VALU_DEP_1) | instskip(NEXT) | instid1(VALU_DEP_1)
	v_add_f64 v[47:48], v[55:56], -v[47:48]
	v_add_f64 v[47:48], v[47:48], -v[53:54]
	v_add_f64 v[53:54], -v[55:56], 1.0
	s_delay_alu instid0(VALU_DEP_1) | instskip(NEXT) | instid1(VALU_DEP_1)
	v_add_f64 v[57:58], -v[53:54], 1.0
	v_add_f64 v[55:56], v[57:58], -v[55:56]
	s_delay_alu instid0(VALU_DEP_1) | instskip(NEXT) | instid1(VALU_DEP_1)
	v_add_f64 v[47:48], v[47:48], v[55:56]
	v_add_f64 v[55:56], v[53:54], v[47:48]
	s_delay_alu instid0(VALU_DEP_1) | instskip(NEXT) | instid1(VALU_DEP_1)
	v_add_f64 v[53:54], v[53:54], -v[55:56]
	v_add_f64 v[47:48], v[47:48], v[53:54]
	v_mul_f64 v[53:54], v[45:46], v[55:56]
	s_delay_alu instid0(VALU_DEP_1) | instskip(NEXT) | instid1(VALU_DEP_1)
	v_mul_f64 v[57:58], v[21:22], v[53:54]
	v_fma_f64 v[61:62], v[53:54], v[21:22], -v[57:58]
	s_delay_alu instid0(VALU_DEP_1) | instskip(NEXT) | instid1(VALU_DEP_1)
	v_fma_f64 v[61:62], v[53:54], v[35:36], v[61:62]
	v_add_f64 v[63:64], v[57:58], v[61:62]
	s_delay_alu instid0(VALU_DEP_1) | instskip(SKIP_1) | instid1(VALU_DEP_2)
	v_add_f64 v[65:66], v[55:56], -v[63:64]
	v_add_f64 v[57:58], v[63:64], -v[57:58]
	;; [unrolled: 1-line block ×3, first 2 shown]
	s_delay_alu instid0(VALU_DEP_2) | instskip(NEXT) | instid1(VALU_DEP_2)
	v_add_f64 v[57:58], v[57:58], -v[61:62]
	v_add_f64 v[55:56], v[55:56], -v[63:64]
	s_delay_alu instid0(VALU_DEP_1) | instskip(SKIP_1) | instid1(VALU_DEP_2)
	v_add_f64 v[47:48], v[47:48], v[55:56]
	v_add_f64 v[55:56], v[45:46], v[53:54]
	v_add_f64 v[47:48], v[57:58], v[47:48]
	s_delay_alu instid0(VALU_DEP_2) | instskip(NEXT) | instid1(VALU_DEP_2)
	v_add_f64 v[57:58], v[55:56], -v[45:46]
	v_add_f64 v[47:48], v[65:66], v[47:48]
	s_delay_alu instid0(VALU_DEP_2) | instskip(NEXT) | instid1(VALU_DEP_2)
	v_add_f64 v[53:54], v[53:54], -v[57:58]
	v_mul_f64 v[45:46], v[45:46], v[47:48]
	s_delay_alu instid0(VALU_DEP_1) | instskip(NEXT) | instid1(VALU_DEP_1)
	v_add_f64 v[45:46], v[53:54], v[45:46]
	v_add_f64 v[47:48], v[55:56], v[45:46]
	s_delay_alu instid0(VALU_DEP_1) | instskip(SKIP_1) | instid1(VALU_DEP_2)
	v_add_f64 v[53:54], v[47:48], -v[55:56]
	v_add_f64 v[55:56], v[21:22], v[47:48]
	v_add_f64 v[45:46], v[45:46], -v[53:54]
	v_add_f64 v[53:54], v[21:22], -v[47:48]
	s_delay_alu instid0(VALU_DEP_1) | instskip(NEXT) | instid1(VALU_DEP_4)
	v_add_f64 v[57:58], v[21:22], -v[53:54]
	v_add_f64 v[21:22], v[55:56], -v[21:22]
	s_delay_alu instid0(VALU_DEP_2) | instskip(NEXT) | instid1(VALU_DEP_2)
	v_add_f64 v[57:58], v[57:58], -v[47:48]
	v_add_f64 v[21:22], v[47:48], -v[21:22]
	s_delay_alu instid0(VALU_DEP_2) | instskip(SKIP_1) | instid1(VALU_DEP_1)
	v_add_f64 v[47:48], v[35:36], v[57:58]
	v_add_f64 v[35:36], v[35:36], v[45:46]
	;; [unrolled: 1-line block ×3, first 2 shown]
	s_delay_alu instid0(VALU_DEP_3) | instskip(NEXT) | instid1(VALU_DEP_2)
	v_add_f64 v[35:36], v[47:48], -v[45:46]
	v_add_f64 v[45:46], v[55:56], v[21:22]
	s_delay_alu instid0(VALU_DEP_1) | instskip(SKIP_1) | instid1(VALU_DEP_1)
	v_rcp_f64_e32 v[47:48], v[45:46]
	v_add_f64 v[55:56], v[45:46], -v[55:56]
	v_add_f64 v[21:22], v[21:22], -v[55:56]
	s_waitcnt_depctr 0xfff
	v_fma_f64 v[57:58], -v[45:46], v[47:48], 1.0
	s_delay_alu instid0(VALU_DEP_1) | instskip(NEXT) | instid1(VALU_DEP_1)
	v_fma_f64 v[47:48], v[57:58], v[47:48], v[47:48]
	v_fma_f64 v[55:56], -v[45:46], v[47:48], 1.0
	s_delay_alu instid0(VALU_DEP_1) | instskip(SKIP_1) | instid1(VALU_DEP_1)
	v_fma_f64 v[47:48], v[55:56], v[47:48], v[47:48]
	v_add_f64 v[55:56], v[53:54], v[35:36]
	v_mul_f64 v[57:58], v[55:56], v[47:48]
	v_add_f64 v[53:54], v[55:56], -v[53:54]
	s_delay_alu instid0(VALU_DEP_2) | instskip(NEXT) | instid1(VALU_DEP_2)
	v_mul_f64 v[61:62], v[45:46], v[57:58]
	v_add_f64 v[35:36], v[35:36], -v[53:54]
	s_delay_alu instid0(VALU_DEP_2) | instskip(NEXT) | instid1(VALU_DEP_1)
	v_fma_f64 v[45:46], v[57:58], v[45:46], -v[61:62]
	v_fma_f64 v[21:22], v[57:58], v[21:22], v[45:46]
	s_delay_alu instid0(VALU_DEP_1) | instskip(NEXT) | instid1(VALU_DEP_1)
	v_add_f64 v[45:46], v[61:62], v[21:22]
	v_add_f64 v[61:62], v[45:46], -v[61:62]
	s_delay_alu instid0(VALU_DEP_1) | instskip(SKIP_1) | instid1(VALU_DEP_1)
	v_add_f64 v[21:22], v[21:22], -v[61:62]
	v_add_f64 v[61:62], v[55:56], -v[45:46]
	;; [unrolled: 1-line block ×3, first 2 shown]
	s_delay_alu instid0(VALU_DEP_1) | instskip(NEXT) | instid1(VALU_DEP_1)
	v_add_f64 v[45:46], v[55:56], -v[45:46]
	v_add_f64 v[21:22], v[45:46], -v[21:22]
	s_delay_alu instid0(VALU_DEP_1) | instskip(NEXT) | instid1(VALU_DEP_1)
	v_add_f64 v[21:22], v[35:36], v[21:22]
	v_add_f64 v[21:22], v[61:62], v[21:22]
	s_delay_alu instid0(VALU_DEP_1) | instskip(NEXT) | instid1(VALU_DEP_1)
	v_mul_f64 v[21:22], v[47:48], v[21:22]
	v_add_f64 v[21:22], v[57:58], v[21:22]
	s_delay_alu instid0(VALU_DEP_1) | instskip(NEXT) | instid1(VALU_DEP_2)
	v_cndmask_b32_e32 v2, 0x3ff00000, v22, vcc_lo
	v_dual_cndmask_b32 v21, 0, v21 :: v_dual_and_b32 v22, 0x7fffffff, v16
	v_cmp_gt_f64_e64 vcc_lo, 0x3e400000, |v[15:16]|
	s_delay_alu instid0(VALU_DEP_2) | instskip(SKIP_3) | instid1(VALU_DEP_4)
	v_dual_cndmask_b32 v2, v2, v22 :: v_dual_cndmask_b32 v15, v21, v15
	v_cmp_ngt_f64_e32 vcc_lo, 0xc0900000, v[13:14]
	v_div_fixup_f64 v[13:14], v[59:60], v[23:24], 1.0
	v_div_fixup_f64 v[21:22], v[51:52], v[49:50], 1.0
	v_bfi_b32 v16, 0x7fffffff, v2, v16
	s_and_b32 s3, s0, vcc_lo
	s_delay_alu instid0(VALU_DEP_3) | instskip(SKIP_1) | instid1(VALU_DEP_4)
	v_cndmask_b32_e32 v2, 0, v14, vcc_lo
	s_and_b32 vcc_lo, s2, s1
	v_cndmask_b32_e64 v13, 0, v13, s3
	s_delay_alu instid0(VALU_DEP_4) | instskip(NEXT) | instid1(VALU_DEP_3)
	v_cndmask_b32_e32 v21, 0, v21, vcc_lo
	v_cndmask_b32_e64 v14, 0x3ff00000, v2, s0
	v_cndmask_b32_e64 v2, 0, v22, s1
	v_readlane_b32 s0, v67, 2
	v_readlane_b32 s1, v67, 3
	s_delay_alu instid0(VALU_DEP_4) | instskip(NEXT) | instid1(VALU_DEP_4)
	v_mul_f64 v[23:24], v[13:14], v[15:16]
	v_cndmask_b32_e64 v22, 0x3ff00000, v2, s2
	v_mul_lo_u32 v2, v42, s20
	s_delay_alu instid0(VALU_DEP_2) | instskip(NEXT) | instid1(VALU_DEP_1)
	v_fma_f64 v[23:24], v[39:40], v[21:22], v[23:24]
	v_mul_f64 v[25:26], |v[23:24]|, s[96:97]
	s_delay_alu instid0(VALU_DEP_1) | instskip(NEXT) | instid1(VALU_DEP_1)
	v_rndne_f64_e32 v[25:26], v[25:26]
	v_fma_f64 v[35:36], v[25:26], s[98:99], |v[23:24]|
	v_mul_f64 v[45:46], v[25:26], s[92:93]
	s_delay_alu instid0(VALU_DEP_2) | instskip(NEXT) | instid1(VALU_DEP_1)
	v_add_f64 v[39:40], v[35:36], 0
	v_add_f64 v[47:48], v[39:40], -v[45:46]
	v_add_f64 v[35:36], v[35:36], -v[39:40]
	s_delay_alu instid0(VALU_DEP_2) | instskip(NEXT) | instid1(VALU_DEP_2)
	v_add_f64 v[39:40], v[39:40], -v[47:48]
	v_add_f64 v[35:36], v[35:36], 0
	s_delay_alu instid0(VALU_DEP_2) | instskip(NEXT) | instid1(VALU_DEP_1)
	v_add_f64 v[39:40], v[39:40], -v[45:46]
	v_add_f64 v[35:36], v[35:36], v[39:40]
	s_delay_alu instid0(VALU_DEP_1) | instskip(NEXT) | instid1(VALU_DEP_1)
	v_add_f64 v[39:40], v[47:48], v[35:36]
	v_add_f64 v[45:46], v[47:48], -v[39:40]
	s_delay_alu instid0(VALU_DEP_1) | instskip(SKIP_1) | instid1(VALU_DEP_1)
	v_add_f64 v[35:36], v[35:36], v[45:46]
	v_mul_f64 v[45:46], v[25:26], s[94:95]
	v_add_f64 v[47:48], v[39:40], -v[45:46]
	s_delay_alu instid0(VALU_DEP_1) | instskip(NEXT) | instid1(VALU_DEP_1)
	v_add_f64 v[39:40], v[39:40], -v[47:48]
	v_add_f64 v[39:40], v[39:40], -v[45:46]
	s_delay_alu instid0(VALU_DEP_1) | instskip(NEXT) | instid1(VALU_DEP_1)
	v_add_f64 v[35:36], v[35:36], v[39:40]
	v_add_f64 v[39:40], v[47:48], v[35:36]
	s_delay_alu instid0(VALU_DEP_1) | instskip(NEXT) | instid1(VALU_DEP_1)
	v_add_f64 v[45:46], v[47:48], -v[39:40]
	v_add_f64 v[35:36], v[35:36], v[45:46]
	v_mul_f64 v[45:46], v[39:40], v[39:40]
	s_delay_alu instid0(VALU_DEP_2) | instskip(NEXT) | instid1(VALU_DEP_2)
	v_add_f64 v[49:50], v[35:36], v[35:36]
	v_fma_f64 v[47:48], v[39:40], v[39:40], -v[45:46]
	s_delay_alu instid0(VALU_DEP_1) | instskip(NEXT) | instid1(VALU_DEP_1)
	v_fma_f64 v[47:48], v[39:40], v[49:50], v[47:48]
	v_add_f64 v[49:50], v[45:46], v[47:48]
	s_delay_alu instid0(VALU_DEP_1) | instskip(NEXT) | instid1(VALU_DEP_1)
	v_add_f64 v[45:46], v[49:50], -v[45:46]
	v_add_f64 v[45:46], v[47:48], -v[45:46]
	v_fma_f64 v[47:48], v[39:40], s[74:75], s[72:73]
	s_delay_alu instid0(VALU_DEP_1) | instskip(NEXT) | instid1(VALU_DEP_1)
	v_fma_f64 v[47:48], v[39:40], v[47:48], s[76:77]
	v_fma_f64 v[47:48], v[39:40], v[47:48], s[78:79]
	s_delay_alu instid0(VALU_DEP_1) | instskip(NEXT) | instid1(VALU_DEP_1)
	v_fma_f64 v[47:48], v[39:40], v[47:48], s[80:81]
	;; [unrolled: 3-line block ×4, first 2 shown]
	v_fma_f64 v[47:48], v[39:40], v[47:48], s[90:91]
	s_delay_alu instid0(VALU_DEP_1) | instskip(NEXT) | instid1(VALU_DEP_1)
	v_mul_f64 v[51:52], v[49:50], v[47:48]
	v_fma_f64 v[49:50], v[49:50], v[47:48], -v[51:52]
	s_delay_alu instid0(VALU_DEP_1) | instskip(SKIP_2) | instid1(VALU_DEP_1)
	v_fma_f64 v[45:46], v[45:46], v[47:48], v[49:50]
	v_mul_lo_u32 v49, v41, s21
	v_mad_u64_u32 v[47:48], null, v41, s20, 0
	v_add3_u32 v48, v48, v49, v2
	v_mul_lo_u32 v2, s54, v42
	v_mul_lo_u32 v42, s55, v41
	v_mad_u64_u32 v[49:50], null, s54, v41, v[3:4]
	s_delay_alu instid0(VALU_DEP_4) | instskip(NEXT) | instid1(VALU_DEP_2)
	v_lshlrev_b64 v[47:48], 3, v[47:48]
	v_add3_u32 v2, v42, v50, v2
	s_delay_alu instid0(VALU_DEP_3) | instskip(SKIP_1) | instid1(VALU_DEP_3)
	v_mul_lo_u32 v50, v49, s23
	v_mad_u64_u32 v[41:42], null, v49, s22, 0
	v_mul_lo_u32 v2, v2, s22
	s_delay_alu instid0(VALU_DEP_1) | instskip(SKIP_2) | instid1(VALU_DEP_3)
	v_add3_u32 v42, v42, v50, v2
	v_add_co_u32 v2, vcc_lo, s0, v47
	v_add_co_ci_u32_e32 v47, vcc_lo, s1, v48, vcc_lo
	v_lshlrev_b64 v[41:42], 3, v[41:42]
	v_cmp_nlt_f64_e64 s0, 0x4090cc00, v[17:18]
	v_cmp_nlt_f64_e64 s1, 0x40331000, |v[23:24]|
	s_delay_alu instid0(VALU_DEP_3) | instskip(NEXT) | instid1(VALU_DEP_4)
	v_add_co_u32 v41, vcc_lo, v2, v41
	v_add_co_ci_u32_e32 v42, vcc_lo, v47, v42, vcc_lo
	v_add_f64 v[47:48], v[51:52], v[45:46]
	v_cvt_i32_f64_e32 v2, v[25:26]
	v_cmp_ngt_f64_e32 vcc_lo, 0xc0900000, v[17:18]
	v_div_fixup_f64 v[17:18], v[31:32], v[19:20], 1.0
	v_mul_lo_u32 v31, s59, v43
	v_add_f64 v[49:50], v[47:48], -v[51:52]
	s_and_b32 s2, s0, vcc_lo
	s_delay_alu instid0(VALU_DEP_3) | instskip(NEXT) | instid1(VALU_DEP_4)
	v_cndmask_b32_e32 v18, 0, v18, vcc_lo
	v_cndmask_b32_e64 v17, 0, v17, s2
	s_delay_alu instid0(VALU_DEP_2) | instskip(NEXT) | instid1(VALU_DEP_4)
	v_cndmask_b32_e64 v18, 0x3ff00000, v18, s0
	v_add_f64 v[45:46], v[45:46], -v[49:50]
	v_add_f64 v[49:50], v[39:40], v[47:48]
	s_delay_alu instid0(VALU_DEP_2) | instskip(NEXT) | instid1(VALU_DEP_2)
	v_add_f64 v[35:36], v[35:36], v[45:46]
	v_add_f64 v[39:40], v[49:50], -v[39:40]
	s_delay_alu instid0(VALU_DEP_1) | instskip(NEXT) | instid1(VALU_DEP_1)
	v_add_f64 v[39:40], v[47:48], -v[39:40]
	v_add_f64 v[35:36], v[35:36], v[39:40]
	s_delay_alu instid0(VALU_DEP_1) | instskip(NEXT) | instid1(VALU_DEP_1)
	v_add_f64 v[39:40], v[49:50], v[35:36]
	v_add_f64 v[45:46], v[39:40], -v[49:50]
	s_delay_alu instid0(VALU_DEP_1) | instskip(SKIP_1) | instid1(VALU_DEP_1)
	v_add_f64 v[35:36], v[35:36], -v[45:46]
	v_add_f64 v[45:46], v[39:40], 1.0
	v_add_f64 v[47:48], v[45:46], -1.0
	s_delay_alu instid0(VALU_DEP_1) | instskip(NEXT) | instid1(VALU_DEP_1)
	v_add_f64 v[39:40], v[39:40], -v[47:48]
	v_add_f64 v[35:36], v[35:36], v[39:40]
	s_delay_alu instid0(VALU_DEP_1) | instskip(NEXT) | instid1(VALU_DEP_1)
	v_add_f64 v[25:26], v[45:46], v[35:36]
	v_add_f64 v[39:40], v[25:26], -v[45:46]
	v_ldexp_f64 v[25:26], v[25:26], v2
	s_delay_alu instid0(VALU_DEP_2) | instskip(NEXT) | instid1(VALU_DEP_2)
	v_add_f64 v[35:36], v[35:36], -v[39:40]
	v_rcp_f64_e32 v[45:46], v[25:26]
	s_delay_alu instid0(VALU_DEP_1) | instskip(SKIP_2) | instid1(VALU_DEP_1)
	v_ldexp_f64 v[35:36], v[35:36], v2
	s_waitcnt_depctr 0xfff
	v_fma_f64 v[47:48], -v[25:26], v[45:46], 1.0
	v_fma_f64 v[45:46], v[47:48], v[45:46], v[45:46]
	s_delay_alu instid0(VALU_DEP_1) | instskip(NEXT) | instid1(VALU_DEP_1)
	v_fma_f64 v[39:40], -v[25:26], v[45:46], 1.0
	v_fma_f64 v[39:40], v[39:40], v[45:46], v[45:46]
	s_delay_alu instid0(VALU_DEP_1) | instskip(NEXT) | instid1(VALU_DEP_1)
	v_mul_f64 v[45:46], v[25:26], v[39:40]
	v_fma_f64 v[47:48], v[39:40], v[25:26], -v[45:46]
	s_delay_alu instid0(VALU_DEP_1) | instskip(NEXT) | instid1(VALU_DEP_1)
	v_fma_f64 v[47:48], v[39:40], v[35:36], v[47:48]
	v_add_f64 v[49:50], v[45:46], v[47:48]
	s_delay_alu instid0(VALU_DEP_1) | instskip(NEXT) | instid1(VALU_DEP_1)
	v_add_f64 v[45:46], v[49:50], -v[45:46]
	v_add_f64 v[45:46], v[45:46], -v[47:48]
	v_add_f64 v[47:48], -v[49:50], 1.0
	s_delay_alu instid0(VALU_DEP_1) | instskip(NEXT) | instid1(VALU_DEP_1)
	v_add_f64 v[51:52], -v[47:48], 1.0
	v_add_f64 v[49:50], v[51:52], -v[49:50]
	s_delay_alu instid0(VALU_DEP_1) | instskip(NEXT) | instid1(VALU_DEP_1)
	v_add_f64 v[45:46], v[45:46], v[49:50]
	v_add_f64 v[49:50], v[47:48], v[45:46]
	s_delay_alu instid0(VALU_DEP_1) | instskip(NEXT) | instid1(VALU_DEP_1)
	v_add_f64 v[47:48], v[47:48], -v[49:50]
	v_add_f64 v[45:46], v[45:46], v[47:48]
	v_mul_f64 v[47:48], v[39:40], v[49:50]
	s_delay_alu instid0(VALU_DEP_1) | instskip(NEXT) | instid1(VALU_DEP_1)
	v_mul_f64 v[51:52], v[25:26], v[47:48]
	v_fma_f64 v[53:54], v[47:48], v[25:26], -v[51:52]
	s_delay_alu instid0(VALU_DEP_1) | instskip(NEXT) | instid1(VALU_DEP_1)
	v_fma_f64 v[53:54], v[47:48], v[35:36], v[53:54]
	v_add_f64 v[55:56], v[51:52], v[53:54]
	s_delay_alu instid0(VALU_DEP_1) | instskip(SKIP_1) | instid1(VALU_DEP_2)
	v_add_f64 v[57:58], v[49:50], -v[55:56]
	v_add_f64 v[51:52], v[55:56], -v[51:52]
	;; [unrolled: 1-line block ×3, first 2 shown]
	s_delay_alu instid0(VALU_DEP_2) | instskip(NEXT) | instid1(VALU_DEP_2)
	v_add_f64 v[51:52], v[51:52], -v[53:54]
	v_add_f64 v[49:50], v[49:50], -v[55:56]
	s_delay_alu instid0(VALU_DEP_1) | instskip(SKIP_1) | instid1(VALU_DEP_2)
	v_add_f64 v[45:46], v[45:46], v[49:50]
	v_add_f64 v[49:50], v[39:40], v[47:48]
	;; [unrolled: 1-line block ×3, first 2 shown]
	s_delay_alu instid0(VALU_DEP_2) | instskip(NEXT) | instid1(VALU_DEP_2)
	v_add_f64 v[51:52], v[49:50], -v[39:40]
	v_add_f64 v[45:46], v[57:58], v[45:46]
	s_delay_alu instid0(VALU_DEP_2) | instskip(NEXT) | instid1(VALU_DEP_2)
	v_add_f64 v[47:48], v[47:48], -v[51:52]
	v_mul_f64 v[39:40], v[39:40], v[45:46]
	s_delay_alu instid0(VALU_DEP_1) | instskip(NEXT) | instid1(VALU_DEP_1)
	v_add_f64 v[39:40], v[47:48], v[39:40]
	v_add_f64 v[45:46], v[49:50], v[39:40]
	s_delay_alu instid0(VALU_DEP_1) | instskip(SKIP_1) | instid1(VALU_DEP_2)
	v_add_f64 v[47:48], v[45:46], -v[49:50]
	v_add_f64 v[49:50], v[25:26], v[45:46]
	v_add_f64 v[39:40], v[39:40], -v[47:48]
	v_add_f64 v[47:48], v[25:26], -v[45:46]
	s_delay_alu instid0(VALU_DEP_1) | instskip(NEXT) | instid1(VALU_DEP_4)
	v_add_f64 v[51:52], v[25:26], -v[47:48]
	v_add_f64 v[25:26], v[49:50], -v[25:26]
	s_delay_alu instid0(VALU_DEP_2) | instskip(NEXT) | instid1(VALU_DEP_2)
	v_add_f64 v[51:52], v[51:52], -v[45:46]
	v_add_f64 v[25:26], v[45:46], -v[25:26]
	s_delay_alu instid0(VALU_DEP_2) | instskip(SKIP_1) | instid1(VALU_DEP_1)
	v_add_f64 v[45:46], v[35:36], v[51:52]
	v_add_f64 v[35:36], v[35:36], v[39:40]
	;; [unrolled: 1-line block ×3, first 2 shown]
	s_delay_alu instid0(VALU_DEP_3) | instskip(NEXT) | instid1(VALU_DEP_2)
	v_add_f64 v[35:36], v[45:46], -v[39:40]
	v_add_f64 v[39:40], v[49:50], v[25:26]
	s_delay_alu instid0(VALU_DEP_1) | instskip(SKIP_1) | instid1(VALU_DEP_1)
	v_rcp_f64_e32 v[45:46], v[39:40]
	v_add_f64 v[49:50], v[39:40], -v[49:50]
	v_add_f64 v[25:26], v[25:26], -v[49:50]
	s_waitcnt_depctr 0xfff
	v_fma_f64 v[51:52], -v[39:40], v[45:46], 1.0
	s_delay_alu instid0(VALU_DEP_1) | instskip(NEXT) | instid1(VALU_DEP_1)
	v_fma_f64 v[45:46], v[51:52], v[45:46], v[45:46]
	v_fma_f64 v[49:50], -v[39:40], v[45:46], 1.0
	s_delay_alu instid0(VALU_DEP_1) | instskip(SKIP_1) | instid1(VALU_DEP_1)
	v_fma_f64 v[45:46], v[49:50], v[45:46], v[45:46]
	v_add_f64 v[49:50], v[47:48], v[35:36]
	v_mul_f64 v[51:52], v[49:50], v[45:46]
	v_add_f64 v[47:48], v[49:50], -v[47:48]
	s_delay_alu instid0(VALU_DEP_2) | instskip(NEXT) | instid1(VALU_DEP_2)
	v_mul_f64 v[53:54], v[39:40], v[51:52]
	v_add_f64 v[35:36], v[35:36], -v[47:48]
	s_delay_alu instid0(VALU_DEP_2) | instskip(NEXT) | instid1(VALU_DEP_1)
	v_fma_f64 v[39:40], v[51:52], v[39:40], -v[53:54]
	v_fma_f64 v[25:26], v[51:52], v[25:26], v[39:40]
	s_delay_alu instid0(VALU_DEP_1) | instskip(NEXT) | instid1(VALU_DEP_1)
	v_add_f64 v[39:40], v[53:54], v[25:26]
	v_add_f64 v[53:54], v[39:40], -v[53:54]
	s_delay_alu instid0(VALU_DEP_1) | instskip(SKIP_1) | instid1(VALU_DEP_1)
	v_add_f64 v[25:26], v[25:26], -v[53:54]
	v_add_f64 v[53:54], v[49:50], -v[39:40]
	v_add_f64 v[49:50], v[49:50], -v[53:54]
	s_delay_alu instid0(VALU_DEP_1) | instskip(NEXT) | instid1(VALU_DEP_1)
	v_add_f64 v[39:40], v[49:50], -v[39:40]
	v_add_f64 v[25:26], v[39:40], -v[25:26]
	s_delay_alu instid0(VALU_DEP_1) | instskip(NEXT) | instid1(VALU_DEP_1)
	v_add_f64 v[25:26], v[35:36], v[25:26]
	v_add_f64 v[25:26], v[53:54], v[25:26]
	s_delay_alu instid0(VALU_DEP_1) | instskip(NEXT) | instid1(VALU_DEP_1)
	v_mul_f64 v[25:26], v[45:46], v[25:26]
	v_add_f64 v[19:20], v[51:52], v[25:26]
	v_mul_lo_u32 v25, v43, s25
	s_delay_alu instid0(VALU_DEP_2) | instskip(NEXT) | instid1(VALU_DEP_3)
	v_cndmask_b32_e64 v2, 0x3ff00000, v20, s1
	v_cndmask_b32_e64 v19, 0, v19, s1
	v_cmp_gt_f64_e64 s1, 0x3e400000, |v[23:24]|
	v_and_b32_e32 v20, 0x7fffffff, v24
	s_delay_alu instid0(VALU_DEP_1) | instskip(NEXT) | instid1(VALU_DEP_4)
	v_cndmask_b32_e64 v2, v2, v20, s1
	v_cndmask_b32_e64 v19, v19, v23, s1
	v_readlane_b32 s0, v67, 4
	v_readlane_b32 s1, v67, 5
	s_delay_alu instid0(VALU_DEP_4) | instskip(SKIP_1) | instid1(VALU_DEP_2)
	v_bfi_b32 v20, 0x7fffffff, v2, v24
	v_mul_lo_u32 v2, v44, s24
	v_mul_f64 v[19:20], v[17:18], v[19:20]
	global_store_b64 v[41:42], v[19:20], off
	v_mad_u64_u32 v[19:20], null, v43, s24, 0
	s_delay_alu instid0(VALU_DEP_1) | instskip(SKIP_2) | instid1(VALU_DEP_3)
	v_add3_u32 v20, v20, v25, v2
	v_mul_lo_u32 v2, s58, v44
	v_mad_u64_u32 v[25:26], null, s58, v43, v[3:4]
	v_lshlrev_b64 v[19:20], 3, v[19:20]
	s_delay_alu instid0(VALU_DEP_2) | instskip(NEXT) | instid1(VALU_DEP_3)
	v_add3_u32 v2, v31, v26, v2
	v_mul_lo_u32 v26, v25, s27
	v_mad_u64_u32 v[31:32], null, v25, s26, 0
	s_delay_alu instid0(VALU_DEP_3) | instskip(NEXT) | instid1(VALU_DEP_1)
	v_mul_lo_u32 v2, v2, s26
	v_add3_u32 v32, v32, v26, v2
	v_add_co_u32 v2, vcc_lo, s0, v19
	v_add_co_ci_u32_e32 v25, vcc_lo, s1, v20, vcc_lo
	s_delay_alu instid0(VALU_DEP_3) | instskip(SKIP_1) | instid1(VALU_DEP_2)
	v_lshlrev_b64 v[19:20], 3, v[31:32]
	v_readlane_b32 s0, v67, 6
	v_add_co_u32 v19, vcc_lo, v2, v19
	s_delay_alu instid0(VALU_DEP_3) | instskip(SKIP_4) | instid1(VALU_DEP_1)
	v_add_co_ci_u32_e32 v20, vcc_lo, v25, v20, vcc_lo
	v_mul_lo_u32 v2, v28, s64
	global_store_b64 v[19:20], v[23:24], off
	v_mul_lo_u32 v23, v27, s65
	v_mad_u64_u32 v[19:20], null, v27, s64, 0
	v_add3_u32 v2, v20, v23, v2
	s_delay_alu instid0(VALU_DEP_2) | instskip(SKIP_2) | instid1(VALU_DEP_4)
	v_sub_co_u32 v19, vcc_lo, v5, v19
	v_mul_lo_u32 v20, v28, s28
	v_mul_lo_u32 v23, v27, s29
	v_sub_co_ci_u32_e32 v2, vcc_lo, v6, v2, vcc_lo
	v_mad_u64_u32 v[5:6], null, v27, s28, 0
	s_delay_alu instid0(VALU_DEP_1) | instskip(SKIP_1) | instid1(VALU_DEP_4)
	v_add3_u32 v6, v6, v23, v20
	v_add_co_u32 v23, vcc_lo, v3, v19
	v_add_co_ci_u32_e32 v2, vcc_lo, v4, v2, vcc_lo
	s_delay_alu instid0(VALU_DEP_3) | instskip(NEXT) | instid1(VALU_DEP_3)
	v_lshlrev_b64 v[5:6], 3, v[5:6]
	v_mul_lo_u32 v24, v23, s31
	v_mad_u64_u32 v[19:20], null, v23, s30, 0
	s_delay_alu instid0(VALU_DEP_4) | instskip(NEXT) | instid1(VALU_DEP_1)
	v_mul_lo_u32 v2, v2, s30
	v_add3_u32 v20, v20, v24, v2
	v_add_co_u32 v2, vcc_lo, s62, v5
	v_add_co_ci_u32_e32 v23, vcc_lo, s63, v6, vcc_lo
	s_delay_alu instid0(VALU_DEP_3) | instskip(NEXT) | instid1(VALU_DEP_1)
	v_lshlrev_b64 v[5:6], 3, v[19:20]
	v_add_co_u32 v5, vcc_lo, v2, v5
	s_delay_alu instid0(VALU_DEP_2) | instskip(SKIP_4) | instid1(VALU_DEP_1)
	v_add_co_ci_u32_e32 v6, vcc_lo, v23, v6, vcc_lo
	v_mul_lo_u32 v2, v30, s64
	global_store_b64 v[5:6], v[13:14], off
	v_mul_lo_u32 v13, v29, s65
	v_mad_u64_u32 v[5:6], null, v29, s64, 0
	v_add3_u32 v2, v6, v13, v2
	s_delay_alu instid0(VALU_DEP_2) | instskip(SKIP_2) | instid1(VALU_DEP_4)
	v_sub_co_u32 v7, vcc_lo, v7, v5
	v_mul_lo_u32 v13, v29, s29
	v_mad_u64_u32 v[5:6], null, v29, s28, 0
	v_sub_co_ci_u32_e32 v2, vcc_lo, v8, v2, vcc_lo
	v_mul_lo_u32 v8, v30, s28
	s_delay_alu instid0(VALU_DEP_1) | instskip(SKIP_1) | instid1(VALU_DEP_4)
	v_add3_u32 v6, v6, v13, v8
	v_add_co_u32 v13, vcc_lo, v3, v7
	v_add_co_ci_u32_e32 v2, vcc_lo, v4, v2, vcc_lo
	s_delay_alu instid0(VALU_DEP_3) | instskip(NEXT) | instid1(VALU_DEP_3)
	v_lshlrev_b64 v[5:6], 3, v[5:6]
	v_mul_lo_u32 v14, v13, s31
	v_mad_u64_u32 v[7:8], null, v13, s30, 0
	s_delay_alu instid0(VALU_DEP_4) | instskip(NEXT) | instid1(VALU_DEP_1)
	v_mul_lo_u32 v2, v2, s30
	v_add3_u32 v8, v8, v14, v2
	v_add_co_u32 v2, vcc_lo, s62, v5
	v_add_co_ci_u32_e32 v13, vcc_lo, s63, v6, vcc_lo
	s_delay_alu instid0(VALU_DEP_3) | instskip(SKIP_2) | instid1(VALU_DEP_3)
	v_lshlrev_b64 v[5:6], 3, v[7:8]
	v_mul_lo_u32 v7, v33, s65
	v_mul_lo_u32 v8, v34, s28
	v_add_co_u32 v5, vcc_lo, v2, v5
	s_delay_alu instid0(VALU_DEP_4) | instskip(SKIP_3) | instid1(VALU_DEP_1)
	v_add_co_ci_u32_e32 v6, vcc_lo, v13, v6, vcc_lo
	v_mul_lo_u32 v2, v34, s64
	global_store_b64 v[5:6], v[21:22], off
	v_mad_u64_u32 v[5:6], null, v33, s64, 0
	v_add3_u32 v2, v6, v7, v2
	s_delay_alu instid0(VALU_DEP_2) | instskip(SKIP_2) | instid1(VALU_DEP_4)
	v_sub_co_u32 v7, vcc_lo, v9, v5
	v_mul_lo_u32 v9, v33, s29
	v_mad_u64_u32 v[5:6], null, v33, s28, 0
	v_sub_co_ci_u32_e32 v2, vcc_lo, v10, v2, vcc_lo
	s_delay_alu instid0(VALU_DEP_2) | instskip(SKIP_1) | instid1(VALU_DEP_3)
	v_add3_u32 v6, v6, v9, v8
	v_add_co_u32 v9, vcc_lo, v3, v7
	v_add_co_ci_u32_e32 v2, vcc_lo, v4, v2, vcc_lo
	s_delay_alu instid0(VALU_DEP_3) | instskip(NEXT) | instid1(VALU_DEP_3)
	v_lshlrev_b64 v[5:6], 3, v[5:6]
	v_mul_lo_u32 v10, v9, s31
	v_mad_u64_u32 v[7:8], null, v9, s30, 0
	s_delay_alu instid0(VALU_DEP_4) | instskip(NEXT) | instid1(VALU_DEP_1)
	v_mul_lo_u32 v2, v2, s30
	v_add3_u32 v8, v8, v10, v2
	v_add_co_u32 v2, vcc_lo, s62, v5
	v_add_co_ci_u32_e32 v9, vcc_lo, s63, v6, vcc_lo
	s_delay_alu instid0(VALU_DEP_3) | instskip(SKIP_2) | instid1(VALU_DEP_3)
	v_lshlrev_b64 v[5:6], 3, v[7:8]
	v_mad_u64_u32 v[7:8], null, v37, s64, 0
	v_mul_lo_u32 v10, v38, s28
	v_add_co_u32 v5, vcc_lo, v2, v5
	s_delay_alu instid0(VALU_DEP_4) | instskip(SKIP_2) | instid1(VALU_DEP_1)
	v_add_co_ci_u32_e32 v6, vcc_lo, v9, v6, vcc_lo
	v_mul_lo_u32 v2, v38, s64
	v_mul_lo_u32 v9, v37, s65
	v_add3_u32 v2, v8, v9, v2
	v_sub_co_u32 v9, vcc_lo, v11, v7
	v_mul_lo_u32 v11, v37, s29
	v_mad_u64_u32 v[7:8], null, v37, s28, 0
	s_delay_alu instid0(VALU_DEP_4) | instskip(NEXT) | instid1(VALU_DEP_2)
	v_sub_co_ci_u32_e32 v2, vcc_lo, v12, v2, vcc_lo
	v_add3_u32 v8, v8, v11, v10
	v_add_co_u32 v11, vcc_lo, v3, v9
	s_delay_alu instid0(VALU_DEP_3) | instskip(NEXT) | instid1(VALU_DEP_3)
	v_add_co_ci_u32_e32 v2, vcc_lo, v4, v2, vcc_lo
	v_lshlrev_b64 v[7:8], 3, v[7:8]
	s_delay_alu instid0(VALU_DEP_3) | instskip(SKIP_1) | instid1(VALU_DEP_4)
	v_mul_lo_u32 v12, v11, s31
	v_mad_u64_u32 v[9:10], null, v11, s30, 0
	v_mul_lo_u32 v2, v2, s30
	v_add_co_u32 v3, vcc_lo, v3, s0
	v_add_co_ci_u32_e32 v4, vcc_lo, 0, v4, vcc_lo
	s_delay_alu instid0(VALU_DEP_3) | instskip(SKIP_2) | instid1(VALU_DEP_3)
	v_add3_u32 v10, v10, v12, v2
	v_add_co_u32 v2, vcc_lo, s62, v7
	v_add_co_ci_u32_e32 v8, vcc_lo, s63, v8, vcc_lo
	v_lshlrev_b64 v[9:10], 3, v[9:10]
	v_cmp_le_i64_e32 vcc_lo, s[6:7], v[3:4]
	s_delay_alu instid0(VALU_DEP_2) | instskip(NEXT) | instid1(VALU_DEP_1)
	v_add_co_u32 v7, s0, v2, v9
	v_add_co_ci_u32_e64 v8, s0, v8, v10, s0
	s_or_b32 s103, vcc_lo, s103
	s_clause 0x1
	global_store_b64 v[5:6], v[15:16], off
	global_store_b64 v[7:8], v[17:18], off
	s_and_not1_b32 exec_lo, exec_lo, s103
	s_cbranch_execz .LBB3_69
.LBB3_3:                                ; =>This Inner Loop Header: Depth=1
	v_or_b32_e32 v2, s5, v4
	v_ashrrev_i32_e32 v45, 31, v4
                                        ; implicit-def: $vgpr15_vgpr16
	s_mov_b32 s0, exec_lo
	s_delay_alu instid0(VALU_DEP_2)
	v_cmpx_ne_u64_e32 0, v[1:2]
	s_xor_b32 s96, exec_lo, s0
	s_cbranch_execz .LBB3_5
; %bb.4:                                ;   in Loop: Header=BB3_3 Depth=1
	s_ashr_i32 s100, s5, 31
	s_delay_alu instid0(SALU_CYCLE_1) | instskip(SKIP_2) | instid1(SALU_CYCLE_1)
	s_add_u32 s0, s4, s100
	s_mov_b32 s101, s100
	s_addc_u32 s1, s5, s100
	s_xor_b64 s[2:3], s[0:1], s[100:101]
	s_delay_alu instid0(SALU_CYCLE_1) | instskip(SKIP_3) | instid1(VALU_DEP_1)
	v_cvt_f32_u32_e32 v2, s2
	v_cvt_f32_u32_e32 v5, s3
	s_sub_u32 s0, 0, s2
	s_subb_u32 s1, 0, s3
	v_fmac_f32_e32 v2, 0x4f800000, v5
	s_delay_alu instid0(VALU_DEP_1) | instskip(SKIP_2) | instid1(VALU_DEP_1)
	v_rcp_f32_e32 v2, v2
	s_waitcnt_depctr 0xfff
	v_mul_f32_e32 v2, 0x5f7ffffc, v2
	v_mul_f32_e32 v5, 0x2f800000, v2
	s_delay_alu instid0(VALU_DEP_1) | instskip(NEXT) | instid1(VALU_DEP_1)
	v_trunc_f32_e32 v5, v5
	v_fmac_f32_e32 v2, 0xcf800000, v5
	v_cvt_u32_f32_e32 v5, v5
	s_delay_alu instid0(VALU_DEP_2) | instskip(NEXT) | instid1(VALU_DEP_2)
	v_cvt_u32_f32_e32 v2, v2
	v_mul_lo_u32 v6, s0, v5
	s_delay_alu instid0(VALU_DEP_2) | instskip(SKIP_1) | instid1(VALU_DEP_2)
	v_mul_hi_u32 v7, s0, v2
	v_mul_lo_u32 v8, s1, v2
	v_add_nc_u32_e32 v6, v7, v6
	v_mul_lo_u32 v7, s0, v2
	s_delay_alu instid0(VALU_DEP_2) | instskip(NEXT) | instid1(VALU_DEP_2)
	v_add_nc_u32_e32 v6, v6, v8
	v_mul_hi_u32 v8, v2, v7
	s_delay_alu instid0(VALU_DEP_2)
	v_mul_lo_u32 v9, v2, v6
	v_mul_hi_u32 v10, v2, v6
	v_mul_hi_u32 v11, v5, v7
	v_mul_lo_u32 v7, v5, v7
	v_mul_hi_u32 v12, v5, v6
	v_mul_lo_u32 v6, v5, v6
	v_add_co_u32 v8, vcc_lo, v8, v9
	v_add_co_ci_u32_e32 v9, vcc_lo, 0, v10, vcc_lo
	s_delay_alu instid0(VALU_DEP_2) | instskip(NEXT) | instid1(VALU_DEP_2)
	v_add_co_u32 v7, vcc_lo, v8, v7
	v_add_co_ci_u32_e32 v7, vcc_lo, v9, v11, vcc_lo
	v_add_co_ci_u32_e32 v8, vcc_lo, 0, v12, vcc_lo
	s_delay_alu instid0(VALU_DEP_2) | instskip(NEXT) | instid1(VALU_DEP_2)
	v_add_co_u32 v6, vcc_lo, v7, v6
	v_add_co_ci_u32_e32 v7, vcc_lo, 0, v8, vcc_lo
	s_delay_alu instid0(VALU_DEP_2) | instskip(NEXT) | instid1(VALU_DEP_2)
	v_add_co_u32 v2, vcc_lo, v2, v6
	v_add_co_ci_u32_e32 v5, vcc_lo, v5, v7, vcc_lo
	s_delay_alu instid0(VALU_DEP_2) | instskip(SKIP_1) | instid1(VALU_DEP_3)
	v_mul_hi_u32 v6, s0, v2
	v_mul_lo_u32 v8, s1, v2
	v_mul_lo_u32 v7, s0, v5
	s_delay_alu instid0(VALU_DEP_1) | instskip(SKIP_2) | instid1(VALU_DEP_3)
	v_add_nc_u32_e32 v6, v6, v7
	v_mul_lo_u32 v7, s0, v2
	v_add_co_u32 v11, s0, v3, v45
	v_add_nc_u32_e32 v6, v6, v8
	s_delay_alu instid0(VALU_DEP_2) | instskip(NEXT) | instid1(VALU_DEP_4)
	v_xor_b32_e32 v11, v11, v45
	v_mul_hi_u32 v8, v2, v7
	s_delay_alu instid0(VALU_DEP_3)
	v_mul_lo_u32 v9, v2, v6
	v_mul_hi_u32 v10, v2, v6
	v_mul_hi_u32 v12, v5, v7
	v_mul_lo_u32 v7, v5, v7
	v_mul_hi_u32 v13, v5, v6
	v_mul_lo_u32 v6, v5, v6
	v_add_co_u32 v8, vcc_lo, v8, v9
	v_add_co_ci_u32_e32 v9, vcc_lo, 0, v10, vcc_lo
	s_delay_alu instid0(VALU_DEP_2) | instskip(NEXT) | instid1(VALU_DEP_2)
	v_add_co_u32 v7, vcc_lo, v8, v7
	v_add_co_ci_u32_e32 v7, vcc_lo, v9, v12, vcc_lo
	v_add_co_ci_u32_e32 v8, vcc_lo, 0, v13, vcc_lo
	v_add_co_ci_u32_e64 v9, vcc_lo, v4, v45, s0
	s_delay_alu instid0(VALU_DEP_3) | instskip(NEXT) | instid1(VALU_DEP_3)
	v_add_co_u32 v6, vcc_lo, v7, v6
	v_add_co_ci_u32_e32 v7, vcc_lo, 0, v8, vcc_lo
	s_delay_alu instid0(VALU_DEP_3) | instskip(NEXT) | instid1(VALU_DEP_3)
	v_xor_b32_e32 v13, v9, v45
	v_add_co_u32 v2, vcc_lo, v2, v6
	s_delay_alu instid0(VALU_DEP_3) | instskip(NEXT) | instid1(VALU_DEP_2)
	v_add_co_ci_u32_e32 v12, vcc_lo, v5, v7, vcc_lo
	v_mul_hi_u32 v14, v11, v2
	s_delay_alu instid0(VALU_DEP_4) | instskip(NEXT) | instid1(VALU_DEP_3)
	v_mad_u64_u32 v[7:8], null, v13, v2, 0
	v_mad_u64_u32 v[5:6], null, v11, v12, 0
	;; [unrolled: 1-line block ×3, first 2 shown]
	s_delay_alu instid0(VALU_DEP_2) | instskip(NEXT) | instid1(VALU_DEP_3)
	v_add_co_u32 v2, vcc_lo, v14, v5
	v_add_co_ci_u32_e32 v5, vcc_lo, 0, v6, vcc_lo
	s_delay_alu instid0(VALU_DEP_2) | instskip(NEXT) | instid1(VALU_DEP_2)
	v_add_co_u32 v2, vcc_lo, v2, v7
	v_add_co_ci_u32_e32 v2, vcc_lo, v5, v8, vcc_lo
	v_add_co_ci_u32_e32 v5, vcc_lo, 0, v10, vcc_lo
	s_delay_alu instid0(VALU_DEP_2) | instskip(NEXT) | instid1(VALU_DEP_2)
	v_add_co_u32 v2, vcc_lo, v2, v9
	v_add_co_ci_u32_e32 v7, vcc_lo, 0, v5, vcc_lo
	s_delay_alu instid0(VALU_DEP_2) | instskip(SKIP_1) | instid1(VALU_DEP_3)
	v_mul_lo_u32 v8, s3, v2
	v_mad_u64_u32 v[5:6], null, s2, v2, 0
	v_mul_lo_u32 v9, s2, v7
	s_delay_alu instid0(VALU_DEP_2) | instskip(NEXT) | instid1(VALU_DEP_2)
	v_sub_co_u32 v5, vcc_lo, v11, v5
	v_add3_u32 v6, v6, v9, v8
	s_delay_alu instid0(VALU_DEP_2) | instskip(NEXT) | instid1(VALU_DEP_2)
	v_cmp_le_u32_e64 s1, s2, v5
	v_sub_nc_u32_e32 v8, v13, v6
	s_delay_alu instid0(VALU_DEP_2) | instskip(NEXT) | instid1(VALU_DEP_2)
	v_cndmask_b32_e64 v10, 0, -1, s1
	v_subrev_co_ci_u32_e64 v8, s0, s3, v8, vcc_lo
	v_sub_co_u32 v9, s0, v5, s2
	v_sub_co_ci_u32_e32 v6, vcc_lo, v13, v6, vcc_lo
	s_delay_alu instid0(VALU_DEP_3) | instskip(NEXT) | instid1(VALU_DEP_3)
	v_subrev_co_ci_u32_e64 v8, s0, 0, v8, s0
	v_cmp_le_u32_e32 vcc_lo, s2, v9
	s_delay_alu instid0(VALU_DEP_3) | instskip(SKIP_1) | instid1(VALU_DEP_4)
	v_cmp_le_u32_e64 s2, s3, v6
	v_cmp_eq_u32_e64 s1, s3, v6
	v_cmp_le_u32_e64 s0, s3, v8
	v_cndmask_b32_e64 v5, 0, -1, vcc_lo
	v_cmp_eq_u32_e32 vcc_lo, s3, v8
	v_cndmask_b32_e64 v6, 0, -1, s2
	s_delay_alu instid0(VALU_DEP_4) | instskip(SKIP_1) | instid1(VALU_DEP_1)
	v_cndmask_b32_e64 v8, 0, -1, s0
	v_add_co_u32 v9, s0, v2, 2
	v_add_co_ci_u32_e64 v11, s0, 0, v7, s0
	s_delay_alu instid0(VALU_DEP_3) | instskip(SKIP_1) | instid1(VALU_DEP_2)
	v_cndmask_b32_e32 v5, v8, v5, vcc_lo
	v_add_co_u32 v8, vcc_lo, v2, 1
	v_cmp_ne_u32_e64 s0, 0, v5
	v_cndmask_b32_e64 v5, v6, v10, s1
	v_add_co_ci_u32_e32 v6, vcc_lo, 0, v7, vcc_lo
	s_delay_alu instid0(VALU_DEP_3) | instskip(NEXT) | instid1(VALU_DEP_3)
	v_cndmask_b32_e64 v8, v8, v9, s0
	v_cmp_ne_u32_e32 vcc_lo, 0, v5
	s_delay_alu instid0(VALU_DEP_3) | instskip(SKIP_1) | instid1(VALU_DEP_2)
	v_cndmask_b32_e64 v5, v6, v11, s0
	v_xor_b32_e32 v6, s100, v45
	v_dual_cndmask_b32 v2, v2, v8 :: v_dual_cndmask_b32 v5, v7, v5
	s_delay_alu instid0(VALU_DEP_1) | instskip(NEXT) | instid1(VALU_DEP_2)
	v_xor_b32_e32 v2, v2, v6
	v_xor_b32_e32 v5, v5, v6
	s_delay_alu instid0(VALU_DEP_2) | instskip(NEXT) | instid1(VALU_DEP_2)
	v_sub_co_u32 v15, vcc_lo, v2, v6
	v_sub_co_ci_u32_e32 v16, vcc_lo, v5, v6, vcc_lo
.LBB3_5:                                ;   in Loop: Header=BB3_3 Depth=1
	s_and_not1_saveexec_b32 s0, s96
	s_cbranch_execz .LBB3_7
; %bb.6:                                ;   in Loop: Header=BB3_3 Depth=1
	s_sub_i32 s1, 0, s4
	v_mov_b32_e32 v16, v1
	v_mul_lo_u32 v2, s1, v0
	s_delay_alu instid0(VALU_DEP_1) | instskip(NEXT) | instid1(VALU_DEP_1)
	v_mul_hi_u32 v2, v0, v2
	v_add_nc_u32_e32 v2, v0, v2
	s_delay_alu instid0(VALU_DEP_1) | instskip(NEXT) | instid1(VALU_DEP_1)
	v_mul_hi_u32 v2, v3, v2
	v_mul_lo_u32 v5, v2, s4
	v_add_nc_u32_e32 v6, 1, v2
	s_delay_alu instid0(VALU_DEP_2) | instskip(NEXT) | instid1(VALU_DEP_1)
	v_sub_nc_u32_e32 v5, v3, v5
	v_cmp_le_u32_e32 vcc_lo, s4, v5
	v_subrev_nc_u32_e32 v7, s4, v5
	s_delay_alu instid0(VALU_DEP_1) | instskip(NEXT) | instid1(VALU_DEP_1)
	v_dual_cndmask_b32 v2, v2, v6 :: v_dual_cndmask_b32 v5, v5, v7
	v_add_nc_u32_e32 v6, 1, v2
	s_delay_alu instid0(VALU_DEP_2) | instskip(NEXT) | instid1(VALU_DEP_2)
	v_cmp_le_u32_e32 vcc_lo, s4, v5
	v_cndmask_b32_e32 v15, v2, v6, vcc_lo
.LBB3_7:                                ;   in Loop: Header=BB3_3 Depth=1
	s_or_b32 exec_lo, exec_lo, s0
	s_delay_alu instid0(VALU_DEP_1) | instskip(SKIP_3) | instid1(VALU_DEP_1)
	v_mul_lo_u32 v2, s104, v15
	v_mul_lo_u32 v7, vcc_hi, v16
	v_mad_u64_u32 v[5:6], null, vcc_hi, v15, 0
	s_mov_b32 s0, exec_lo
	v_add3_u32 v6, v6, v7, v2
	s_delay_alu instid0(VALU_DEP_2) | instskip(NEXT) | instid1(VALU_DEP_2)
	v_add_co_u32 v30, vcc_lo, v3, v5
                                        ; implicit-def: $vgpr7_vgpr8
	v_add_co_ci_u32_e32 v34, vcc_lo, v4, v6, vcc_lo
	s_delay_alu instid0(VALU_DEP_1) | instskip(SKIP_1) | instid1(VALU_DEP_2)
	v_or_b32_e32 v2, s39, v34
	v_ashrrev_i32_e32 v29, 31, v34
	v_cmpx_ne_u64_e32 0, v[1:2]
	s_xor_b32 s96, exec_lo, s0
	s_cbranch_execz .LBB3_9
; %bb.8:                                ;   in Loop: Header=BB3_3 Depth=1
	s_ashr_i32 s100, s39, 31
	s_delay_alu instid0(SALU_CYCLE_1) | instskip(SKIP_2) | instid1(SALU_CYCLE_1)
	s_add_u32 s0, s38, s100
	s_mov_b32 s101, s100
	s_addc_u32 s1, s39, s100
	s_xor_b64 s[2:3], s[0:1], s[100:101]
	s_delay_alu instid0(SALU_CYCLE_1) | instskip(SKIP_3) | instid1(VALU_DEP_1)
	v_cvt_f32_u32_e32 v2, s2
	v_cvt_f32_u32_e32 v7, s3
	s_sub_u32 s0, 0, s2
	s_subb_u32 s1, 0, s3
	v_fmac_f32_e32 v2, 0x4f800000, v7
	s_delay_alu instid0(VALU_DEP_1) | instskip(SKIP_2) | instid1(VALU_DEP_1)
	v_rcp_f32_e32 v2, v2
	s_waitcnt_depctr 0xfff
	v_mul_f32_e32 v2, 0x5f7ffffc, v2
	v_mul_f32_e32 v7, 0x2f800000, v2
	s_delay_alu instid0(VALU_DEP_1) | instskip(NEXT) | instid1(VALU_DEP_1)
	v_trunc_f32_e32 v7, v7
	v_fmac_f32_e32 v2, 0xcf800000, v7
	v_cvt_u32_f32_e32 v7, v7
	s_delay_alu instid0(VALU_DEP_2) | instskip(NEXT) | instid1(VALU_DEP_2)
	v_cvt_u32_f32_e32 v2, v2
	v_mul_lo_u32 v8, s0, v7
	s_delay_alu instid0(VALU_DEP_2) | instskip(SKIP_1) | instid1(VALU_DEP_2)
	v_mul_hi_u32 v9, s0, v2
	v_mul_lo_u32 v10, s1, v2
	v_add_nc_u32_e32 v8, v9, v8
	v_mul_lo_u32 v9, s0, v2
	s_delay_alu instid0(VALU_DEP_2) | instskip(NEXT) | instid1(VALU_DEP_2)
	v_add_nc_u32_e32 v8, v8, v10
	v_mul_hi_u32 v10, v2, v9
	s_delay_alu instid0(VALU_DEP_2)
	v_mul_lo_u32 v11, v2, v8
	v_mul_hi_u32 v12, v2, v8
	v_mul_hi_u32 v13, v7, v9
	v_mul_lo_u32 v9, v7, v9
	v_mul_hi_u32 v14, v7, v8
	v_mul_lo_u32 v8, v7, v8
	v_add_co_u32 v10, vcc_lo, v10, v11
	v_add_co_ci_u32_e32 v11, vcc_lo, 0, v12, vcc_lo
	s_delay_alu instid0(VALU_DEP_2) | instskip(NEXT) | instid1(VALU_DEP_2)
	v_add_co_u32 v9, vcc_lo, v10, v9
	v_add_co_ci_u32_e32 v9, vcc_lo, v11, v13, vcc_lo
	v_add_co_ci_u32_e32 v10, vcc_lo, 0, v14, vcc_lo
	s_delay_alu instid0(VALU_DEP_2) | instskip(NEXT) | instid1(VALU_DEP_2)
	v_add_co_u32 v8, vcc_lo, v9, v8
	v_add_co_ci_u32_e32 v9, vcc_lo, 0, v10, vcc_lo
	s_delay_alu instid0(VALU_DEP_2) | instskip(NEXT) | instid1(VALU_DEP_2)
	v_add_co_u32 v2, vcc_lo, v2, v8
	v_add_co_ci_u32_e32 v7, vcc_lo, v7, v9, vcc_lo
	s_delay_alu instid0(VALU_DEP_2) | instskip(SKIP_1) | instid1(VALU_DEP_3)
	v_mul_hi_u32 v8, s0, v2
	v_mul_lo_u32 v10, s1, v2
	v_mul_lo_u32 v9, s0, v7
	s_delay_alu instid0(VALU_DEP_1) | instskip(SKIP_2) | instid1(VALU_DEP_3)
	v_add_nc_u32_e32 v8, v8, v9
	v_mul_lo_u32 v9, s0, v2
	v_add_co_u32 v13, s0, v30, v29
	v_add_nc_u32_e32 v8, v8, v10
	s_delay_alu instid0(VALU_DEP_2) | instskip(NEXT) | instid1(VALU_DEP_4)
	v_xor_b32_e32 v13, v13, v29
	v_mul_hi_u32 v10, v2, v9
	s_delay_alu instid0(VALU_DEP_3)
	v_mul_lo_u32 v11, v2, v8
	v_mul_hi_u32 v12, v2, v8
	v_mul_hi_u32 v14, v7, v9
	v_mul_lo_u32 v9, v7, v9
	v_mul_hi_u32 v17, v7, v8
	v_mul_lo_u32 v8, v7, v8
	v_add_co_u32 v10, vcc_lo, v10, v11
	v_add_co_ci_u32_e32 v11, vcc_lo, 0, v12, vcc_lo
	s_delay_alu instid0(VALU_DEP_2) | instskip(NEXT) | instid1(VALU_DEP_2)
	v_add_co_u32 v9, vcc_lo, v10, v9
	v_add_co_ci_u32_e32 v9, vcc_lo, v11, v14, vcc_lo
	v_add_co_ci_u32_e32 v10, vcc_lo, 0, v17, vcc_lo
	v_add_co_ci_u32_e64 v11, vcc_lo, v34, v29, s0
	s_delay_alu instid0(VALU_DEP_3) | instskip(NEXT) | instid1(VALU_DEP_3)
	v_add_co_u32 v8, vcc_lo, v9, v8
	v_add_co_ci_u32_e32 v9, vcc_lo, 0, v10, vcc_lo
	s_delay_alu instid0(VALU_DEP_3) | instskip(NEXT) | instid1(VALU_DEP_3)
	v_xor_b32_e32 v17, v11, v29
	v_add_co_u32 v2, vcc_lo, v2, v8
	s_delay_alu instid0(VALU_DEP_3) | instskip(NEXT) | instid1(VALU_DEP_2)
	v_add_co_ci_u32_e32 v14, vcc_lo, v7, v9, vcc_lo
	v_mul_hi_u32 v18, v13, v2
	s_delay_alu instid0(VALU_DEP_4) | instskip(NEXT) | instid1(VALU_DEP_3)
	v_mad_u64_u32 v[9:10], null, v17, v2, 0
	v_mad_u64_u32 v[7:8], null, v13, v14, 0
	;; [unrolled: 1-line block ×3, first 2 shown]
	s_delay_alu instid0(VALU_DEP_2) | instskip(NEXT) | instid1(VALU_DEP_3)
	v_add_co_u32 v2, vcc_lo, v18, v7
	v_add_co_ci_u32_e32 v7, vcc_lo, 0, v8, vcc_lo
	s_delay_alu instid0(VALU_DEP_2) | instskip(NEXT) | instid1(VALU_DEP_2)
	v_add_co_u32 v2, vcc_lo, v2, v9
	v_add_co_ci_u32_e32 v2, vcc_lo, v7, v10, vcc_lo
	v_add_co_ci_u32_e32 v7, vcc_lo, 0, v12, vcc_lo
	s_delay_alu instid0(VALU_DEP_2) | instskip(NEXT) | instid1(VALU_DEP_2)
	v_add_co_u32 v2, vcc_lo, v2, v11
	v_add_co_ci_u32_e32 v9, vcc_lo, 0, v7, vcc_lo
	s_delay_alu instid0(VALU_DEP_2) | instskip(SKIP_1) | instid1(VALU_DEP_3)
	v_mul_lo_u32 v10, s3, v2
	v_mad_u64_u32 v[7:8], null, s2, v2, 0
	v_mul_lo_u32 v11, s2, v9
	s_delay_alu instid0(VALU_DEP_2) | instskip(NEXT) | instid1(VALU_DEP_2)
	v_sub_co_u32 v7, vcc_lo, v13, v7
	v_add3_u32 v8, v8, v11, v10
	s_delay_alu instid0(VALU_DEP_2) | instskip(NEXT) | instid1(VALU_DEP_2)
	v_cmp_le_u32_e64 s1, s2, v7
	v_sub_nc_u32_e32 v10, v17, v8
	s_delay_alu instid0(VALU_DEP_2) | instskip(NEXT) | instid1(VALU_DEP_2)
	v_cndmask_b32_e64 v12, 0, -1, s1
	v_subrev_co_ci_u32_e64 v10, s0, s3, v10, vcc_lo
	v_sub_co_u32 v11, s0, v7, s2
	v_sub_co_ci_u32_e32 v8, vcc_lo, v17, v8, vcc_lo
	s_delay_alu instid0(VALU_DEP_3) | instskip(NEXT) | instid1(VALU_DEP_3)
	v_subrev_co_ci_u32_e64 v10, s0, 0, v10, s0
	v_cmp_le_u32_e32 vcc_lo, s2, v11
	s_delay_alu instid0(VALU_DEP_3) | instskip(SKIP_1) | instid1(VALU_DEP_4)
	v_cmp_le_u32_e64 s2, s3, v8
	v_cmp_eq_u32_e64 s1, s3, v8
	v_cmp_le_u32_e64 s0, s3, v10
	v_cndmask_b32_e64 v7, 0, -1, vcc_lo
	v_cmp_eq_u32_e32 vcc_lo, s3, v10
	v_cndmask_b32_e64 v8, 0, -1, s2
	s_delay_alu instid0(VALU_DEP_4) | instskip(SKIP_1) | instid1(VALU_DEP_1)
	v_cndmask_b32_e64 v10, 0, -1, s0
	v_add_co_u32 v11, s0, v2, 2
	v_add_co_ci_u32_e64 v13, s0, 0, v9, s0
	s_delay_alu instid0(VALU_DEP_3) | instskip(SKIP_1) | instid1(VALU_DEP_2)
	v_cndmask_b32_e32 v7, v10, v7, vcc_lo
	v_add_co_u32 v10, vcc_lo, v2, 1
	v_cmp_ne_u32_e64 s0, 0, v7
	v_cndmask_b32_e64 v7, v8, v12, s1
	v_add_co_ci_u32_e32 v8, vcc_lo, 0, v9, vcc_lo
	s_delay_alu instid0(VALU_DEP_3) | instskip(NEXT) | instid1(VALU_DEP_3)
	v_cndmask_b32_e64 v10, v10, v11, s0
	v_cmp_ne_u32_e32 vcc_lo, 0, v7
	s_delay_alu instid0(VALU_DEP_3) | instskip(SKIP_1) | instid1(VALU_DEP_2)
	v_cndmask_b32_e64 v7, v8, v13, s0
	v_xor_b32_e32 v8, s100, v29
	v_dual_cndmask_b32 v2, v2, v10 :: v_dual_cndmask_b32 v7, v9, v7
	s_delay_alu instid0(VALU_DEP_1) | instskip(NEXT) | instid1(VALU_DEP_2)
	v_xor_b32_e32 v2, v2, v8
	v_xor_b32_e32 v9, v7, v8
	s_delay_alu instid0(VALU_DEP_2) | instskip(NEXT) | instid1(VALU_DEP_2)
	v_sub_co_u32 v7, vcc_lo, v2, v8
	v_sub_co_ci_u32_e32 v8, vcc_lo, v9, v8, vcc_lo
.LBB3_9:                                ;   in Loop: Header=BB3_3 Depth=1
	s_or_saveexec_b32 s0, s96
	v_cvt_f32_u32_e32 v23, s38
	s_xor_b32 exec_lo, exec_lo, s0
	s_cbranch_execz .LBB3_11
; %bb.10:                               ;   in Loop: Header=BB3_3 Depth=1
	s_delay_alu instid0(VALU_DEP_1) | instskip(SKIP_3) | instid1(VALU_DEP_1)
	v_rcp_iflag_f32_e32 v2, v23
	s_sub_i32 s1, 0, s38
	s_waitcnt_depctr 0xfff
	v_mul_f32_e32 v2, 0x4f7ffffe, v2
	v_cvt_u32_f32_e32 v2, v2
	s_delay_alu instid0(VALU_DEP_1) | instskip(NEXT) | instid1(VALU_DEP_1)
	v_mul_lo_u32 v7, s1, v2
	v_mul_hi_u32 v7, v2, v7
	s_delay_alu instid0(VALU_DEP_1) | instskip(NEXT) | instid1(VALU_DEP_1)
	v_add_nc_u32_e32 v2, v2, v7
	v_mul_hi_u32 v2, v30, v2
	s_delay_alu instid0(VALU_DEP_1) | instskip(SKIP_1) | instid1(VALU_DEP_2)
	v_mul_lo_u32 v7, v2, s38
	v_add_nc_u32_e32 v8, 1, v2
	v_sub_nc_u32_e32 v7, v30, v7
	s_delay_alu instid0(VALU_DEP_1) | instskip(SKIP_1) | instid1(VALU_DEP_1)
	v_cmp_le_u32_e32 vcc_lo, s38, v7
	v_subrev_nc_u32_e32 v9, s38, v7
	v_dual_cndmask_b32 v2, v2, v8 :: v_dual_cndmask_b32 v7, v7, v9
	s_delay_alu instid0(VALU_DEP_1) | instskip(NEXT) | instid1(VALU_DEP_2)
	v_add_nc_u32_e32 v8, 1, v2
	v_cmp_le_u32_e32 vcc_lo, s38, v7
	s_delay_alu instid0(VALU_DEP_2)
	v_dual_cndmask_b32 v7, v2, v8 :: v_dual_mov_b32 v8, v1
.LBB3_11:                               ;   in Loop: Header=BB3_3 Depth=1
	s_or_b32 exec_lo, exec_lo, s0
	s_delay_alu instid0(VALU_DEP_1) | instskip(NEXT) | instid1(VALU_DEP_2)
	v_mul_lo_u32 v2, v8, s8
	v_mul_lo_u32 v11, v7, s9
	v_mad_u64_u32 v[9:10], null, v7, s8, 0
                                        ; implicit-def: $vgpr17_vgpr18
	s_mov_b32 s0, exec_lo
	s_delay_alu instid0(VALU_DEP_1) | instskip(SKIP_3) | instid1(VALU_DEP_4)
	v_add3_u32 v10, v10, v11, v2
	v_mul_lo_u32 v2, v8, s38
	v_mul_lo_u32 v8, v7, s39
	v_mad_u64_u32 v[11:12], null, v7, s38, 0
	v_lshlrev_b64 v[9:10], 3, v[9:10]
	s_delay_alu instid0(VALU_DEP_2) | instskip(NEXT) | instid1(VALU_DEP_3)
	v_add3_u32 v2, v12, v8, v2
	v_sub_co_u32 v7, vcc_lo, v5, v11
	s_delay_alu instid0(VALU_DEP_2) | instskip(NEXT) | instid1(VALU_DEP_2)
	v_sub_co_ci_u32_e32 v2, vcc_lo, v6, v2, vcc_lo
	v_add_co_u32 v11, vcc_lo, v3, v7
	s_delay_alu instid0(VALU_DEP_2) | instskip(NEXT) | instid1(VALU_DEP_2)
	v_add_co_ci_u32_e32 v2, vcc_lo, v4, v2, vcc_lo
	v_mul_lo_u32 v12, v11, s11
	v_mad_u64_u32 v[7:8], null, v11, s10, 0
	s_delay_alu instid0(VALU_DEP_3) | instskip(NEXT) | instid1(VALU_DEP_1)
	v_mul_lo_u32 v2, v2, s10
	v_add3_u32 v8, v8, v12, v2
	v_add_co_u32 v2, vcc_lo, s36, v9
	v_add_co_ci_u32_e32 v9, vcc_lo, s37, v10, vcc_lo
	s_delay_alu instid0(VALU_DEP_3) | instskip(SKIP_1) | instid1(VALU_DEP_2)
	v_lshlrev_b64 v[7:8], 3, v[7:8]
	v_mad_u64_u32 v[11:12], null, v15, 3, 0
	v_add_co_u32 v13, vcc_lo, v2, v7
	s_delay_alu instid0(VALU_DEP_3) | instskip(NEXT) | instid1(VALU_DEP_3)
	v_add_co_ci_u32_e32 v14, vcc_lo, v9, v8, vcc_lo
	v_mov_b32_e32 v2, v12
	s_delay_alu instid0(VALU_DEP_4) | instskip(SKIP_4) | instid1(VALU_DEP_3)
	v_mad_u64_u32 v[7:8], null, s4, v11, s[4:5]
	global_load_b64 v[13:14], v[13:14], off
	v_mad_u64_u32 v[9:10], null, v16, 3, v[2:3]
	v_mul_lo_u32 v2, s5, v11
	v_add_co_u32 v38, vcc_lo, v3, v7
	v_mul_lo_u32 v10, s4, v9
	s_delay_alu instid0(VALU_DEP_1) | instskip(NEXT) | instid1(VALU_DEP_1)
	v_add3_u32 v8, v2, v8, v10
	v_add_co_ci_u32_e32 v39, vcc_lo, v4, v8, vcc_lo
	s_delay_alu instid0(VALU_DEP_1) | instskip(SKIP_1) | instid1(VALU_DEP_2)
	v_or_b32_e32 v2, s39, v39
	v_ashrrev_i32_e32 v33, 31, v39
	v_cmpx_ne_u64_e32 0, v[1:2]
	s_xor_b32 s96, exec_lo, s0
	s_cbranch_execz .LBB3_13
; %bb.12:                               ;   in Loop: Header=BB3_3 Depth=1
	s_ashr_i32 s100, s39, 31
	s_delay_alu instid0(SALU_CYCLE_1) | instskip(SKIP_2) | instid1(SALU_CYCLE_1)
	s_add_u32 s0, s38, s100
	s_mov_b32 s101, s100
	s_addc_u32 s1, s39, s100
	s_xor_b64 s[2:3], s[0:1], s[100:101]
	s_delay_alu instid0(SALU_CYCLE_1) | instskip(SKIP_3) | instid1(VALU_DEP_1)
	v_cvt_f32_u32_e32 v2, s2
	v_cvt_f32_u32_e32 v10, s3
	s_sub_u32 s0, 0, s2
	s_subb_u32 s1, 0, s3
	v_fmac_f32_e32 v2, 0x4f800000, v10
	s_delay_alu instid0(VALU_DEP_1) | instskip(SKIP_2) | instid1(VALU_DEP_1)
	v_rcp_f32_e32 v2, v2
	s_waitcnt_depctr 0xfff
	v_mul_f32_e32 v2, 0x5f7ffffc, v2
	v_mul_f32_e32 v10, 0x2f800000, v2
	s_delay_alu instid0(VALU_DEP_1) | instskip(NEXT) | instid1(VALU_DEP_1)
	v_trunc_f32_e32 v10, v10
	v_fmac_f32_e32 v2, 0xcf800000, v10
	v_cvt_u32_f32_e32 v10, v10
	s_delay_alu instid0(VALU_DEP_2) | instskip(NEXT) | instid1(VALU_DEP_2)
	v_cvt_u32_f32_e32 v2, v2
	v_mul_lo_u32 v12, s0, v10
	s_delay_alu instid0(VALU_DEP_2) | instskip(SKIP_1) | instid1(VALU_DEP_2)
	v_mul_hi_u32 v17, s0, v2
	v_mul_lo_u32 v18, s1, v2
	v_add_nc_u32_e32 v12, v17, v12
	v_mul_lo_u32 v17, s0, v2
	s_delay_alu instid0(VALU_DEP_2) | instskip(NEXT) | instid1(VALU_DEP_2)
	v_add_nc_u32_e32 v12, v12, v18
	v_mul_hi_u32 v18, v2, v17
	s_delay_alu instid0(VALU_DEP_2)
	v_mul_lo_u32 v19, v2, v12
	v_mul_hi_u32 v20, v2, v12
	v_mul_hi_u32 v21, v10, v17
	v_mul_lo_u32 v17, v10, v17
	v_mul_hi_u32 v22, v10, v12
	v_mul_lo_u32 v12, v10, v12
	v_add_co_u32 v18, vcc_lo, v18, v19
	v_add_co_ci_u32_e32 v19, vcc_lo, 0, v20, vcc_lo
	s_delay_alu instid0(VALU_DEP_2) | instskip(NEXT) | instid1(VALU_DEP_2)
	v_add_co_u32 v17, vcc_lo, v18, v17
	v_add_co_ci_u32_e32 v17, vcc_lo, v19, v21, vcc_lo
	v_add_co_ci_u32_e32 v18, vcc_lo, 0, v22, vcc_lo
	s_delay_alu instid0(VALU_DEP_2) | instskip(NEXT) | instid1(VALU_DEP_2)
	v_add_co_u32 v12, vcc_lo, v17, v12
	v_add_co_ci_u32_e32 v17, vcc_lo, 0, v18, vcc_lo
	s_delay_alu instid0(VALU_DEP_2) | instskip(NEXT) | instid1(VALU_DEP_2)
	v_add_co_u32 v2, vcc_lo, v2, v12
	v_add_co_ci_u32_e32 v10, vcc_lo, v10, v17, vcc_lo
	s_delay_alu instid0(VALU_DEP_2) | instskip(SKIP_1) | instid1(VALU_DEP_3)
	v_mul_hi_u32 v12, s0, v2
	v_mul_lo_u32 v18, s1, v2
	v_mul_lo_u32 v17, s0, v10
	s_delay_alu instid0(VALU_DEP_1) | instskip(SKIP_2) | instid1(VALU_DEP_3)
	v_add_nc_u32_e32 v12, v12, v17
	v_mul_lo_u32 v17, s0, v2
	v_add_co_u32 v21, s0, v38, v33
	v_add_nc_u32_e32 v12, v12, v18
	s_delay_alu instid0(VALU_DEP_3) | instskip(NEXT) | instid1(VALU_DEP_2)
	v_mul_hi_u32 v18, v2, v17
	v_mul_lo_u32 v19, v2, v12
	v_mul_hi_u32 v20, v2, v12
	v_mul_hi_u32 v22, v10, v17
	v_mul_lo_u32 v17, v10, v17
	v_mul_hi_u32 v24, v10, v12
	v_mul_lo_u32 v12, v10, v12
	v_add_co_u32 v18, vcc_lo, v18, v19
	v_add_co_ci_u32_e32 v19, vcc_lo, 0, v20, vcc_lo
	s_delay_alu instid0(VALU_DEP_2) | instskip(NEXT) | instid1(VALU_DEP_2)
	v_add_co_u32 v17, vcc_lo, v18, v17
	v_add_co_ci_u32_e32 v17, vcc_lo, v19, v22, vcc_lo
	v_add_co_ci_u32_e32 v18, vcc_lo, 0, v24, vcc_lo
	v_add_co_ci_u32_e64 v19, vcc_lo, v39, v33, s0
	s_delay_alu instid0(VALU_DEP_3) | instskip(NEXT) | instid1(VALU_DEP_3)
	v_add_co_u32 v12, vcc_lo, v17, v12
	v_add_co_ci_u32_e32 v17, vcc_lo, 0, v18, vcc_lo
	v_xor_b32_e32 v24, v21, v33
	s_delay_alu instid0(VALU_DEP_3) | instskip(NEXT) | instid1(VALU_DEP_3)
	v_add_co_u32 v2, vcc_lo, v2, v12
	v_add_co_ci_u32_e32 v10, vcc_lo, v10, v17, vcc_lo
	v_xor_b32_e32 v12, v19, v33
	s_delay_alu instid0(VALU_DEP_3) | instskip(NEXT) | instid1(VALU_DEP_3)
	v_mul_hi_u32 v25, v24, v2
	v_mad_u64_u32 v[17:18], null, v24, v10, 0
	s_delay_alu instid0(VALU_DEP_3) | instskip(SKIP_1) | instid1(VALU_DEP_3)
	v_mad_u64_u32 v[19:20], null, v12, v2, 0
	v_mad_u64_u32 v[21:22], null, v12, v10, 0
	v_add_co_u32 v2, vcc_lo, v25, v17
	s_delay_alu instid0(VALU_DEP_4) | instskip(NEXT) | instid1(VALU_DEP_2)
	v_add_co_ci_u32_e32 v10, vcc_lo, 0, v18, vcc_lo
	v_add_co_u32 v2, vcc_lo, v2, v19
	s_delay_alu instid0(VALU_DEP_2) | instskip(SKIP_1) | instid1(VALU_DEP_2)
	v_add_co_ci_u32_e32 v2, vcc_lo, v10, v20, vcc_lo
	v_add_co_ci_u32_e32 v10, vcc_lo, 0, v22, vcc_lo
	v_add_co_u32 v2, vcc_lo, v2, v21
	s_delay_alu instid0(VALU_DEP_2) | instskip(NEXT) | instid1(VALU_DEP_2)
	v_add_co_ci_u32_e32 v10, vcc_lo, 0, v10, vcc_lo
	v_mul_lo_u32 v19, s3, v2
	v_mad_u64_u32 v[17:18], null, s2, v2, 0
	s_delay_alu instid0(VALU_DEP_3) | instskip(NEXT) | instid1(VALU_DEP_2)
	v_mul_lo_u32 v20, s2, v10
	v_sub_co_u32 v17, vcc_lo, v24, v17
	s_delay_alu instid0(VALU_DEP_2) | instskip(NEXT) | instid1(VALU_DEP_2)
	v_add3_u32 v18, v18, v20, v19
	v_cmp_le_u32_e64 s1, s2, v17
	s_delay_alu instid0(VALU_DEP_2) | instskip(NEXT) | instid1(VALU_DEP_1)
	v_sub_nc_u32_e32 v19, v12, v18
	v_subrev_co_ci_u32_e64 v19, s0, s3, v19, vcc_lo
	v_sub_co_u32 v20, s0, v17, s2
	v_sub_co_ci_u32_e32 v12, vcc_lo, v12, v18, vcc_lo
	s_delay_alu instid0(VALU_DEP_3) | instskip(NEXT) | instid1(VALU_DEP_3)
	v_subrev_co_ci_u32_e64 v19, s0, 0, v19, s0
	v_cmp_le_u32_e32 vcc_lo, s2, v20
	s_delay_alu instid0(VALU_DEP_3) | instskip(SKIP_1) | instid1(VALU_DEP_4)
	v_cmp_le_u32_e64 s2, s3, v12
	v_cndmask_b32_e64 v20, 0, -1, s1
	v_cmp_le_u32_e64 s0, s3, v19
	v_cmp_eq_u32_e64 s1, s3, v12
	v_cndmask_b32_e64 v17, 0, -1, vcc_lo
	v_cmp_eq_u32_e32 vcc_lo, s3, v19
	v_cndmask_b32_e64 v12, 0, -1, s2
	v_cndmask_b32_e64 v18, 0, -1, s0
	v_add_co_u32 v19, s0, v2, 2
	s_delay_alu instid0(VALU_DEP_1) | instskip(NEXT) | instid1(VALU_DEP_3)
	v_add_co_ci_u32_e64 v21, s0, 0, v10, s0
	v_cndmask_b32_e32 v17, v18, v17, vcc_lo
	v_add_co_u32 v18, vcc_lo, v2, 1
	v_cndmask_b32_e64 v12, v12, v20, s1
	s_delay_alu instid0(VALU_DEP_3) | instskip(SKIP_1) | instid1(VALU_DEP_3)
	v_cmp_ne_u32_e64 s0, 0, v17
	v_add_co_ci_u32_e32 v17, vcc_lo, 0, v10, vcc_lo
	v_cmp_ne_u32_e32 vcc_lo, 0, v12
	s_delay_alu instid0(VALU_DEP_3) | instskip(NEXT) | instid1(VALU_DEP_3)
	v_cndmask_b32_e64 v18, v18, v19, s0
	v_cndmask_b32_e64 v12, v17, v21, s0
	v_xor_b32_e32 v19, s100, v33
	s_delay_alu instid0(VALU_DEP_3) | instskip(NEXT) | instid1(VALU_DEP_3)
	v_cndmask_b32_e32 v2, v2, v18, vcc_lo
	v_cndmask_b32_e32 v10, v10, v12, vcc_lo
	s_delay_alu instid0(VALU_DEP_2) | instskip(NEXT) | instid1(VALU_DEP_2)
	v_xor_b32_e32 v2, v2, v19
	v_xor_b32_e32 v10, v10, v19
	s_delay_alu instid0(VALU_DEP_2) | instskip(NEXT) | instid1(VALU_DEP_2)
	v_sub_co_u32 v17, vcc_lo, v2, v19
	v_sub_co_ci_u32_e32 v18, vcc_lo, v10, v19, vcc_lo
.LBB3_13:                               ;   in Loop: Header=BB3_3 Depth=1
	s_and_not1_saveexec_b32 s0, s96
	s_cbranch_execz .LBB3_15
; %bb.14:                               ;   in Loop: Header=BB3_3 Depth=1
	v_rcp_iflag_f32_e32 v2, v23
	s_sub_i32 s1, 0, s38
	v_mov_b32_e32 v18, v1
	s_waitcnt_depctr 0xfff
	v_mul_f32_e32 v2, 0x4f7ffffe, v2
	s_delay_alu instid0(VALU_DEP_1) | instskip(NEXT) | instid1(VALU_DEP_1)
	v_cvt_u32_f32_e32 v2, v2
	v_mul_lo_u32 v10, s1, v2
	s_delay_alu instid0(VALU_DEP_1) | instskip(NEXT) | instid1(VALU_DEP_1)
	v_mul_hi_u32 v10, v2, v10
	v_add_nc_u32_e32 v2, v2, v10
	s_delay_alu instid0(VALU_DEP_1) | instskip(NEXT) | instid1(VALU_DEP_1)
	v_mul_hi_u32 v2, v38, v2
	v_mul_lo_u32 v10, v2, s38
	v_add_nc_u32_e32 v12, 1, v2
	s_delay_alu instid0(VALU_DEP_2) | instskip(NEXT) | instid1(VALU_DEP_1)
	v_sub_nc_u32_e32 v10, v38, v10
	v_cmp_le_u32_e32 vcc_lo, s38, v10
	v_subrev_nc_u32_e32 v17, s38, v10
	s_delay_alu instid0(VALU_DEP_4) | instskip(NEXT) | instid1(VALU_DEP_2)
	v_cndmask_b32_e32 v2, v2, v12, vcc_lo
	v_cndmask_b32_e32 v10, v10, v17, vcc_lo
	s_delay_alu instid0(VALU_DEP_2) | instskip(NEXT) | instid1(VALU_DEP_2)
	v_add_nc_u32_e32 v12, 1, v2
	v_cmp_le_u32_e32 vcc_lo, s38, v10
	s_delay_alu instid0(VALU_DEP_2)
	v_cndmask_b32_e32 v17, v2, v12, vcc_lo
.LBB3_15:                               ;   in Loop: Header=BB3_3 Depth=1
	s_or_b32 exec_lo, exec_lo, s0
	s_delay_alu instid0(VALU_DEP_1) | instskip(NEXT) | instid1(VALU_DEP_2)
	v_mul_lo_u32 v2, v18, s8
	v_mul_lo_u32 v10, v17, s9
	v_mad_u64_u32 v[19:20], null, v17, s8, 0
	v_mad_u64_u32 v[21:22], null, v17, s38, 0
	s_mov_b32 s0, exec_lo
	s_delay_alu instid0(VALU_DEP_2) | instskip(SKIP_2) | instid1(VALU_DEP_3)
	v_add3_u32 v20, v20, v10, v2
	v_mul_lo_u32 v2, v18, s38
	v_mul_lo_u32 v10, v17, s39
	v_lshlrev_b64 v[19:20], 3, v[19:20]
	s_delay_alu instid0(VALU_DEP_2) | instskip(SKIP_1) | instid1(VALU_DEP_2)
	v_add3_u32 v2, v22, v10, v2
	v_sub_co_u32 v10, vcc_lo, v7, v21
	v_sub_co_ci_u32_e32 v2, vcc_lo, v8, v2, vcc_lo
	s_delay_alu instid0(VALU_DEP_2) | instskip(NEXT) | instid1(VALU_DEP_2)
	v_add_co_u32 v10, vcc_lo, v3, v10
	v_add_co_ci_u32_e32 v2, vcc_lo, v4, v2, vcc_lo
	s_delay_alu instid0(VALU_DEP_2) | instskip(SKIP_1) | instid1(VALU_DEP_3)
	v_mul_lo_u32 v12, v10, s11
	v_mad_u64_u32 v[17:18], null, v10, s10, 0
	v_mul_lo_u32 v2, v2, s10
	s_delay_alu instid0(VALU_DEP_1) | instskip(SKIP_2) | instid1(VALU_DEP_3)
	v_add3_u32 v18, v18, v12, v2
	v_add_co_u32 v2, vcc_lo, s36, v19
	v_add_co_ci_u32_e32 v10, vcc_lo, s37, v20, vcc_lo
	v_lshlrev_b64 v[17:18], 3, v[17:18]
	v_mov_b32_e32 v12, v9
	s_delay_alu instid0(VALU_DEP_2) | instskip(NEXT) | instid1(VALU_DEP_3)
	v_add_co_u32 v17, vcc_lo, v2, v17
	v_add_co_ci_u32_e32 v18, vcc_lo, v10, v18, vcc_lo
	v_add_co_u32 v2, vcc_lo, v11, 2
	s_delay_alu instid0(VALU_DEP_4) | instskip(SKIP_4) | instid1(VALU_DEP_1)
	v_add_co_ci_u32_e32 v9, vcc_lo, 0, v12, vcc_lo
	global_load_b64 v[17:18], v[17:18], off
	v_mul_lo_u32 v20, s5, v2
	v_mul_lo_u32 v19, s4, v9
	v_mad_u64_u32 v[9:10], null, s4, v2, 0
	v_add3_u32 v10, v10, v19, v20
	s_delay_alu instid0(VALU_DEP_2) | instskip(NEXT) | instid1(VALU_DEP_2)
	v_add_co_u32 v41, vcc_lo, v3, v9
                                        ; implicit-def: $vgpr19_vgpr20
	v_add_co_ci_u32_e32 v42, vcc_lo, v4, v10, vcc_lo
	s_delay_alu instid0(VALU_DEP_1) | instskip(SKIP_1) | instid1(VALU_DEP_2)
	v_or_b32_e32 v2, s39, v42
	v_ashrrev_i32_e32 v37, 31, v42
	v_cmpx_ne_u64_e32 0, v[1:2]
	s_xor_b32 s96, exec_lo, s0
	s_cbranch_execz .LBB3_17
; %bb.16:                               ;   in Loop: Header=BB3_3 Depth=1
	s_ashr_i32 s100, s39, 31
	s_delay_alu instid0(SALU_CYCLE_1) | instskip(SKIP_2) | instid1(SALU_CYCLE_1)
	s_add_u32 s0, s38, s100
	s_mov_b32 s101, s100
	s_addc_u32 s1, s39, s100
	s_xor_b64 s[2:3], s[0:1], s[100:101]
	s_delay_alu instid0(SALU_CYCLE_1) | instskip(SKIP_3) | instid1(VALU_DEP_1)
	v_cvt_f32_u32_e32 v2, s2
	v_cvt_f32_u32_e32 v19, s3
	s_sub_u32 s0, 0, s2
	s_subb_u32 s1, 0, s3
	v_fmac_f32_e32 v2, 0x4f800000, v19
	s_delay_alu instid0(VALU_DEP_1) | instskip(SKIP_2) | instid1(VALU_DEP_1)
	v_rcp_f32_e32 v2, v2
	s_waitcnt_depctr 0xfff
	v_mul_f32_e32 v2, 0x5f7ffffc, v2
	v_mul_f32_e32 v19, 0x2f800000, v2
	s_delay_alu instid0(VALU_DEP_1) | instskip(NEXT) | instid1(VALU_DEP_1)
	v_trunc_f32_e32 v19, v19
	v_fmac_f32_e32 v2, 0xcf800000, v19
	v_cvt_u32_f32_e32 v19, v19
	s_delay_alu instid0(VALU_DEP_2) | instskip(NEXT) | instid1(VALU_DEP_2)
	v_cvt_u32_f32_e32 v2, v2
	v_mul_lo_u32 v20, s0, v19
	s_delay_alu instid0(VALU_DEP_2) | instskip(SKIP_1) | instid1(VALU_DEP_2)
	v_mul_hi_u32 v21, s0, v2
	v_mul_lo_u32 v22, s1, v2
	v_add_nc_u32_e32 v20, v21, v20
	v_mul_lo_u32 v21, s0, v2
	s_delay_alu instid0(VALU_DEP_2) | instskip(NEXT) | instid1(VALU_DEP_2)
	v_add_nc_u32_e32 v20, v20, v22
	v_mul_hi_u32 v22, v2, v21
	s_delay_alu instid0(VALU_DEP_2)
	v_mul_lo_u32 v24, v2, v20
	v_mul_hi_u32 v25, v2, v20
	v_mul_hi_u32 v26, v19, v21
	v_mul_lo_u32 v21, v19, v21
	v_mul_hi_u32 v27, v19, v20
	v_mul_lo_u32 v20, v19, v20
	v_add_co_u32 v22, vcc_lo, v22, v24
	v_add_co_ci_u32_e32 v24, vcc_lo, 0, v25, vcc_lo
	s_delay_alu instid0(VALU_DEP_2) | instskip(NEXT) | instid1(VALU_DEP_2)
	v_add_co_u32 v21, vcc_lo, v22, v21
	v_add_co_ci_u32_e32 v21, vcc_lo, v24, v26, vcc_lo
	v_add_co_ci_u32_e32 v22, vcc_lo, 0, v27, vcc_lo
	s_delay_alu instid0(VALU_DEP_2) | instskip(NEXT) | instid1(VALU_DEP_2)
	v_add_co_u32 v20, vcc_lo, v21, v20
	v_add_co_ci_u32_e32 v21, vcc_lo, 0, v22, vcc_lo
	s_delay_alu instid0(VALU_DEP_2) | instskip(NEXT) | instid1(VALU_DEP_2)
	v_add_co_u32 v2, vcc_lo, v2, v20
	v_add_co_ci_u32_e32 v19, vcc_lo, v19, v21, vcc_lo
	s_delay_alu instid0(VALU_DEP_2) | instskip(SKIP_1) | instid1(VALU_DEP_3)
	v_mul_hi_u32 v20, s0, v2
	v_mul_lo_u32 v22, s1, v2
	v_mul_lo_u32 v21, s0, v19
	s_delay_alu instid0(VALU_DEP_1) | instskip(SKIP_2) | instid1(VALU_DEP_3)
	v_add_nc_u32_e32 v20, v20, v21
	v_mul_lo_u32 v21, s0, v2
	v_add_co_u32 v26, s0, v41, v37
	v_add_nc_u32_e32 v20, v20, v22
	s_delay_alu instid0(VALU_DEP_2) | instskip(NEXT) | instid1(VALU_DEP_4)
	v_xor_b32_e32 v26, v26, v37
	v_mul_hi_u32 v22, v2, v21
	s_delay_alu instid0(VALU_DEP_3)
	v_mul_lo_u32 v24, v2, v20
	v_mul_hi_u32 v25, v2, v20
	v_mul_hi_u32 v27, v19, v21
	v_mul_lo_u32 v21, v19, v21
	v_mul_hi_u32 v28, v19, v20
	v_mul_lo_u32 v20, v19, v20
	v_add_co_u32 v22, vcc_lo, v22, v24
	v_add_co_ci_u32_e32 v24, vcc_lo, 0, v25, vcc_lo
	s_delay_alu instid0(VALU_DEP_2) | instskip(NEXT) | instid1(VALU_DEP_2)
	v_add_co_u32 v21, vcc_lo, v22, v21
	v_add_co_ci_u32_e32 v21, vcc_lo, v24, v27, vcc_lo
	v_add_co_ci_u32_e32 v22, vcc_lo, 0, v28, vcc_lo
	v_add_co_ci_u32_e64 v24, vcc_lo, v42, v37, s0
	s_delay_alu instid0(VALU_DEP_3) | instskip(NEXT) | instid1(VALU_DEP_3)
	v_add_co_u32 v20, vcc_lo, v21, v20
	v_add_co_ci_u32_e32 v21, vcc_lo, 0, v22, vcc_lo
	s_delay_alu instid0(VALU_DEP_3) | instskip(NEXT) | instid1(VALU_DEP_3)
	v_xor_b32_e32 v28, v24, v37
	v_add_co_u32 v2, vcc_lo, v2, v20
	s_delay_alu instid0(VALU_DEP_3) | instskip(NEXT) | instid1(VALU_DEP_2)
	v_add_co_ci_u32_e32 v27, vcc_lo, v19, v21, vcc_lo
	v_mul_hi_u32 v31, v26, v2
	s_delay_alu instid0(VALU_DEP_4) | instskip(NEXT) | instid1(VALU_DEP_3)
	v_mad_u64_u32 v[21:22], null, v28, v2, 0
	v_mad_u64_u32 v[19:20], null, v26, v27, 0
	;; [unrolled: 1-line block ×3, first 2 shown]
	s_delay_alu instid0(VALU_DEP_2) | instskip(NEXT) | instid1(VALU_DEP_3)
	v_add_co_u32 v2, vcc_lo, v31, v19
	v_add_co_ci_u32_e32 v19, vcc_lo, 0, v20, vcc_lo
	s_delay_alu instid0(VALU_DEP_2) | instskip(NEXT) | instid1(VALU_DEP_2)
	v_add_co_u32 v2, vcc_lo, v2, v21
	v_add_co_ci_u32_e32 v2, vcc_lo, v19, v22, vcc_lo
	v_add_co_ci_u32_e32 v19, vcc_lo, 0, v25, vcc_lo
	s_delay_alu instid0(VALU_DEP_2) | instskip(NEXT) | instid1(VALU_DEP_2)
	v_add_co_u32 v2, vcc_lo, v2, v24
	v_add_co_ci_u32_e32 v21, vcc_lo, 0, v19, vcc_lo
	s_delay_alu instid0(VALU_DEP_2) | instskip(SKIP_1) | instid1(VALU_DEP_3)
	v_mul_lo_u32 v22, s3, v2
	v_mad_u64_u32 v[19:20], null, s2, v2, 0
	v_mul_lo_u32 v24, s2, v21
	s_delay_alu instid0(VALU_DEP_2) | instskip(NEXT) | instid1(VALU_DEP_2)
	v_sub_co_u32 v19, vcc_lo, v26, v19
	v_add3_u32 v20, v20, v24, v22
	s_delay_alu instid0(VALU_DEP_2) | instskip(NEXT) | instid1(VALU_DEP_2)
	v_cmp_le_u32_e64 s1, s2, v19
	v_sub_nc_u32_e32 v22, v28, v20
	s_delay_alu instid0(VALU_DEP_2) | instskip(NEXT) | instid1(VALU_DEP_2)
	v_cndmask_b32_e64 v25, 0, -1, s1
	v_subrev_co_ci_u32_e64 v22, s0, s3, v22, vcc_lo
	v_sub_co_u32 v24, s0, v19, s2
	v_sub_co_ci_u32_e32 v20, vcc_lo, v28, v20, vcc_lo
	s_delay_alu instid0(VALU_DEP_3) | instskip(NEXT) | instid1(VALU_DEP_3)
	v_subrev_co_ci_u32_e64 v22, s0, 0, v22, s0
	v_cmp_le_u32_e32 vcc_lo, s2, v24
	s_delay_alu instid0(VALU_DEP_3) | instskip(SKIP_1) | instid1(VALU_DEP_4)
	v_cmp_le_u32_e64 s2, s3, v20
	v_cmp_eq_u32_e64 s1, s3, v20
	v_cmp_le_u32_e64 s0, s3, v22
	v_cndmask_b32_e64 v19, 0, -1, vcc_lo
	v_cmp_eq_u32_e32 vcc_lo, s3, v22
	v_cndmask_b32_e64 v20, 0, -1, s2
	s_delay_alu instid0(VALU_DEP_4) | instskip(SKIP_1) | instid1(VALU_DEP_1)
	v_cndmask_b32_e64 v22, 0, -1, s0
	v_add_co_u32 v24, s0, v2, 2
	v_add_co_ci_u32_e64 v26, s0, 0, v21, s0
	s_delay_alu instid0(VALU_DEP_3) | instskip(SKIP_1) | instid1(VALU_DEP_2)
	v_cndmask_b32_e32 v19, v22, v19, vcc_lo
	v_add_co_u32 v22, vcc_lo, v2, 1
	v_cmp_ne_u32_e64 s0, 0, v19
	v_cndmask_b32_e64 v19, v20, v25, s1
	v_add_co_ci_u32_e32 v20, vcc_lo, 0, v21, vcc_lo
	s_delay_alu instid0(VALU_DEP_3) | instskip(NEXT) | instid1(VALU_DEP_3)
	v_cndmask_b32_e64 v22, v22, v24, s0
	v_cmp_ne_u32_e32 vcc_lo, 0, v19
	s_delay_alu instid0(VALU_DEP_3) | instskip(SKIP_1) | instid1(VALU_DEP_2)
	v_cndmask_b32_e64 v19, v20, v26, s0
	v_xor_b32_e32 v20, s100, v37
	v_dual_cndmask_b32 v2, v2, v22 :: v_dual_cndmask_b32 v19, v21, v19
	s_delay_alu instid0(VALU_DEP_1) | instskip(NEXT) | instid1(VALU_DEP_2)
	v_xor_b32_e32 v2, v2, v20
	v_xor_b32_e32 v21, v19, v20
	s_delay_alu instid0(VALU_DEP_2) | instskip(NEXT) | instid1(VALU_DEP_2)
	v_sub_co_u32 v19, vcc_lo, v2, v20
	v_sub_co_ci_u32_e32 v20, vcc_lo, v21, v20, vcc_lo
.LBB3_17:                               ;   in Loop: Header=BB3_3 Depth=1
	s_and_not1_saveexec_b32 s0, s96
	s_cbranch_execz .LBB3_19
; %bb.18:                               ;   in Loop: Header=BB3_3 Depth=1
	v_rcp_iflag_f32_e32 v2, v23
	s_sub_i32 s1, 0, s38
	s_waitcnt_depctr 0xfff
	v_mul_f32_e32 v2, 0x4f7ffffe, v2
	s_delay_alu instid0(VALU_DEP_1) | instskip(NEXT) | instid1(VALU_DEP_1)
	v_cvt_u32_f32_e32 v2, v2
	v_mul_lo_u32 v19, s1, v2
	s_delay_alu instid0(VALU_DEP_1) | instskip(NEXT) | instid1(VALU_DEP_1)
	v_mul_hi_u32 v19, v2, v19
	v_add_nc_u32_e32 v2, v2, v19
	s_delay_alu instid0(VALU_DEP_1) | instskip(NEXT) | instid1(VALU_DEP_1)
	v_mul_hi_u32 v2, v41, v2
	v_mul_lo_u32 v19, v2, s38
	v_add_nc_u32_e32 v20, 1, v2
	s_delay_alu instid0(VALU_DEP_2) | instskip(NEXT) | instid1(VALU_DEP_1)
	v_sub_nc_u32_e32 v19, v41, v19
	v_cmp_le_u32_e32 vcc_lo, s38, v19
	v_subrev_nc_u32_e32 v21, s38, v19
	s_delay_alu instid0(VALU_DEP_1) | instskip(NEXT) | instid1(VALU_DEP_1)
	v_dual_cndmask_b32 v2, v2, v20 :: v_dual_cndmask_b32 v19, v19, v21
	v_add_nc_u32_e32 v20, 1, v2
	s_delay_alu instid0(VALU_DEP_2) | instskip(NEXT) | instid1(VALU_DEP_2)
	v_cmp_le_u32_e32 vcc_lo, s38, v19
	v_dual_cndmask_b32 v19, v2, v20 :: v_dual_mov_b32 v20, v1
.LBB3_19:                               ;   in Loop: Header=BB3_3 Depth=1
	s_or_b32 exec_lo, exec_lo, s0
	s_delay_alu instid0(VALU_DEP_1) | instskip(NEXT) | instid1(VALU_DEP_2)
	v_mul_lo_u32 v2, v20, s8
	v_mul_lo_u32 v24, v19, s9
	v_mad_u64_u32 v[21:22], null, v19, s8, 0
	s_mov_b32 s0, exec_lo
	s_delay_alu instid0(VALU_DEP_1) | instskip(SKIP_3) | instid1(VALU_DEP_4)
	v_add3_u32 v22, v22, v24, v2
	v_mul_lo_u32 v2, v20, s38
	v_mul_lo_u32 v20, v19, s39
	v_mad_u64_u32 v[24:25], null, v19, s38, 0
	v_lshlrev_b64 v[21:22], 3, v[21:22]
	s_delay_alu instid0(VALU_DEP_2) | instskip(NEXT) | instid1(VALU_DEP_3)
	v_add3_u32 v2, v25, v20, v2
	v_sub_co_u32 v19, vcc_lo, v9, v24
	s_delay_alu instid0(VALU_DEP_2) | instskip(NEXT) | instid1(VALU_DEP_2)
	v_sub_co_ci_u32_e32 v2, vcc_lo, v10, v2, vcc_lo
	v_add_co_u32 v24, vcc_lo, v3, v19
	s_delay_alu instid0(VALU_DEP_2) | instskip(NEXT) | instid1(VALU_DEP_2)
	v_add_co_ci_u32_e32 v2, vcc_lo, v4, v2, vcc_lo
	v_mul_lo_u32 v25, v24, s11
	v_mad_u64_u32 v[19:20], null, v24, s10, 0
	s_delay_alu instid0(VALU_DEP_3) | instskip(NEXT) | instid1(VALU_DEP_1)
	v_mul_lo_u32 v2, v2, s10
	v_add3_u32 v20, v20, v25, v2
	v_add_co_u32 v2, vcc_lo, s36, v21
	v_add_co_ci_u32_e32 v21, vcc_lo, s37, v22, vcc_lo
	s_delay_alu instid0(VALU_DEP_3) | instskip(NEXT) | instid1(VALU_DEP_1)
	v_lshlrev_b64 v[19:20], 3, v[19:20]
	v_add_co_u32 v19, vcc_lo, v2, v19
	s_delay_alu instid0(VALU_DEP_2)
	v_add_co_ci_u32_e32 v20, vcc_lo, v21, v20, vcc_lo
	v_add_co_u32 v2, vcc_lo, v11, 3
	v_add_co_ci_u32_e32 v11, vcc_lo, 0, v12, vcc_lo
	global_load_b64 v[21:22], v[19:20], off
	v_mul_lo_u32 v19, s5, v2
	v_mul_lo_u32 v20, s4, v11
	v_mad_u64_u32 v[11:12], null, s4, v2, 0
	s_delay_alu instid0(VALU_DEP_1) | instskip(NEXT) | instid1(VALU_DEP_2)
	v_add3_u32 v12, v12, v20, v19
	v_add_co_u32 v43, vcc_lo, v3, v11
                                        ; implicit-def: $vgpr19_vgpr20
	s_delay_alu instid0(VALU_DEP_2) | instskip(NEXT) | instid1(VALU_DEP_1)
	v_add_co_ci_u32_e32 v44, vcc_lo, v4, v12, vcc_lo
	v_or_b32_e32 v2, s39, v44
	v_ashrrev_i32_e32 v40, 31, v44
	s_delay_alu instid0(VALU_DEP_2)
	v_cmpx_ne_u64_e32 0, v[1:2]
	s_xor_b32 s96, exec_lo, s0
	s_cbranch_execz .LBB3_21
; %bb.20:                               ;   in Loop: Header=BB3_3 Depth=1
	s_ashr_i32 s100, s39, 31
	s_delay_alu instid0(SALU_CYCLE_1) | instskip(SKIP_2) | instid1(SALU_CYCLE_1)
	s_add_u32 s0, s38, s100
	s_mov_b32 s101, s100
	s_addc_u32 s1, s39, s100
	s_xor_b64 s[2:3], s[0:1], s[100:101]
	s_delay_alu instid0(SALU_CYCLE_1) | instskip(SKIP_3) | instid1(VALU_DEP_1)
	v_cvt_f32_u32_e32 v2, s2
	v_cvt_f32_u32_e32 v19, s3
	s_sub_u32 s0, 0, s2
	s_subb_u32 s1, 0, s3
	v_fmac_f32_e32 v2, 0x4f800000, v19
	s_delay_alu instid0(VALU_DEP_1) | instskip(SKIP_2) | instid1(VALU_DEP_1)
	v_rcp_f32_e32 v2, v2
	s_waitcnt_depctr 0xfff
	v_mul_f32_e32 v2, 0x5f7ffffc, v2
	v_mul_f32_e32 v19, 0x2f800000, v2
	s_delay_alu instid0(VALU_DEP_1) | instskip(NEXT) | instid1(VALU_DEP_1)
	v_trunc_f32_e32 v19, v19
	v_fmac_f32_e32 v2, 0xcf800000, v19
	v_cvt_u32_f32_e32 v19, v19
	s_delay_alu instid0(VALU_DEP_2) | instskip(NEXT) | instid1(VALU_DEP_2)
	v_cvt_u32_f32_e32 v2, v2
	v_mul_lo_u32 v20, s0, v19
	s_delay_alu instid0(VALU_DEP_2) | instskip(SKIP_1) | instid1(VALU_DEP_2)
	v_mul_hi_u32 v23, s0, v2
	v_mul_lo_u32 v24, s1, v2
	v_add_nc_u32_e32 v20, v23, v20
	v_mul_lo_u32 v23, s0, v2
	s_delay_alu instid0(VALU_DEP_2) | instskip(NEXT) | instid1(VALU_DEP_2)
	v_add_nc_u32_e32 v20, v20, v24
	v_mul_hi_u32 v24, v2, v23
	s_delay_alu instid0(VALU_DEP_2)
	v_mul_lo_u32 v25, v2, v20
	v_mul_hi_u32 v26, v2, v20
	v_mul_hi_u32 v27, v19, v23
	v_mul_lo_u32 v23, v19, v23
	v_mul_hi_u32 v28, v19, v20
	v_mul_lo_u32 v20, v19, v20
	v_add_co_u32 v24, vcc_lo, v24, v25
	v_add_co_ci_u32_e32 v25, vcc_lo, 0, v26, vcc_lo
	s_delay_alu instid0(VALU_DEP_2) | instskip(NEXT) | instid1(VALU_DEP_2)
	v_add_co_u32 v23, vcc_lo, v24, v23
	v_add_co_ci_u32_e32 v23, vcc_lo, v25, v27, vcc_lo
	v_add_co_ci_u32_e32 v24, vcc_lo, 0, v28, vcc_lo
	s_delay_alu instid0(VALU_DEP_2) | instskip(NEXT) | instid1(VALU_DEP_2)
	v_add_co_u32 v20, vcc_lo, v23, v20
	v_add_co_ci_u32_e32 v23, vcc_lo, 0, v24, vcc_lo
	s_delay_alu instid0(VALU_DEP_2) | instskip(NEXT) | instid1(VALU_DEP_2)
	v_add_co_u32 v2, vcc_lo, v2, v20
	v_add_co_ci_u32_e32 v19, vcc_lo, v19, v23, vcc_lo
	s_delay_alu instid0(VALU_DEP_2) | instskip(SKIP_1) | instid1(VALU_DEP_3)
	v_mul_hi_u32 v20, s0, v2
	v_mul_lo_u32 v24, s1, v2
	v_mul_lo_u32 v23, s0, v19
	s_delay_alu instid0(VALU_DEP_1) | instskip(SKIP_2) | instid1(VALU_DEP_3)
	v_add_nc_u32_e32 v20, v20, v23
	v_mul_lo_u32 v23, s0, v2
	v_add_co_u32 v27, s0, v43, v40
	v_add_nc_u32_e32 v20, v20, v24
	s_delay_alu instid0(VALU_DEP_2) | instskip(NEXT) | instid1(VALU_DEP_4)
	v_xor_b32_e32 v27, v27, v40
	v_mul_hi_u32 v24, v2, v23
	s_delay_alu instid0(VALU_DEP_3)
	v_mul_lo_u32 v25, v2, v20
	v_mul_hi_u32 v26, v2, v20
	v_mul_hi_u32 v28, v19, v23
	v_mul_lo_u32 v23, v19, v23
	v_mul_hi_u32 v31, v19, v20
	v_mul_lo_u32 v20, v19, v20
	v_add_co_u32 v24, vcc_lo, v24, v25
	v_add_co_ci_u32_e32 v25, vcc_lo, 0, v26, vcc_lo
	s_delay_alu instid0(VALU_DEP_2) | instskip(NEXT) | instid1(VALU_DEP_2)
	v_add_co_u32 v23, vcc_lo, v24, v23
	v_add_co_ci_u32_e32 v23, vcc_lo, v25, v28, vcc_lo
	v_add_co_ci_u32_e32 v24, vcc_lo, 0, v31, vcc_lo
	v_add_co_ci_u32_e64 v25, vcc_lo, v44, v40, s0
	s_delay_alu instid0(VALU_DEP_3) | instskip(NEXT) | instid1(VALU_DEP_3)
	v_add_co_u32 v20, vcc_lo, v23, v20
	v_add_co_ci_u32_e32 v23, vcc_lo, 0, v24, vcc_lo
	s_delay_alu instid0(VALU_DEP_3) | instskip(NEXT) | instid1(VALU_DEP_3)
	v_xor_b32_e32 v31, v25, v40
	v_add_co_u32 v2, vcc_lo, v2, v20
	s_delay_alu instid0(VALU_DEP_3) | instskip(NEXT) | instid1(VALU_DEP_2)
	v_add_co_ci_u32_e32 v28, vcc_lo, v19, v23, vcc_lo
	v_mul_hi_u32 v32, v27, v2
	s_delay_alu instid0(VALU_DEP_4) | instskip(NEXT) | instid1(VALU_DEP_3)
	v_mad_u64_u32 v[23:24], null, v31, v2, 0
	v_mad_u64_u32 v[19:20], null, v27, v28, 0
	;; [unrolled: 1-line block ×3, first 2 shown]
	s_delay_alu instid0(VALU_DEP_2) | instskip(NEXT) | instid1(VALU_DEP_3)
	v_add_co_u32 v2, vcc_lo, v32, v19
	v_add_co_ci_u32_e32 v19, vcc_lo, 0, v20, vcc_lo
	s_delay_alu instid0(VALU_DEP_2) | instskip(NEXT) | instid1(VALU_DEP_2)
	v_add_co_u32 v2, vcc_lo, v2, v23
	v_add_co_ci_u32_e32 v2, vcc_lo, v19, v24, vcc_lo
	v_add_co_ci_u32_e32 v19, vcc_lo, 0, v26, vcc_lo
	s_delay_alu instid0(VALU_DEP_2) | instskip(NEXT) | instid1(VALU_DEP_2)
	v_add_co_u32 v2, vcc_lo, v2, v25
	v_add_co_ci_u32_e32 v23, vcc_lo, 0, v19, vcc_lo
	s_delay_alu instid0(VALU_DEP_2) | instskip(SKIP_1) | instid1(VALU_DEP_3)
	v_mul_lo_u32 v24, s3, v2
	v_mad_u64_u32 v[19:20], null, s2, v2, 0
	v_mul_lo_u32 v25, s2, v23
	s_delay_alu instid0(VALU_DEP_2) | instskip(NEXT) | instid1(VALU_DEP_2)
	v_sub_co_u32 v19, vcc_lo, v27, v19
	v_add3_u32 v20, v20, v25, v24
	s_delay_alu instid0(VALU_DEP_2) | instskip(NEXT) | instid1(VALU_DEP_2)
	v_cmp_le_u32_e64 s1, s2, v19
	v_sub_nc_u32_e32 v24, v31, v20
	s_delay_alu instid0(VALU_DEP_2) | instskip(NEXT) | instid1(VALU_DEP_2)
	v_cndmask_b32_e64 v26, 0, -1, s1
	v_subrev_co_ci_u32_e64 v24, s0, s3, v24, vcc_lo
	v_sub_co_u32 v25, s0, v19, s2
	v_sub_co_ci_u32_e32 v20, vcc_lo, v31, v20, vcc_lo
	s_delay_alu instid0(VALU_DEP_3) | instskip(NEXT) | instid1(VALU_DEP_3)
	v_subrev_co_ci_u32_e64 v24, s0, 0, v24, s0
	v_cmp_le_u32_e32 vcc_lo, s2, v25
	s_delay_alu instid0(VALU_DEP_3) | instskip(SKIP_1) | instid1(VALU_DEP_4)
	v_cmp_le_u32_e64 s2, s3, v20
	v_cmp_eq_u32_e64 s1, s3, v20
	v_cmp_le_u32_e64 s0, s3, v24
	v_cndmask_b32_e64 v19, 0, -1, vcc_lo
	v_cmp_eq_u32_e32 vcc_lo, s3, v24
	v_cndmask_b32_e64 v20, 0, -1, s2
	s_delay_alu instid0(VALU_DEP_4) | instskip(SKIP_1) | instid1(VALU_DEP_1)
	v_cndmask_b32_e64 v24, 0, -1, s0
	v_add_co_u32 v25, s0, v2, 2
	v_add_co_ci_u32_e64 v27, s0, 0, v23, s0
	s_delay_alu instid0(VALU_DEP_3) | instskip(SKIP_1) | instid1(VALU_DEP_2)
	v_cndmask_b32_e32 v19, v24, v19, vcc_lo
	v_add_co_u32 v24, vcc_lo, v2, 1
	v_cmp_ne_u32_e64 s0, 0, v19
	v_cndmask_b32_e64 v19, v20, v26, s1
	v_add_co_ci_u32_e32 v20, vcc_lo, 0, v23, vcc_lo
	s_delay_alu instid0(VALU_DEP_3) | instskip(NEXT) | instid1(VALU_DEP_3)
	v_cndmask_b32_e64 v24, v24, v25, s0
	v_cmp_ne_u32_e32 vcc_lo, 0, v19
	s_delay_alu instid0(VALU_DEP_3) | instskip(SKIP_1) | instid1(VALU_DEP_2)
	v_cndmask_b32_e64 v19, v20, v27, s0
	v_xor_b32_e32 v20, s100, v40
	v_dual_cndmask_b32 v2, v2, v24 :: v_dual_cndmask_b32 v19, v23, v19
	s_delay_alu instid0(VALU_DEP_1) | instskip(NEXT) | instid1(VALU_DEP_2)
	v_xor_b32_e32 v2, v2, v20
	v_xor_b32_e32 v23, v19, v20
	s_delay_alu instid0(VALU_DEP_2) | instskip(NEXT) | instid1(VALU_DEP_2)
	v_sub_co_u32 v19, vcc_lo, v2, v20
	v_sub_co_ci_u32_e32 v20, vcc_lo, v23, v20, vcc_lo
                                        ; implicit-def: $vgpr23
.LBB3_21:                               ;   in Loop: Header=BB3_3 Depth=1
	s_and_not1_saveexec_b32 s0, s96
	s_cbranch_execz .LBB3_23
; %bb.22:                               ;   in Loop: Header=BB3_3 Depth=1
	v_rcp_iflag_f32_e32 v2, v23
	s_sub_i32 s1, 0, s38
	s_waitcnt_depctr 0xfff
	v_mul_f32_e32 v2, 0x4f7ffffe, v2
	s_delay_alu instid0(VALU_DEP_1) | instskip(NEXT) | instid1(VALU_DEP_1)
	v_cvt_u32_f32_e32 v2, v2
	v_mul_lo_u32 v19, s1, v2
	s_delay_alu instid0(VALU_DEP_1) | instskip(NEXT) | instid1(VALU_DEP_1)
	v_mul_hi_u32 v19, v2, v19
	v_add_nc_u32_e32 v2, v2, v19
	s_delay_alu instid0(VALU_DEP_1) | instskip(NEXT) | instid1(VALU_DEP_1)
	v_mul_hi_u32 v2, v43, v2
	v_mul_lo_u32 v19, v2, s38
	v_add_nc_u32_e32 v20, 1, v2
	s_delay_alu instid0(VALU_DEP_2) | instskip(NEXT) | instid1(VALU_DEP_1)
	v_sub_nc_u32_e32 v19, v43, v19
	v_cmp_le_u32_e32 vcc_lo, s38, v19
	v_subrev_nc_u32_e32 v23, s38, v19
	s_delay_alu instid0(VALU_DEP_1) | instskip(NEXT) | instid1(VALU_DEP_1)
	v_dual_cndmask_b32 v2, v2, v20 :: v_dual_cndmask_b32 v19, v19, v23
	v_add_nc_u32_e32 v20, 1, v2
	s_delay_alu instid0(VALU_DEP_2) | instskip(NEXT) | instid1(VALU_DEP_2)
	v_cmp_le_u32_e32 vcc_lo, s38, v19
	v_dual_cndmask_b32 v19, v2, v20 :: v_dual_mov_b32 v20, v1
.LBB3_23:                               ;   in Loop: Header=BB3_3 Depth=1
	s_or_b32 exec_lo, exec_lo, s0
	s_delay_alu instid0(VALU_DEP_1) | instskip(NEXT) | instid1(VALU_DEP_2)
	v_mul_lo_u32 v2, v20, s38
	v_mul_lo_u32 v25, v19, s39
	v_mad_u64_u32 v[23:24], null, v19, s38, 0
	v_mul_lo_u32 v20, v20, s8
	v_mul_lo_u32 v26, v19, s9
	s_mov_b32 s0, exec_lo
	s_delay_alu instid0(VALU_DEP_3) | instskip(NEXT) | instid1(VALU_DEP_4)
	v_add3_u32 v2, v24, v25, v2
	v_sub_co_u32 v25, vcc_lo, v11, v23
	v_mad_u64_u32 v[23:24], null, v19, s8, 0
	s_delay_alu instid0(VALU_DEP_3) | instskip(NEXT) | instid1(VALU_DEP_3)
	v_sub_co_ci_u32_e32 v2, vcc_lo, v12, v2, vcc_lo
	v_add_co_u32 v25, vcc_lo, v3, v25
	s_delay_alu instid0(VALU_DEP_2) | instskip(NEXT) | instid1(VALU_DEP_4)
	v_add_co_ci_u32_e32 v2, vcc_lo, v4, v2, vcc_lo
	v_add3_u32 v24, v24, v26, v20
	s_delay_alu instid0(VALU_DEP_3) | instskip(SKIP_1) | instid1(VALU_DEP_4)
	v_mul_lo_u32 v26, v25, s11
	v_mad_u64_u32 v[19:20], null, v25, s10, 0
	v_mul_lo_u32 v2, v2, s10
	s_delay_alu instid0(VALU_DEP_4) | instskip(NEXT) | instid1(VALU_DEP_2)
	v_lshlrev_b64 v[23:24], 3, v[23:24]
	v_add3_u32 v20, v20, v26, v2
	s_delay_alu instid0(VALU_DEP_2) | instskip(NEXT) | instid1(VALU_DEP_3)
	v_add_co_u32 v2, vcc_lo, s36, v23
	v_add_co_ci_u32_e32 v23, vcc_lo, s37, v24, vcc_lo
	s_delay_alu instid0(VALU_DEP_3) | instskip(NEXT) | instid1(VALU_DEP_1)
	v_lshlrev_b64 v[19:20], 3, v[19:20]
	v_add_co_u32 v19, vcc_lo, v2, v19
	s_delay_alu instid0(VALU_DEP_2)
	v_add_co_ci_u32_e32 v20, vcc_lo, v23, v20, vcc_lo
	v_or_b32_e32 v2, s43, v34
                                        ; implicit-def: $vgpr23_vgpr24
	global_load_b64 v[19:20], v[19:20], off
	v_cmpx_ne_u64_e32 0, v[1:2]
	s_xor_b32 s96, exec_lo, s0
	s_cbranch_execz .LBB3_25
; %bb.24:                               ;   in Loop: Header=BB3_3 Depth=1
	s_ashr_i32 s100, s43, 31
	s_delay_alu instid0(SALU_CYCLE_1) | instskip(SKIP_2) | instid1(SALU_CYCLE_1)
	s_add_u32 s0, s42, s100
	s_mov_b32 s101, s100
	s_addc_u32 s1, s43, s100
	s_xor_b64 s[2:3], s[0:1], s[100:101]
	s_delay_alu instid0(SALU_CYCLE_1) | instskip(SKIP_3) | instid1(VALU_DEP_1)
	v_cvt_f32_u32_e32 v2, s2
	v_cvt_f32_u32_e32 v23, s3
	s_sub_u32 s0, 0, s2
	s_subb_u32 s1, 0, s3
	v_fmac_f32_e32 v2, 0x4f800000, v23
	s_delay_alu instid0(VALU_DEP_1) | instskip(SKIP_2) | instid1(VALU_DEP_1)
	v_rcp_f32_e32 v2, v2
	s_waitcnt_depctr 0xfff
	v_mul_f32_e32 v2, 0x5f7ffffc, v2
	v_mul_f32_e32 v23, 0x2f800000, v2
	s_delay_alu instid0(VALU_DEP_1) | instskip(NEXT) | instid1(VALU_DEP_1)
	v_trunc_f32_e32 v23, v23
	v_fmac_f32_e32 v2, 0xcf800000, v23
	v_cvt_u32_f32_e32 v23, v23
	s_delay_alu instid0(VALU_DEP_2) | instskip(NEXT) | instid1(VALU_DEP_2)
	v_cvt_u32_f32_e32 v2, v2
	v_mul_lo_u32 v24, s0, v23
	s_delay_alu instid0(VALU_DEP_2) | instskip(SKIP_1) | instid1(VALU_DEP_2)
	v_mul_hi_u32 v25, s0, v2
	v_mul_lo_u32 v26, s1, v2
	v_add_nc_u32_e32 v24, v25, v24
	v_mul_lo_u32 v25, s0, v2
	s_delay_alu instid0(VALU_DEP_2) | instskip(NEXT) | instid1(VALU_DEP_2)
	v_add_nc_u32_e32 v24, v24, v26
	v_mul_hi_u32 v26, v2, v25
	s_delay_alu instid0(VALU_DEP_2)
	v_mul_lo_u32 v27, v2, v24
	v_mul_hi_u32 v28, v2, v24
	v_mul_hi_u32 v31, v23, v25
	v_mul_lo_u32 v25, v23, v25
	v_mul_hi_u32 v32, v23, v24
	v_mul_lo_u32 v24, v23, v24
	v_add_co_u32 v26, vcc_lo, v26, v27
	v_add_co_ci_u32_e32 v27, vcc_lo, 0, v28, vcc_lo
	s_delay_alu instid0(VALU_DEP_2) | instskip(NEXT) | instid1(VALU_DEP_2)
	v_add_co_u32 v25, vcc_lo, v26, v25
	v_add_co_ci_u32_e32 v25, vcc_lo, v27, v31, vcc_lo
	v_add_co_ci_u32_e32 v26, vcc_lo, 0, v32, vcc_lo
	s_delay_alu instid0(VALU_DEP_2) | instskip(NEXT) | instid1(VALU_DEP_2)
	v_add_co_u32 v24, vcc_lo, v25, v24
	v_add_co_ci_u32_e32 v25, vcc_lo, 0, v26, vcc_lo
	s_delay_alu instid0(VALU_DEP_2) | instskip(NEXT) | instid1(VALU_DEP_2)
	v_add_co_u32 v2, vcc_lo, v2, v24
	v_add_co_ci_u32_e32 v23, vcc_lo, v23, v25, vcc_lo
	s_delay_alu instid0(VALU_DEP_2) | instskip(SKIP_1) | instid1(VALU_DEP_3)
	v_mul_hi_u32 v24, s0, v2
	v_mul_lo_u32 v26, s1, v2
	v_mul_lo_u32 v25, s0, v23
	s_delay_alu instid0(VALU_DEP_1) | instskip(SKIP_2) | instid1(VALU_DEP_3)
	v_add_nc_u32_e32 v24, v24, v25
	v_mul_lo_u32 v25, s0, v2
	v_add_co_u32 v31, s0, v30, v29
	v_add_nc_u32_e32 v24, v24, v26
	s_delay_alu instid0(VALU_DEP_2) | instskip(NEXT) | instid1(VALU_DEP_4)
	v_xor_b32_e32 v31, v31, v29
	v_mul_hi_u32 v26, v2, v25
	s_delay_alu instid0(VALU_DEP_3)
	v_mul_lo_u32 v27, v2, v24
	v_mul_hi_u32 v28, v2, v24
	v_mul_hi_u32 v32, v23, v25
	v_mul_lo_u32 v25, v23, v25
	v_mul_hi_u32 v35, v23, v24
	v_mul_lo_u32 v24, v23, v24
	v_add_co_u32 v26, vcc_lo, v26, v27
	v_add_co_ci_u32_e32 v27, vcc_lo, 0, v28, vcc_lo
	s_delay_alu instid0(VALU_DEP_2) | instskip(NEXT) | instid1(VALU_DEP_2)
	v_add_co_u32 v25, vcc_lo, v26, v25
	v_add_co_ci_u32_e32 v25, vcc_lo, v27, v32, vcc_lo
	v_add_co_ci_u32_e32 v26, vcc_lo, 0, v35, vcc_lo
	v_add_co_ci_u32_e64 v27, vcc_lo, v34, v29, s0
	s_delay_alu instid0(VALU_DEP_3) | instskip(NEXT) | instid1(VALU_DEP_3)
	v_add_co_u32 v24, vcc_lo, v25, v24
	v_add_co_ci_u32_e32 v25, vcc_lo, 0, v26, vcc_lo
	s_delay_alu instid0(VALU_DEP_3) | instskip(NEXT) | instid1(VALU_DEP_3)
	v_xor_b32_e32 v35, v27, v29
	v_add_co_u32 v2, vcc_lo, v2, v24
	s_delay_alu instid0(VALU_DEP_3) | instskip(NEXT) | instid1(VALU_DEP_2)
	v_add_co_ci_u32_e32 v32, vcc_lo, v23, v25, vcc_lo
	v_mul_hi_u32 v36, v31, v2
	s_delay_alu instid0(VALU_DEP_4) | instskip(NEXT) | instid1(VALU_DEP_3)
	v_mad_u64_u32 v[25:26], null, v35, v2, 0
	v_mad_u64_u32 v[23:24], null, v31, v32, 0
	;; [unrolled: 1-line block ×3, first 2 shown]
	s_delay_alu instid0(VALU_DEP_2) | instskip(NEXT) | instid1(VALU_DEP_3)
	v_add_co_u32 v2, vcc_lo, v36, v23
	v_add_co_ci_u32_e32 v23, vcc_lo, 0, v24, vcc_lo
	s_delay_alu instid0(VALU_DEP_2) | instskip(NEXT) | instid1(VALU_DEP_2)
	v_add_co_u32 v2, vcc_lo, v2, v25
	v_add_co_ci_u32_e32 v2, vcc_lo, v23, v26, vcc_lo
	v_add_co_ci_u32_e32 v23, vcc_lo, 0, v28, vcc_lo
	s_delay_alu instid0(VALU_DEP_2) | instskip(NEXT) | instid1(VALU_DEP_2)
	v_add_co_u32 v2, vcc_lo, v2, v27
	v_add_co_ci_u32_e32 v25, vcc_lo, 0, v23, vcc_lo
	s_delay_alu instid0(VALU_DEP_2) | instskip(SKIP_1) | instid1(VALU_DEP_3)
	v_mul_lo_u32 v26, s3, v2
	v_mad_u64_u32 v[23:24], null, s2, v2, 0
	v_mul_lo_u32 v27, s2, v25
	s_delay_alu instid0(VALU_DEP_2) | instskip(NEXT) | instid1(VALU_DEP_2)
	v_sub_co_u32 v23, vcc_lo, v31, v23
	v_add3_u32 v24, v24, v27, v26
	s_delay_alu instid0(VALU_DEP_2) | instskip(NEXT) | instid1(VALU_DEP_2)
	v_cmp_le_u32_e64 s1, s2, v23
	v_sub_nc_u32_e32 v26, v35, v24
	s_delay_alu instid0(VALU_DEP_2) | instskip(NEXT) | instid1(VALU_DEP_2)
	v_cndmask_b32_e64 v28, 0, -1, s1
	v_subrev_co_ci_u32_e64 v26, s0, s3, v26, vcc_lo
	v_sub_co_u32 v27, s0, v23, s2
	v_sub_co_ci_u32_e32 v24, vcc_lo, v35, v24, vcc_lo
	s_delay_alu instid0(VALU_DEP_3) | instskip(NEXT) | instid1(VALU_DEP_3)
	v_subrev_co_ci_u32_e64 v26, s0, 0, v26, s0
	v_cmp_le_u32_e32 vcc_lo, s2, v27
	s_delay_alu instid0(VALU_DEP_3) | instskip(SKIP_1) | instid1(VALU_DEP_4)
	v_cmp_le_u32_e64 s2, s3, v24
	v_cmp_eq_u32_e64 s1, s3, v24
	v_cmp_le_u32_e64 s0, s3, v26
	v_cndmask_b32_e64 v23, 0, -1, vcc_lo
	v_cmp_eq_u32_e32 vcc_lo, s3, v26
	v_cndmask_b32_e64 v24, 0, -1, s2
	s_delay_alu instid0(VALU_DEP_4) | instskip(SKIP_1) | instid1(VALU_DEP_1)
	v_cndmask_b32_e64 v26, 0, -1, s0
	v_add_co_u32 v27, s0, v2, 2
	v_add_co_ci_u32_e64 v31, s0, 0, v25, s0
	s_delay_alu instid0(VALU_DEP_3) | instskip(SKIP_1) | instid1(VALU_DEP_2)
	v_cndmask_b32_e32 v23, v26, v23, vcc_lo
	v_add_co_u32 v26, vcc_lo, v2, 1
	v_cmp_ne_u32_e64 s0, 0, v23
	v_cndmask_b32_e64 v23, v24, v28, s1
	v_add_co_ci_u32_e32 v24, vcc_lo, 0, v25, vcc_lo
	s_delay_alu instid0(VALU_DEP_3) | instskip(NEXT) | instid1(VALU_DEP_3)
	v_cndmask_b32_e64 v26, v26, v27, s0
	v_cmp_ne_u32_e32 vcc_lo, 0, v23
	s_delay_alu instid0(VALU_DEP_3) | instskip(SKIP_1) | instid1(VALU_DEP_2)
	v_cndmask_b32_e64 v23, v24, v31, s0
	v_xor_b32_e32 v24, s100, v29
	v_dual_cndmask_b32 v2, v2, v26 :: v_dual_cndmask_b32 v23, v25, v23
	s_delay_alu instid0(VALU_DEP_1) | instskip(NEXT) | instid1(VALU_DEP_2)
	v_xor_b32_e32 v2, v2, v24
	v_xor_b32_e32 v25, v23, v24
	s_delay_alu instid0(VALU_DEP_2) | instskip(NEXT) | instid1(VALU_DEP_2)
	v_sub_co_u32 v23, vcc_lo, v2, v24
	v_sub_co_ci_u32_e32 v24, vcc_lo, v25, v24, vcc_lo
.LBB3_25:                               ;   in Loop: Header=BB3_3 Depth=1
	s_or_saveexec_b32 s0, s96
	v_cvt_f32_u32_e32 v31, s42
	s_xor_b32 exec_lo, exec_lo, s0
	s_cbranch_execz .LBB3_27
; %bb.26:                               ;   in Loop: Header=BB3_3 Depth=1
	s_delay_alu instid0(VALU_DEP_1) | instskip(SKIP_3) | instid1(VALU_DEP_1)
	v_rcp_iflag_f32_e32 v2, v31
	s_sub_i32 s1, 0, s42
	s_waitcnt_depctr 0xfff
	v_mul_f32_e32 v2, 0x4f7ffffe, v2
	v_cvt_u32_f32_e32 v2, v2
	s_delay_alu instid0(VALU_DEP_1) | instskip(NEXT) | instid1(VALU_DEP_1)
	v_mul_lo_u32 v23, s1, v2
	v_mul_hi_u32 v23, v2, v23
	s_delay_alu instid0(VALU_DEP_1) | instskip(NEXT) | instid1(VALU_DEP_1)
	v_add_nc_u32_e32 v2, v2, v23
	v_mul_hi_u32 v2, v30, v2
	s_delay_alu instid0(VALU_DEP_1) | instskip(SKIP_1) | instid1(VALU_DEP_2)
	v_mul_lo_u32 v23, v2, s42
	v_add_nc_u32_e32 v24, 1, v2
	v_sub_nc_u32_e32 v23, v30, v23
	s_delay_alu instid0(VALU_DEP_1) | instskip(SKIP_1) | instid1(VALU_DEP_1)
	v_cmp_le_u32_e32 vcc_lo, s42, v23
	v_subrev_nc_u32_e32 v25, s42, v23
	v_dual_cndmask_b32 v2, v2, v24 :: v_dual_cndmask_b32 v23, v23, v25
	s_delay_alu instid0(VALU_DEP_1) | instskip(NEXT) | instid1(VALU_DEP_2)
	v_add_nc_u32_e32 v24, 1, v2
	v_cmp_le_u32_e32 vcc_lo, s42, v23
	s_delay_alu instid0(VALU_DEP_2)
	v_dual_cndmask_b32 v23, v2, v24 :: v_dual_mov_b32 v24, v1
.LBB3_27:                               ;   in Loop: Header=BB3_3 Depth=1
	s_or_b32 exec_lo, exec_lo, s0
	s_delay_alu instid0(VALU_DEP_1) | instskip(NEXT) | instid1(VALU_DEP_2)
	v_mul_lo_u32 v2, v24, s42
	v_mul_lo_u32 v27, v23, s43
	v_mad_u64_u32 v[25:26], null, v23, s42, 0
	v_mul_lo_u32 v28, v23, s13
	s_mov_b32 s0, exec_lo
	s_delay_alu instid0(VALU_DEP_2) | instskip(NEXT) | instid1(VALU_DEP_3)
	v_add3_u32 v2, v26, v27, v2
	v_sub_co_u32 v27, vcc_lo, v5, v25
	v_mul_lo_u32 v26, v24, s12
	v_mad_u64_u32 v[24:25], null, v23, s12, 0
	s_delay_alu instid0(VALU_DEP_4) | instskip(NEXT) | instid1(VALU_DEP_4)
	v_sub_co_ci_u32_e32 v2, vcc_lo, v6, v2, vcc_lo
	v_add_co_u32 v23, vcc_lo, v3, v27
	s_delay_alu instid0(VALU_DEP_2) | instskip(NEXT) | instid1(VALU_DEP_4)
	v_add_co_ci_u32_e32 v2, vcc_lo, v4, v2, vcc_lo
	v_add3_u32 v25, v25, v28, v26
	s_delay_alu instid0(VALU_DEP_3) | instskip(SKIP_1) | instid1(VALU_DEP_4)
	v_mul_lo_u32 v28, v23, s15
	v_mad_u64_u32 v[26:27], null, v23, s14, 0
	v_mul_lo_u32 v2, v2, s14
	s_delay_alu instid0(VALU_DEP_4) | instskip(NEXT) | instid1(VALU_DEP_2)
	v_lshlrev_b64 v[23:24], 3, v[24:25]
	v_add3_u32 v27, v27, v28, v2
	s_delay_alu instid0(VALU_DEP_2) | instskip(NEXT) | instid1(VALU_DEP_3)
	v_add_co_u32 v2, vcc_lo, s40, v23
	v_add_co_ci_u32_e32 v24, vcc_lo, s41, v24, vcc_lo
	s_delay_alu instid0(VALU_DEP_3) | instskip(NEXT) | instid1(VALU_DEP_1)
	v_lshlrev_b64 v[25:26], 3, v[26:27]
	v_add_co_u32 v23, vcc_lo, v2, v25
	s_delay_alu instid0(VALU_DEP_2)
	v_add_co_ci_u32_e32 v24, vcc_lo, v24, v26, vcc_lo
	v_or_b32_e32 v2, s43, v39
                                        ; implicit-def: $vgpr25_vgpr26
	global_load_b64 v[23:24], v[23:24], off
	v_cmpx_ne_u64_e32 0, v[1:2]
	s_xor_b32 s96, exec_lo, s0
	s_cbranch_execz .LBB3_29
; %bb.28:                               ;   in Loop: Header=BB3_3 Depth=1
	s_ashr_i32 s100, s43, 31
	s_delay_alu instid0(SALU_CYCLE_1) | instskip(SKIP_2) | instid1(SALU_CYCLE_1)
	s_add_u32 s0, s42, s100
	s_mov_b32 s101, s100
	s_addc_u32 s1, s43, s100
	s_xor_b64 s[2:3], s[0:1], s[100:101]
	s_delay_alu instid0(SALU_CYCLE_1) | instskip(SKIP_3) | instid1(VALU_DEP_1)
	v_cvt_f32_u32_e32 v2, s2
	v_cvt_f32_u32_e32 v25, s3
	s_sub_u32 s0, 0, s2
	s_subb_u32 s1, 0, s3
	v_fmac_f32_e32 v2, 0x4f800000, v25
	s_delay_alu instid0(VALU_DEP_1) | instskip(SKIP_2) | instid1(VALU_DEP_1)
	v_rcp_f32_e32 v2, v2
	s_waitcnt_depctr 0xfff
	v_mul_f32_e32 v2, 0x5f7ffffc, v2
	v_mul_f32_e32 v25, 0x2f800000, v2
	s_delay_alu instid0(VALU_DEP_1) | instskip(NEXT) | instid1(VALU_DEP_1)
	v_trunc_f32_e32 v25, v25
	v_fmac_f32_e32 v2, 0xcf800000, v25
	v_cvt_u32_f32_e32 v25, v25
	s_delay_alu instid0(VALU_DEP_2) | instskip(NEXT) | instid1(VALU_DEP_2)
	v_cvt_u32_f32_e32 v2, v2
	v_mul_lo_u32 v26, s0, v25
	s_delay_alu instid0(VALU_DEP_2) | instskip(SKIP_1) | instid1(VALU_DEP_2)
	v_mul_hi_u32 v27, s0, v2
	v_mul_lo_u32 v28, s1, v2
	v_add_nc_u32_e32 v26, v27, v26
	v_mul_lo_u32 v27, s0, v2
	s_delay_alu instid0(VALU_DEP_2) | instskip(NEXT) | instid1(VALU_DEP_2)
	v_add_nc_u32_e32 v26, v26, v28
	v_mul_hi_u32 v28, v2, v27
	s_delay_alu instid0(VALU_DEP_2)
	v_mul_lo_u32 v32, v2, v26
	v_mul_hi_u32 v35, v2, v26
	v_mul_hi_u32 v36, v25, v27
	v_mul_lo_u32 v27, v25, v27
	v_mul_hi_u32 v46, v25, v26
	v_mul_lo_u32 v26, v25, v26
	v_add_co_u32 v28, vcc_lo, v28, v32
	v_add_co_ci_u32_e32 v32, vcc_lo, 0, v35, vcc_lo
	s_delay_alu instid0(VALU_DEP_2) | instskip(NEXT) | instid1(VALU_DEP_2)
	v_add_co_u32 v27, vcc_lo, v28, v27
	v_add_co_ci_u32_e32 v27, vcc_lo, v32, v36, vcc_lo
	v_add_co_ci_u32_e32 v28, vcc_lo, 0, v46, vcc_lo
	s_delay_alu instid0(VALU_DEP_2) | instskip(NEXT) | instid1(VALU_DEP_2)
	v_add_co_u32 v26, vcc_lo, v27, v26
	v_add_co_ci_u32_e32 v27, vcc_lo, 0, v28, vcc_lo
	s_delay_alu instid0(VALU_DEP_2) | instskip(NEXT) | instid1(VALU_DEP_2)
	v_add_co_u32 v2, vcc_lo, v2, v26
	v_add_co_ci_u32_e32 v25, vcc_lo, v25, v27, vcc_lo
	s_delay_alu instid0(VALU_DEP_2) | instskip(SKIP_1) | instid1(VALU_DEP_3)
	v_mul_hi_u32 v26, s0, v2
	v_mul_lo_u32 v28, s1, v2
	v_mul_lo_u32 v27, s0, v25
	s_delay_alu instid0(VALU_DEP_1) | instskip(SKIP_2) | instid1(VALU_DEP_3)
	v_add_nc_u32_e32 v26, v26, v27
	v_mul_lo_u32 v27, s0, v2
	v_add_co_u32 v36, s0, v38, v33
	v_add_nc_u32_e32 v26, v26, v28
	s_delay_alu instid0(VALU_DEP_3) | instskip(NEXT) | instid1(VALU_DEP_2)
	v_mul_hi_u32 v28, v2, v27
	v_mul_lo_u32 v32, v2, v26
	v_mul_hi_u32 v35, v2, v26
	v_mul_hi_u32 v46, v25, v27
	v_mul_lo_u32 v27, v25, v27
	v_mul_hi_u32 v47, v25, v26
	v_mul_lo_u32 v26, v25, v26
	v_add_co_u32 v28, vcc_lo, v28, v32
	v_add_co_ci_u32_e32 v32, vcc_lo, 0, v35, vcc_lo
	s_delay_alu instid0(VALU_DEP_2) | instskip(NEXT) | instid1(VALU_DEP_2)
	v_add_co_u32 v27, vcc_lo, v28, v27
	v_add_co_ci_u32_e32 v27, vcc_lo, v32, v46, vcc_lo
	v_add_co_ci_u32_e32 v28, vcc_lo, 0, v47, vcc_lo
	v_add_co_ci_u32_e64 v32, vcc_lo, v39, v33, s0
	s_delay_alu instid0(VALU_DEP_3) | instskip(NEXT) | instid1(VALU_DEP_3)
	v_add_co_u32 v26, vcc_lo, v27, v26
	v_add_co_ci_u32_e32 v27, vcc_lo, 0, v28, vcc_lo
	v_xor_b32_e32 v46, v36, v33
	s_delay_alu instid0(VALU_DEP_3) | instskip(NEXT) | instid1(VALU_DEP_3)
	v_add_co_u32 v2, vcc_lo, v2, v26
	v_add_co_ci_u32_e32 v47, vcc_lo, v25, v27, vcc_lo
	v_xor_b32_e32 v32, v32, v33
	s_delay_alu instid0(VALU_DEP_3) | instskip(NEXT) | instid1(VALU_DEP_3)
	v_mul_hi_u32 v48, v46, v2
	v_mad_u64_u32 v[25:26], null, v46, v47, 0
	s_delay_alu instid0(VALU_DEP_3) | instskip(SKIP_1) | instid1(VALU_DEP_3)
	v_mad_u64_u32 v[27:28], null, v32, v2, 0
	v_mad_u64_u32 v[35:36], null, v32, v47, 0
	v_add_co_u32 v2, vcc_lo, v48, v25
	s_delay_alu instid0(VALU_DEP_4) | instskip(NEXT) | instid1(VALU_DEP_2)
	v_add_co_ci_u32_e32 v25, vcc_lo, 0, v26, vcc_lo
	v_add_co_u32 v2, vcc_lo, v2, v27
	s_delay_alu instid0(VALU_DEP_2) | instskip(SKIP_1) | instid1(VALU_DEP_2)
	v_add_co_ci_u32_e32 v2, vcc_lo, v25, v28, vcc_lo
	v_add_co_ci_u32_e32 v25, vcc_lo, 0, v36, vcc_lo
	v_add_co_u32 v2, vcc_lo, v2, v35
	s_delay_alu instid0(VALU_DEP_2) | instskip(NEXT) | instid1(VALU_DEP_2)
	v_add_co_ci_u32_e32 v27, vcc_lo, 0, v25, vcc_lo
	v_mul_lo_u32 v28, s3, v2
	v_mad_u64_u32 v[25:26], null, s2, v2, 0
	s_delay_alu instid0(VALU_DEP_3) | instskip(NEXT) | instid1(VALU_DEP_2)
	v_mul_lo_u32 v35, s2, v27
	v_sub_co_u32 v25, vcc_lo, v46, v25
	s_delay_alu instid0(VALU_DEP_2) | instskip(NEXT) | instid1(VALU_DEP_2)
	v_add3_u32 v26, v26, v35, v28
	v_cmp_le_u32_e64 s1, s2, v25
	s_delay_alu instid0(VALU_DEP_2) | instskip(NEXT) | instid1(VALU_DEP_1)
	v_sub_nc_u32_e32 v28, v32, v26
	v_subrev_co_ci_u32_e64 v28, s0, s3, v28, vcc_lo
	v_sub_co_u32 v35, s0, v25, s2
	v_sub_co_ci_u32_e32 v26, vcc_lo, v32, v26, vcc_lo
	s_delay_alu instid0(VALU_DEP_3) | instskip(NEXT) | instid1(VALU_DEP_3)
	v_subrev_co_ci_u32_e64 v28, s0, 0, v28, s0
	v_cmp_le_u32_e32 vcc_lo, s2, v35
	s_delay_alu instid0(VALU_DEP_3) | instskip(SKIP_1) | instid1(VALU_DEP_4)
	v_cmp_le_u32_e64 s2, s3, v26
	v_cndmask_b32_e64 v35, 0, -1, s1
	v_cmp_le_u32_e64 s0, s3, v28
	v_cmp_eq_u32_e64 s1, s3, v26
	v_cndmask_b32_e64 v25, 0, -1, vcc_lo
	v_cmp_eq_u32_e32 vcc_lo, s3, v28
	v_cndmask_b32_e64 v26, 0, -1, s2
	v_cndmask_b32_e64 v28, 0, -1, s0
	v_add_co_u32 v32, s0, v2, 2
	s_delay_alu instid0(VALU_DEP_1) | instskip(NEXT) | instid1(VALU_DEP_3)
	v_add_co_ci_u32_e64 v36, s0, 0, v27, s0
	v_cndmask_b32_e32 v25, v28, v25, vcc_lo
	v_add_co_u32 v28, vcc_lo, v2, 1
	s_delay_alu instid0(VALU_DEP_2) | instskip(SKIP_2) | instid1(VALU_DEP_3)
	v_cmp_ne_u32_e64 s0, 0, v25
	v_cndmask_b32_e64 v25, v26, v35, s1
	v_add_co_ci_u32_e32 v26, vcc_lo, 0, v27, vcc_lo
	v_cndmask_b32_e64 v28, v28, v32, s0
	s_delay_alu instid0(VALU_DEP_3) | instskip(NEXT) | instid1(VALU_DEP_3)
	v_cmp_ne_u32_e32 vcc_lo, 0, v25
	v_cndmask_b32_e64 v25, v26, v36, s0
	v_xor_b32_e32 v26, s100, v33
	s_delay_alu instid0(VALU_DEP_2) | instskip(NEXT) | instid1(VALU_DEP_1)
	v_dual_cndmask_b32 v2, v2, v28 :: v_dual_cndmask_b32 v25, v27, v25
	v_xor_b32_e32 v2, v2, v26
	s_delay_alu instid0(VALU_DEP_2) | instskip(NEXT) | instid1(VALU_DEP_2)
	v_xor_b32_e32 v27, v25, v26
	v_sub_co_u32 v25, vcc_lo, v2, v26
	s_delay_alu instid0(VALU_DEP_2)
	v_sub_co_ci_u32_e32 v26, vcc_lo, v27, v26, vcc_lo
.LBB3_29:                               ;   in Loop: Header=BB3_3 Depth=1
	s_and_not1_saveexec_b32 s0, s96
	s_cbranch_execz .LBB3_31
; %bb.30:                               ;   in Loop: Header=BB3_3 Depth=1
	v_rcp_iflag_f32_e32 v2, v31
	s_sub_i32 s1, 0, s42
	s_waitcnt_depctr 0xfff
	v_mul_f32_e32 v2, 0x4f7ffffe, v2
	s_delay_alu instid0(VALU_DEP_1) | instskip(NEXT) | instid1(VALU_DEP_1)
	v_cvt_u32_f32_e32 v2, v2
	v_mul_lo_u32 v25, s1, v2
	s_delay_alu instid0(VALU_DEP_1) | instskip(NEXT) | instid1(VALU_DEP_1)
	v_mul_hi_u32 v25, v2, v25
	v_add_nc_u32_e32 v2, v2, v25
	s_delay_alu instid0(VALU_DEP_1) | instskip(NEXT) | instid1(VALU_DEP_1)
	v_mul_hi_u32 v2, v38, v2
	v_mul_lo_u32 v25, v2, s42
	v_add_nc_u32_e32 v26, 1, v2
	s_delay_alu instid0(VALU_DEP_2) | instskip(NEXT) | instid1(VALU_DEP_1)
	v_sub_nc_u32_e32 v25, v38, v25
	v_cmp_le_u32_e32 vcc_lo, s42, v25
	v_subrev_nc_u32_e32 v27, s42, v25
	s_delay_alu instid0(VALU_DEP_1) | instskip(NEXT) | instid1(VALU_DEP_1)
	v_dual_cndmask_b32 v2, v2, v26 :: v_dual_cndmask_b32 v25, v25, v27
	v_add_nc_u32_e32 v26, 1, v2
	s_delay_alu instid0(VALU_DEP_2) | instskip(NEXT) | instid1(VALU_DEP_2)
	v_cmp_le_u32_e32 vcc_lo, s42, v25
	v_dual_cndmask_b32 v25, v2, v26 :: v_dual_mov_b32 v26, v1
.LBB3_31:                               ;   in Loop: Header=BB3_3 Depth=1
	s_or_b32 exec_lo, exec_lo, s0
	s_delay_alu instid0(VALU_DEP_1) | instskip(NEXT) | instid1(VALU_DEP_2)
	v_mul_lo_u32 v2, v26, s42
	v_mul_lo_u32 v32, v25, s43
	v_mad_u64_u32 v[27:28], null, v25, s42, 0
	v_mul_lo_u32 v35, v25, s13
	s_mov_b32 s0, exec_lo
	s_delay_alu instid0(VALU_DEP_2) | instskip(NEXT) | instid1(VALU_DEP_3)
	v_add3_u32 v2, v28, v32, v2
	v_sub_co_u32 v32, vcc_lo, v7, v27
	v_mul_lo_u32 v28, v26, s12
	v_mad_u64_u32 v[26:27], null, v25, s12, 0
	s_delay_alu instid0(VALU_DEP_4) | instskip(NEXT) | instid1(VALU_DEP_4)
	v_sub_co_ci_u32_e32 v2, vcc_lo, v8, v2, vcc_lo
	v_add_co_u32 v25, vcc_lo, v3, v32
	s_delay_alu instid0(VALU_DEP_2) | instskip(NEXT) | instid1(VALU_DEP_4)
	v_add_co_ci_u32_e32 v2, vcc_lo, v4, v2, vcc_lo
	v_add3_u32 v27, v27, v35, v28
	s_delay_alu instid0(VALU_DEP_3) | instskip(SKIP_1) | instid1(VALU_DEP_4)
	v_mul_lo_u32 v28, v25, s15
	v_mad_u64_u32 v[35:36], null, v25, s14, 0
	v_mul_lo_u32 v2, v2, s14
	s_delay_alu instid0(VALU_DEP_4) | instskip(NEXT) | instid1(VALU_DEP_2)
	v_lshlrev_b64 v[25:26], 3, v[26:27]
	v_add3_u32 v36, v36, v28, v2
	s_delay_alu instid0(VALU_DEP_2) | instskip(NEXT) | instid1(VALU_DEP_3)
	v_add_co_u32 v2, vcc_lo, s40, v25
	v_add_co_ci_u32_e32 v26, vcc_lo, s41, v26, vcc_lo
	s_delay_alu instid0(VALU_DEP_3) | instskip(NEXT) | instid1(VALU_DEP_1)
	v_lshlrev_b64 v[27:28], 3, v[35:36]
	v_add_co_u32 v25, vcc_lo, v2, v27
	s_delay_alu instid0(VALU_DEP_2)
	v_add_co_ci_u32_e32 v26, vcc_lo, v26, v28, vcc_lo
	v_or_b32_e32 v2, s43, v42
                                        ; implicit-def: $vgpr27_vgpr28
	global_load_b64 v[25:26], v[25:26], off
	v_cmpx_ne_u64_e32 0, v[1:2]
	s_xor_b32 s96, exec_lo, s0
	s_cbranch_execz .LBB3_33
; %bb.32:                               ;   in Loop: Header=BB3_3 Depth=1
	s_ashr_i32 s100, s43, 31
	s_delay_alu instid0(SALU_CYCLE_1) | instskip(SKIP_2) | instid1(SALU_CYCLE_1)
	s_add_u32 s0, s42, s100
	s_mov_b32 s101, s100
	s_addc_u32 s1, s43, s100
	s_xor_b64 s[2:3], s[0:1], s[100:101]
	s_delay_alu instid0(SALU_CYCLE_1) | instskip(SKIP_3) | instid1(VALU_DEP_1)
	v_cvt_f32_u32_e32 v2, s2
	v_cvt_f32_u32_e32 v27, s3
	s_sub_u32 s0, 0, s2
	s_subb_u32 s1, 0, s3
	v_fmac_f32_e32 v2, 0x4f800000, v27
	s_delay_alu instid0(VALU_DEP_1) | instskip(SKIP_2) | instid1(VALU_DEP_1)
	v_rcp_f32_e32 v2, v2
	s_waitcnt_depctr 0xfff
	v_mul_f32_e32 v2, 0x5f7ffffc, v2
	v_mul_f32_e32 v27, 0x2f800000, v2
	s_delay_alu instid0(VALU_DEP_1) | instskip(NEXT) | instid1(VALU_DEP_1)
	v_trunc_f32_e32 v27, v27
	v_fmac_f32_e32 v2, 0xcf800000, v27
	v_cvt_u32_f32_e32 v27, v27
	s_delay_alu instid0(VALU_DEP_2) | instskip(NEXT) | instid1(VALU_DEP_2)
	v_cvt_u32_f32_e32 v2, v2
	v_mul_lo_u32 v28, s0, v27
	s_delay_alu instid0(VALU_DEP_2) | instskip(SKIP_1) | instid1(VALU_DEP_2)
	v_mul_hi_u32 v32, s0, v2
	v_mul_lo_u32 v35, s1, v2
	v_add_nc_u32_e32 v28, v32, v28
	v_mul_lo_u32 v32, s0, v2
	s_delay_alu instid0(VALU_DEP_2) | instskip(NEXT) | instid1(VALU_DEP_2)
	v_add_nc_u32_e32 v28, v28, v35
	v_mul_hi_u32 v35, v2, v32
	s_delay_alu instid0(VALU_DEP_2)
	v_mul_lo_u32 v36, v2, v28
	v_mul_hi_u32 v46, v2, v28
	v_mul_hi_u32 v47, v27, v32
	v_mul_lo_u32 v32, v27, v32
	v_mul_hi_u32 v48, v27, v28
	v_mul_lo_u32 v28, v27, v28
	v_add_co_u32 v35, vcc_lo, v35, v36
	v_add_co_ci_u32_e32 v36, vcc_lo, 0, v46, vcc_lo
	s_delay_alu instid0(VALU_DEP_2) | instskip(NEXT) | instid1(VALU_DEP_2)
	v_add_co_u32 v32, vcc_lo, v35, v32
	v_add_co_ci_u32_e32 v32, vcc_lo, v36, v47, vcc_lo
	v_add_co_ci_u32_e32 v35, vcc_lo, 0, v48, vcc_lo
	s_delay_alu instid0(VALU_DEP_2) | instskip(NEXT) | instid1(VALU_DEP_2)
	v_add_co_u32 v28, vcc_lo, v32, v28
	v_add_co_ci_u32_e32 v32, vcc_lo, 0, v35, vcc_lo
	s_delay_alu instid0(VALU_DEP_2) | instskip(NEXT) | instid1(VALU_DEP_2)
	v_add_co_u32 v2, vcc_lo, v2, v28
	v_add_co_ci_u32_e32 v27, vcc_lo, v27, v32, vcc_lo
	s_delay_alu instid0(VALU_DEP_2) | instskip(SKIP_1) | instid1(VALU_DEP_3)
	v_mul_hi_u32 v28, s0, v2
	v_mul_lo_u32 v35, s1, v2
	v_mul_lo_u32 v32, s0, v27
	s_delay_alu instid0(VALU_DEP_1) | instskip(SKIP_2) | instid1(VALU_DEP_3)
	v_add_nc_u32_e32 v28, v28, v32
	v_mul_lo_u32 v32, s0, v2
	v_add_co_u32 v47, s0, v41, v37
	v_add_nc_u32_e32 v28, v28, v35
	s_delay_alu instid0(VALU_DEP_3) | instskip(NEXT) | instid1(VALU_DEP_2)
	v_mul_hi_u32 v35, v2, v32
	v_mul_lo_u32 v36, v2, v28
	v_mul_hi_u32 v46, v2, v28
	v_mul_hi_u32 v48, v27, v32
	v_mul_lo_u32 v32, v27, v32
	v_mul_hi_u32 v49, v27, v28
	v_mul_lo_u32 v28, v27, v28
	v_add_co_u32 v35, vcc_lo, v35, v36
	v_add_co_ci_u32_e32 v36, vcc_lo, 0, v46, vcc_lo
	s_delay_alu instid0(VALU_DEP_2) | instskip(NEXT) | instid1(VALU_DEP_2)
	v_add_co_u32 v32, vcc_lo, v35, v32
	v_add_co_ci_u32_e32 v32, vcc_lo, v36, v48, vcc_lo
	v_add_co_ci_u32_e32 v35, vcc_lo, 0, v49, vcc_lo
	v_add_co_ci_u32_e64 v36, vcc_lo, v42, v37, s0
	s_delay_alu instid0(VALU_DEP_3) | instskip(NEXT) | instid1(VALU_DEP_3)
	v_add_co_u32 v28, vcc_lo, v32, v28
	v_add_co_ci_u32_e32 v32, vcc_lo, 0, v35, vcc_lo
	v_xor_b32_e32 v48, v47, v37
	s_delay_alu instid0(VALU_DEP_3) | instskip(NEXT) | instid1(VALU_DEP_3)
	v_add_co_u32 v2, vcc_lo, v2, v28
	v_add_co_ci_u32_e32 v32, vcc_lo, v27, v32, vcc_lo
	v_xor_b32_e32 v49, v36, v37
	s_delay_alu instid0(VALU_DEP_3) | instskip(NEXT) | instid1(VALU_DEP_3)
	v_mul_hi_u32 v50, v48, v2
	v_mad_u64_u32 v[27:28], null, v48, v32, 0
	s_delay_alu instid0(VALU_DEP_3) | instskip(SKIP_1) | instid1(VALU_DEP_3)
	v_mad_u64_u32 v[35:36], null, v49, v2, 0
	v_mad_u64_u32 v[46:47], null, v49, v32, 0
	v_add_co_u32 v2, vcc_lo, v50, v27
	s_delay_alu instid0(VALU_DEP_4) | instskip(NEXT) | instid1(VALU_DEP_2)
	v_add_co_ci_u32_e32 v27, vcc_lo, 0, v28, vcc_lo
	v_add_co_u32 v2, vcc_lo, v2, v35
	s_delay_alu instid0(VALU_DEP_2) | instskip(SKIP_1) | instid1(VALU_DEP_2)
	v_add_co_ci_u32_e32 v2, vcc_lo, v27, v36, vcc_lo
	v_add_co_ci_u32_e32 v27, vcc_lo, 0, v47, vcc_lo
	v_add_co_u32 v2, vcc_lo, v2, v46
	s_delay_alu instid0(VALU_DEP_2) | instskip(NEXT) | instid1(VALU_DEP_2)
	v_add_co_ci_u32_e32 v32, vcc_lo, 0, v27, vcc_lo
	v_mul_lo_u32 v35, s3, v2
	v_mad_u64_u32 v[27:28], null, s2, v2, 0
	s_delay_alu instid0(VALU_DEP_3) | instskip(NEXT) | instid1(VALU_DEP_2)
	v_mul_lo_u32 v36, s2, v32
	v_sub_co_u32 v27, vcc_lo, v48, v27
	s_delay_alu instid0(VALU_DEP_2) | instskip(NEXT) | instid1(VALU_DEP_2)
	v_add3_u32 v28, v28, v36, v35
	v_cmp_le_u32_e64 s1, s2, v27
	s_delay_alu instid0(VALU_DEP_2) | instskip(NEXT) | instid1(VALU_DEP_2)
	v_sub_nc_u32_e32 v35, v49, v28
	v_cndmask_b32_e64 v46, 0, -1, s1
	s_delay_alu instid0(VALU_DEP_2) | instskip(SKIP_2) | instid1(VALU_DEP_3)
	v_subrev_co_ci_u32_e64 v35, s0, s3, v35, vcc_lo
	v_sub_co_u32 v36, s0, v27, s2
	v_sub_co_ci_u32_e32 v28, vcc_lo, v49, v28, vcc_lo
	v_subrev_co_ci_u32_e64 v35, s0, 0, v35, s0
	s_delay_alu instid0(VALU_DEP_3) | instskip(NEXT) | instid1(VALU_DEP_3)
	v_cmp_le_u32_e32 vcc_lo, s2, v36
	v_cmp_le_u32_e64 s2, s3, v28
	v_cmp_eq_u32_e64 s1, s3, v28
	s_delay_alu instid0(VALU_DEP_4) | instskip(SKIP_3) | instid1(VALU_DEP_4)
	v_cmp_le_u32_e64 s0, s3, v35
	v_cndmask_b32_e64 v27, 0, -1, vcc_lo
	v_cmp_eq_u32_e32 vcc_lo, s3, v35
	v_cndmask_b32_e64 v28, 0, -1, s2
	v_cndmask_b32_e64 v35, 0, -1, s0
	v_add_co_u32 v36, s0, v2, 2
	s_delay_alu instid0(VALU_DEP_1) | instskip(NEXT) | instid1(VALU_DEP_3)
	v_add_co_ci_u32_e64 v47, s0, 0, v32, s0
	v_cndmask_b32_e32 v27, v35, v27, vcc_lo
	v_add_co_u32 v35, vcc_lo, v2, 1
	s_delay_alu instid0(VALU_DEP_2) | instskip(SKIP_2) | instid1(VALU_DEP_3)
	v_cmp_ne_u32_e64 s0, 0, v27
	v_cndmask_b32_e64 v27, v28, v46, s1
	v_add_co_ci_u32_e32 v28, vcc_lo, 0, v32, vcc_lo
	v_cndmask_b32_e64 v35, v35, v36, s0
	s_delay_alu instid0(VALU_DEP_3) | instskip(NEXT) | instid1(VALU_DEP_3)
	v_cmp_ne_u32_e32 vcc_lo, 0, v27
	v_cndmask_b32_e64 v27, v28, v47, s0
	v_xor_b32_e32 v28, s100, v37
	s_delay_alu instid0(VALU_DEP_4) | instskip(NEXT) | instid1(VALU_DEP_3)
	v_cndmask_b32_e32 v2, v2, v35, vcc_lo
	v_cndmask_b32_e32 v27, v32, v27, vcc_lo
	s_delay_alu instid0(VALU_DEP_2) | instskip(NEXT) | instid1(VALU_DEP_2)
	v_xor_b32_e32 v2, v2, v28
	v_xor_b32_e32 v32, v27, v28
	s_delay_alu instid0(VALU_DEP_2) | instskip(NEXT) | instid1(VALU_DEP_2)
	v_sub_co_u32 v27, vcc_lo, v2, v28
	v_sub_co_ci_u32_e32 v28, vcc_lo, v32, v28, vcc_lo
.LBB3_33:                               ;   in Loop: Header=BB3_3 Depth=1
	s_and_not1_saveexec_b32 s0, s96
	s_cbranch_execz .LBB3_35
; %bb.34:                               ;   in Loop: Header=BB3_3 Depth=1
	v_rcp_iflag_f32_e32 v2, v31
	s_sub_i32 s1, 0, s42
	s_waitcnt_depctr 0xfff
	v_mul_f32_e32 v2, 0x4f7ffffe, v2
	s_delay_alu instid0(VALU_DEP_1) | instskip(NEXT) | instid1(VALU_DEP_1)
	v_cvt_u32_f32_e32 v2, v2
	v_mul_lo_u32 v27, s1, v2
	s_delay_alu instid0(VALU_DEP_1) | instskip(NEXT) | instid1(VALU_DEP_1)
	v_mul_hi_u32 v27, v2, v27
	v_add_nc_u32_e32 v2, v2, v27
	s_delay_alu instid0(VALU_DEP_1) | instskip(NEXT) | instid1(VALU_DEP_1)
	v_mul_hi_u32 v2, v41, v2
	v_mul_lo_u32 v27, v2, s42
	v_add_nc_u32_e32 v28, 1, v2
	s_delay_alu instid0(VALU_DEP_2) | instskip(NEXT) | instid1(VALU_DEP_1)
	v_sub_nc_u32_e32 v27, v41, v27
	v_cmp_le_u32_e32 vcc_lo, s42, v27
	v_subrev_nc_u32_e32 v32, s42, v27
	s_delay_alu instid0(VALU_DEP_4) | instskip(NEXT) | instid1(VALU_DEP_1)
	v_cndmask_b32_e32 v2, v2, v28, vcc_lo
	v_dual_cndmask_b32 v27, v27, v32 :: v_dual_add_nc_u32 v28, 1, v2
	s_delay_alu instid0(VALU_DEP_1) | instskip(NEXT) | instid1(VALU_DEP_2)
	v_cmp_le_u32_e32 vcc_lo, s42, v27
	v_dual_cndmask_b32 v27, v2, v28 :: v_dual_mov_b32 v28, v1
.LBB3_35:                               ;   in Loop: Header=BB3_3 Depth=1
	s_or_b32 exec_lo, exec_lo, s0
	s_delay_alu instid0(VALU_DEP_1) | instskip(NEXT) | instid1(VALU_DEP_2)
	v_mul_lo_u32 v2, v28, s42
	v_mul_lo_u32 v32, v27, s43
	v_mad_u64_u32 v[35:36], null, v27, s42, 0
	v_mul_lo_u32 v28, v28, s12
	v_mul_lo_u32 v46, v27, s13
	s_mov_b32 s0, exec_lo
	s_delay_alu instid0(VALU_DEP_3) | instskip(NEXT) | instid1(VALU_DEP_4)
	v_add3_u32 v2, v36, v32, v2
	v_sub_co_u32 v32, vcc_lo, v9, v35
	v_mad_u64_u32 v[35:36], null, v27, s12, 0
	s_delay_alu instid0(VALU_DEP_3) | instskip(NEXT) | instid1(VALU_DEP_3)
	v_sub_co_ci_u32_e32 v2, vcc_lo, v10, v2, vcc_lo
	v_add_co_u32 v32, vcc_lo, v3, v32
	s_delay_alu instid0(VALU_DEP_2) | instskip(NEXT) | instid1(VALU_DEP_4)
	v_add_co_ci_u32_e32 v2, vcc_lo, v4, v2, vcc_lo
	v_add3_u32 v36, v36, v46, v28
	s_delay_alu instid0(VALU_DEP_3) | instskip(SKIP_1) | instid1(VALU_DEP_4)
	v_mul_lo_u32 v46, v32, s15
	v_mad_u64_u32 v[27:28], null, v32, s14, 0
	v_mul_lo_u32 v2, v2, s14
	s_delay_alu instid0(VALU_DEP_4) | instskip(NEXT) | instid1(VALU_DEP_2)
	v_lshlrev_b64 v[35:36], 3, v[35:36]
	v_add3_u32 v28, v28, v46, v2
	s_delay_alu instid0(VALU_DEP_2) | instskip(NEXT) | instid1(VALU_DEP_3)
	v_add_co_u32 v2, vcc_lo, s40, v35
	v_add_co_ci_u32_e32 v32, vcc_lo, s41, v36, vcc_lo
	s_delay_alu instid0(VALU_DEP_3) | instskip(NEXT) | instid1(VALU_DEP_1)
	v_lshlrev_b64 v[27:28], 3, v[27:28]
	v_add_co_u32 v27, vcc_lo, v2, v27
	s_delay_alu instid0(VALU_DEP_2)
	v_add_co_ci_u32_e32 v28, vcc_lo, v32, v28, vcc_lo
	v_or_b32_e32 v2, s43, v44
	global_load_b64 v[35:36], v[27:28], off
                                        ; implicit-def: $vgpr27_vgpr28
	v_cmpx_ne_u64_e32 0, v[1:2]
	s_xor_b32 s96, exec_lo, s0
	s_cbranch_execz .LBB3_37
; %bb.36:                               ;   in Loop: Header=BB3_3 Depth=1
	s_ashr_i32 s100, s43, 31
	s_delay_alu instid0(SALU_CYCLE_1) | instskip(SKIP_2) | instid1(SALU_CYCLE_1)
	s_add_u32 s0, s42, s100
	s_mov_b32 s101, s100
	s_addc_u32 s1, s43, s100
	s_xor_b64 s[2:3], s[0:1], s[100:101]
	s_delay_alu instid0(SALU_CYCLE_1) | instskip(SKIP_3) | instid1(VALU_DEP_1)
	v_cvt_f32_u32_e32 v2, s2
	v_cvt_f32_u32_e32 v27, s3
	s_sub_u32 s0, 0, s2
	s_subb_u32 s1, 0, s3
	v_fmac_f32_e32 v2, 0x4f800000, v27
	s_delay_alu instid0(VALU_DEP_1) | instskip(SKIP_2) | instid1(VALU_DEP_1)
	v_rcp_f32_e32 v2, v2
	s_waitcnt_depctr 0xfff
	v_mul_f32_e32 v2, 0x5f7ffffc, v2
	v_mul_f32_e32 v27, 0x2f800000, v2
	s_delay_alu instid0(VALU_DEP_1) | instskip(NEXT) | instid1(VALU_DEP_1)
	v_trunc_f32_e32 v27, v27
	v_fmac_f32_e32 v2, 0xcf800000, v27
	v_cvt_u32_f32_e32 v27, v27
	s_delay_alu instid0(VALU_DEP_2) | instskip(NEXT) | instid1(VALU_DEP_2)
	v_cvt_u32_f32_e32 v2, v2
	v_mul_lo_u32 v28, s0, v27
	s_delay_alu instid0(VALU_DEP_2) | instskip(SKIP_1) | instid1(VALU_DEP_2)
	v_mul_hi_u32 v31, s0, v2
	v_mul_lo_u32 v32, s1, v2
	v_add_nc_u32_e32 v28, v31, v28
	v_mul_lo_u32 v31, s0, v2
	s_delay_alu instid0(VALU_DEP_2) | instskip(NEXT) | instid1(VALU_DEP_2)
	v_add_nc_u32_e32 v28, v28, v32
	v_mul_hi_u32 v32, v2, v31
	s_delay_alu instid0(VALU_DEP_2)
	v_mul_lo_u32 v46, v2, v28
	v_mul_hi_u32 v47, v2, v28
	v_mul_hi_u32 v48, v27, v31
	v_mul_lo_u32 v31, v27, v31
	v_mul_hi_u32 v49, v27, v28
	v_mul_lo_u32 v28, v27, v28
	v_add_co_u32 v32, vcc_lo, v32, v46
	v_add_co_ci_u32_e32 v46, vcc_lo, 0, v47, vcc_lo
	s_delay_alu instid0(VALU_DEP_2) | instskip(NEXT) | instid1(VALU_DEP_2)
	v_add_co_u32 v31, vcc_lo, v32, v31
	v_add_co_ci_u32_e32 v31, vcc_lo, v46, v48, vcc_lo
	v_add_co_ci_u32_e32 v32, vcc_lo, 0, v49, vcc_lo
	s_delay_alu instid0(VALU_DEP_2) | instskip(NEXT) | instid1(VALU_DEP_2)
	v_add_co_u32 v28, vcc_lo, v31, v28
	v_add_co_ci_u32_e32 v31, vcc_lo, 0, v32, vcc_lo
	s_delay_alu instid0(VALU_DEP_2) | instskip(NEXT) | instid1(VALU_DEP_2)
	v_add_co_u32 v2, vcc_lo, v2, v28
	v_add_co_ci_u32_e32 v27, vcc_lo, v27, v31, vcc_lo
	s_delay_alu instid0(VALU_DEP_2) | instskip(SKIP_1) | instid1(VALU_DEP_3)
	v_mul_hi_u32 v28, s0, v2
	v_mul_lo_u32 v32, s1, v2
	v_mul_lo_u32 v31, s0, v27
	s_delay_alu instid0(VALU_DEP_1) | instskip(SKIP_2) | instid1(VALU_DEP_3)
	v_add_nc_u32_e32 v28, v28, v31
	v_mul_lo_u32 v31, s0, v2
	v_add_co_u32 v48, s0, v43, v40
	v_add_nc_u32_e32 v28, v28, v32
	s_delay_alu instid0(VALU_DEP_2) | instskip(NEXT) | instid1(VALU_DEP_4)
	v_xor_b32_e32 v48, v48, v40
	v_mul_hi_u32 v32, v2, v31
	s_delay_alu instid0(VALU_DEP_3)
	v_mul_lo_u32 v46, v2, v28
	v_mul_hi_u32 v47, v2, v28
	v_mul_hi_u32 v49, v27, v31
	v_mul_lo_u32 v31, v27, v31
	v_mul_hi_u32 v50, v27, v28
	v_mul_lo_u32 v28, v27, v28
	v_add_co_u32 v32, vcc_lo, v32, v46
	v_add_co_ci_u32_e32 v46, vcc_lo, 0, v47, vcc_lo
	s_delay_alu instid0(VALU_DEP_2) | instskip(NEXT) | instid1(VALU_DEP_2)
	v_add_co_u32 v31, vcc_lo, v32, v31
	v_add_co_ci_u32_e32 v31, vcc_lo, v46, v49, vcc_lo
	v_add_co_ci_u32_e32 v32, vcc_lo, 0, v50, vcc_lo
	v_add_co_ci_u32_e64 v46, vcc_lo, v44, v40, s0
	s_delay_alu instid0(VALU_DEP_3) | instskip(NEXT) | instid1(VALU_DEP_3)
	v_add_co_u32 v28, vcc_lo, v31, v28
	v_add_co_ci_u32_e32 v31, vcc_lo, 0, v32, vcc_lo
	s_delay_alu instid0(VALU_DEP_3) | instskip(NEXT) | instid1(VALU_DEP_3)
	v_xor_b32_e32 v50, v46, v40
	v_add_co_u32 v2, vcc_lo, v2, v28
	s_delay_alu instid0(VALU_DEP_3) | instskip(NEXT) | instid1(VALU_DEP_2)
	v_add_co_ci_u32_e32 v49, vcc_lo, v27, v31, vcc_lo
	v_mul_hi_u32 v51, v48, v2
	s_delay_alu instid0(VALU_DEP_4) | instskip(NEXT) | instid1(VALU_DEP_3)
	v_mad_u64_u32 v[31:32], null, v50, v2, 0
	v_mad_u64_u32 v[27:28], null, v48, v49, 0
	;; [unrolled: 1-line block ×3, first 2 shown]
	s_delay_alu instid0(VALU_DEP_2) | instskip(NEXT) | instid1(VALU_DEP_3)
	v_add_co_u32 v2, vcc_lo, v51, v27
	v_add_co_ci_u32_e32 v27, vcc_lo, 0, v28, vcc_lo
	s_delay_alu instid0(VALU_DEP_2) | instskip(NEXT) | instid1(VALU_DEP_2)
	v_add_co_u32 v2, vcc_lo, v2, v31
	v_add_co_ci_u32_e32 v2, vcc_lo, v27, v32, vcc_lo
	v_add_co_ci_u32_e32 v27, vcc_lo, 0, v47, vcc_lo
	s_delay_alu instid0(VALU_DEP_2) | instskip(NEXT) | instid1(VALU_DEP_2)
	v_add_co_u32 v2, vcc_lo, v2, v46
	v_add_co_ci_u32_e32 v31, vcc_lo, 0, v27, vcc_lo
	s_delay_alu instid0(VALU_DEP_2) | instskip(SKIP_1) | instid1(VALU_DEP_3)
	v_mul_lo_u32 v32, s3, v2
	v_mad_u64_u32 v[27:28], null, s2, v2, 0
	v_mul_lo_u32 v46, s2, v31
	s_delay_alu instid0(VALU_DEP_2) | instskip(NEXT) | instid1(VALU_DEP_2)
	v_sub_co_u32 v27, vcc_lo, v48, v27
	v_add3_u32 v28, v28, v46, v32
	s_delay_alu instid0(VALU_DEP_2) | instskip(NEXT) | instid1(VALU_DEP_2)
	v_cmp_le_u32_e64 s1, s2, v27
	v_sub_nc_u32_e32 v32, v50, v28
	s_delay_alu instid0(VALU_DEP_2) | instskip(NEXT) | instid1(VALU_DEP_2)
	v_cndmask_b32_e64 v47, 0, -1, s1
	v_subrev_co_ci_u32_e64 v32, s0, s3, v32, vcc_lo
	v_sub_co_u32 v46, s0, v27, s2
	v_sub_co_ci_u32_e32 v28, vcc_lo, v50, v28, vcc_lo
	s_delay_alu instid0(VALU_DEP_3) | instskip(NEXT) | instid1(VALU_DEP_3)
	v_subrev_co_ci_u32_e64 v32, s0, 0, v32, s0
	v_cmp_le_u32_e32 vcc_lo, s2, v46
	s_delay_alu instid0(VALU_DEP_3) | instskip(SKIP_1) | instid1(VALU_DEP_4)
	v_cmp_le_u32_e64 s2, s3, v28
	v_cmp_eq_u32_e64 s1, s3, v28
	v_cmp_le_u32_e64 s0, s3, v32
	v_cndmask_b32_e64 v27, 0, -1, vcc_lo
	v_cmp_eq_u32_e32 vcc_lo, s3, v32
	v_cndmask_b32_e64 v28, 0, -1, s2
	s_delay_alu instid0(VALU_DEP_4) | instskip(SKIP_1) | instid1(VALU_DEP_1)
	v_cndmask_b32_e64 v32, 0, -1, s0
	v_add_co_u32 v46, s0, v2, 2
	v_add_co_ci_u32_e64 v48, s0, 0, v31, s0
	s_delay_alu instid0(VALU_DEP_3) | instskip(SKIP_1) | instid1(VALU_DEP_2)
	v_cndmask_b32_e32 v27, v32, v27, vcc_lo
	v_add_co_u32 v32, vcc_lo, v2, 1
	v_cmp_ne_u32_e64 s0, 0, v27
	v_cndmask_b32_e64 v27, v28, v47, s1
	v_add_co_ci_u32_e32 v28, vcc_lo, 0, v31, vcc_lo
	s_delay_alu instid0(VALU_DEP_3) | instskip(NEXT) | instid1(VALU_DEP_3)
	v_cndmask_b32_e64 v32, v32, v46, s0
	v_cmp_ne_u32_e32 vcc_lo, 0, v27
	s_delay_alu instid0(VALU_DEP_3) | instskip(SKIP_1) | instid1(VALU_DEP_2)
	v_cndmask_b32_e64 v27, v28, v48, s0
	v_xor_b32_e32 v28, s100, v40
	v_dual_cndmask_b32 v2, v2, v32 :: v_dual_cndmask_b32 v27, v31, v27
	s_delay_alu instid0(VALU_DEP_1) | instskip(NEXT) | instid1(VALU_DEP_2)
	v_xor_b32_e32 v2, v2, v28
	v_xor_b32_e32 v31, v27, v28
	s_delay_alu instid0(VALU_DEP_2) | instskip(NEXT) | instid1(VALU_DEP_2)
	v_sub_co_u32 v27, vcc_lo, v2, v28
	v_sub_co_ci_u32_e32 v28, vcc_lo, v31, v28, vcc_lo
                                        ; implicit-def: $vgpr31
.LBB3_37:                               ;   in Loop: Header=BB3_3 Depth=1
	s_and_not1_saveexec_b32 s0, s96
	s_cbranch_execz .LBB3_39
; %bb.38:                               ;   in Loop: Header=BB3_3 Depth=1
	v_rcp_iflag_f32_e32 v2, v31
	s_sub_i32 s1, 0, s42
	s_waitcnt_depctr 0xfff
	v_mul_f32_e32 v2, 0x4f7ffffe, v2
	s_delay_alu instid0(VALU_DEP_1) | instskip(NEXT) | instid1(VALU_DEP_1)
	v_cvt_u32_f32_e32 v2, v2
	v_mul_lo_u32 v27, s1, v2
	s_delay_alu instid0(VALU_DEP_1) | instskip(NEXT) | instid1(VALU_DEP_1)
	v_mul_hi_u32 v27, v2, v27
	v_add_nc_u32_e32 v2, v2, v27
	s_delay_alu instid0(VALU_DEP_1) | instskip(NEXT) | instid1(VALU_DEP_1)
	v_mul_hi_u32 v2, v43, v2
	v_mul_lo_u32 v27, v2, s42
	v_add_nc_u32_e32 v28, 1, v2
	s_delay_alu instid0(VALU_DEP_2) | instskip(NEXT) | instid1(VALU_DEP_1)
	v_sub_nc_u32_e32 v27, v43, v27
	v_cmp_le_u32_e32 vcc_lo, s42, v27
	v_subrev_nc_u32_e32 v31, s42, v27
	s_delay_alu instid0(VALU_DEP_1) | instskip(NEXT) | instid1(VALU_DEP_1)
	v_dual_cndmask_b32 v2, v2, v28 :: v_dual_cndmask_b32 v27, v27, v31
	v_add_nc_u32_e32 v28, 1, v2
	s_delay_alu instid0(VALU_DEP_2) | instskip(NEXT) | instid1(VALU_DEP_2)
	v_cmp_le_u32_e32 vcc_lo, s42, v27
	v_dual_cndmask_b32 v27, v2, v28 :: v_dual_mov_b32 v28, v1
.LBB3_39:                               ;   in Loop: Header=BB3_3 Depth=1
	s_or_b32 exec_lo, exec_lo, s0
	s_delay_alu instid0(VALU_DEP_1) | instskip(NEXT) | instid1(VALU_DEP_2)
	v_mul_lo_u32 v2, v28, s42
	v_mul_lo_u32 v46, v27, s43
	v_mad_u64_u32 v[31:32], null, v27, s42, 0
	v_mul_lo_u32 v28, v28, s12
	v_mul_lo_u32 v47, v27, s13
	s_mov_b32 s0, exec_lo
	s_delay_alu instid0(VALU_DEP_3) | instskip(NEXT) | instid1(VALU_DEP_4)
	v_add3_u32 v2, v32, v46, v2
	v_sub_co_u32 v46, vcc_lo, v11, v31
	v_mad_u64_u32 v[31:32], null, v27, s12, 0
	s_delay_alu instid0(VALU_DEP_3) | instskip(NEXT) | instid1(VALU_DEP_3)
	v_sub_co_ci_u32_e32 v2, vcc_lo, v12, v2, vcc_lo
	v_add_co_u32 v46, vcc_lo, v3, v46
	s_delay_alu instid0(VALU_DEP_2) | instskip(NEXT) | instid1(VALU_DEP_4)
	v_add_co_ci_u32_e32 v2, vcc_lo, v4, v2, vcc_lo
	v_add3_u32 v32, v32, v47, v28
	s_delay_alu instid0(VALU_DEP_3) | instskip(SKIP_1) | instid1(VALU_DEP_4)
	v_mul_lo_u32 v47, v46, s15
	v_mad_u64_u32 v[27:28], null, v46, s14, 0
	v_mul_lo_u32 v2, v2, s14
	s_delay_alu instid0(VALU_DEP_4) | instskip(NEXT) | instid1(VALU_DEP_2)
	v_lshlrev_b64 v[31:32], 3, v[31:32]
	v_add3_u32 v28, v28, v47, v2
	s_delay_alu instid0(VALU_DEP_2) | instskip(NEXT) | instid1(VALU_DEP_3)
	v_add_co_u32 v2, vcc_lo, s40, v31
	v_add_co_ci_u32_e32 v31, vcc_lo, s41, v32, vcc_lo
	s_delay_alu instid0(VALU_DEP_3) | instskip(NEXT) | instid1(VALU_DEP_1)
	v_lshlrev_b64 v[27:28], 3, v[27:28]
	v_add_co_u32 v27, vcc_lo, v2, v27
	s_delay_alu instid0(VALU_DEP_2)
	v_add_co_ci_u32_e32 v28, vcc_lo, v31, v28, vcc_lo
	v_or_b32_e32 v2, s65, v34
	global_load_b64 v[31:32], v[27:28], off
                                        ; implicit-def: $vgpr27_vgpr28
	v_cmpx_ne_u64_e32 0, v[1:2]
	s_xor_b32 s96, exec_lo, s0
	s_cbranch_execz .LBB3_41
; %bb.40:                               ;   in Loop: Header=BB3_3 Depth=1
	s_ashr_i32 s100, s65, 31
	s_delay_alu instid0(SALU_CYCLE_1) | instskip(SKIP_2) | instid1(SALU_CYCLE_1)
	s_add_u32 s0, s64, s100
	s_mov_b32 s101, s100
	s_addc_u32 s1, s65, s100
	s_xor_b64 s[2:3], s[0:1], s[100:101]
	s_delay_alu instid0(SALU_CYCLE_1) | instskip(SKIP_3) | instid1(VALU_DEP_1)
	v_cvt_f32_u32_e32 v2, s2
	v_cvt_f32_u32_e32 v27, s3
	s_sub_u32 s0, 0, s2
	s_subb_u32 s1, 0, s3
	v_fmac_f32_e32 v2, 0x4f800000, v27
	s_delay_alu instid0(VALU_DEP_1) | instskip(SKIP_2) | instid1(VALU_DEP_1)
	v_rcp_f32_e32 v2, v2
	s_waitcnt_depctr 0xfff
	v_mul_f32_e32 v2, 0x5f7ffffc, v2
	v_mul_f32_e32 v27, 0x2f800000, v2
	s_delay_alu instid0(VALU_DEP_1) | instskip(NEXT) | instid1(VALU_DEP_1)
	v_trunc_f32_e32 v27, v27
	v_fmac_f32_e32 v2, 0xcf800000, v27
	v_cvt_u32_f32_e32 v27, v27
	s_delay_alu instid0(VALU_DEP_2) | instskip(NEXT) | instid1(VALU_DEP_2)
	v_cvt_u32_f32_e32 v2, v2
	v_mul_lo_u32 v28, s0, v27
	s_delay_alu instid0(VALU_DEP_2) | instskip(SKIP_1) | instid1(VALU_DEP_2)
	v_mul_hi_u32 v46, s0, v2
	v_mul_lo_u32 v47, s1, v2
	v_add_nc_u32_e32 v28, v46, v28
	v_mul_lo_u32 v46, s0, v2
	s_delay_alu instid0(VALU_DEP_2) | instskip(NEXT) | instid1(VALU_DEP_2)
	v_add_nc_u32_e32 v28, v28, v47
	v_mul_hi_u32 v47, v2, v46
	s_delay_alu instid0(VALU_DEP_2)
	v_mul_lo_u32 v48, v2, v28
	v_mul_hi_u32 v49, v2, v28
	v_mul_hi_u32 v50, v27, v46
	v_mul_lo_u32 v46, v27, v46
	v_mul_hi_u32 v51, v27, v28
	v_mul_lo_u32 v28, v27, v28
	v_add_co_u32 v47, vcc_lo, v47, v48
	v_add_co_ci_u32_e32 v48, vcc_lo, 0, v49, vcc_lo
	s_delay_alu instid0(VALU_DEP_2) | instskip(NEXT) | instid1(VALU_DEP_2)
	v_add_co_u32 v46, vcc_lo, v47, v46
	v_add_co_ci_u32_e32 v46, vcc_lo, v48, v50, vcc_lo
	v_add_co_ci_u32_e32 v47, vcc_lo, 0, v51, vcc_lo
	s_delay_alu instid0(VALU_DEP_2) | instskip(NEXT) | instid1(VALU_DEP_2)
	v_add_co_u32 v28, vcc_lo, v46, v28
	v_add_co_ci_u32_e32 v46, vcc_lo, 0, v47, vcc_lo
	s_delay_alu instid0(VALU_DEP_2) | instskip(NEXT) | instid1(VALU_DEP_2)
	v_add_co_u32 v2, vcc_lo, v2, v28
	v_add_co_ci_u32_e32 v27, vcc_lo, v27, v46, vcc_lo
	s_delay_alu instid0(VALU_DEP_2) | instskip(SKIP_1) | instid1(VALU_DEP_3)
	v_mul_hi_u32 v28, s0, v2
	v_mul_lo_u32 v47, s1, v2
	v_mul_lo_u32 v46, s0, v27
	s_delay_alu instid0(VALU_DEP_1) | instskip(SKIP_2) | instid1(VALU_DEP_3)
	v_add_nc_u32_e32 v28, v28, v46
	v_mul_lo_u32 v46, s0, v2
	v_add_co_u32 v30, s0, v30, v29
	v_add_nc_u32_e32 v28, v28, v47
	s_delay_alu instid0(VALU_DEP_2) | instskip(NEXT) | instid1(VALU_DEP_4)
	v_xor_b32_e32 v30, v30, v29
	v_mul_hi_u32 v47, v2, v46
	s_delay_alu instid0(VALU_DEP_3)
	v_mul_lo_u32 v48, v2, v28
	v_mul_hi_u32 v49, v2, v28
	v_mul_hi_u32 v50, v27, v46
	v_mul_lo_u32 v46, v27, v46
	v_mul_hi_u32 v51, v27, v28
	v_mul_lo_u32 v28, v27, v28
	v_add_co_u32 v47, vcc_lo, v47, v48
	v_add_co_ci_u32_e32 v48, vcc_lo, 0, v49, vcc_lo
	s_delay_alu instid0(VALU_DEP_2) | instskip(NEXT) | instid1(VALU_DEP_2)
	v_add_co_u32 v46, vcc_lo, v47, v46
	v_add_co_ci_u32_e32 v46, vcc_lo, v48, v50, vcc_lo
	v_add_co_ci_u32_e32 v47, vcc_lo, 0, v51, vcc_lo
	v_add_co_ci_u32_e64 v34, vcc_lo, v34, v29, s0
	s_delay_alu instid0(VALU_DEP_3) | instskip(NEXT) | instid1(VALU_DEP_3)
	v_add_co_u32 v28, vcc_lo, v46, v28
	v_add_co_ci_u32_e32 v46, vcc_lo, 0, v47, vcc_lo
	s_delay_alu instid0(VALU_DEP_3) | instskip(NEXT) | instid1(VALU_DEP_3)
	v_xor_b32_e32 v34, v34, v29
	v_add_co_u32 v2, vcc_lo, v2, v28
	s_delay_alu instid0(VALU_DEP_3) | instskip(NEXT) | instid1(VALU_DEP_2)
	v_add_co_ci_u32_e32 v50, vcc_lo, v27, v46, vcc_lo
	v_mul_hi_u32 v51, v30, v2
	s_delay_alu instid0(VALU_DEP_4) | instskip(NEXT) | instid1(VALU_DEP_3)
	v_mad_u64_u32 v[46:47], null, v34, v2, 0
	v_mad_u64_u32 v[27:28], null, v30, v50, 0
	;; [unrolled: 1-line block ×3, first 2 shown]
	s_delay_alu instid0(VALU_DEP_2) | instskip(NEXT) | instid1(VALU_DEP_3)
	v_add_co_u32 v2, vcc_lo, v51, v27
	v_add_co_ci_u32_e32 v27, vcc_lo, 0, v28, vcc_lo
	s_delay_alu instid0(VALU_DEP_2) | instskip(NEXT) | instid1(VALU_DEP_2)
	v_add_co_u32 v2, vcc_lo, v2, v46
	v_add_co_ci_u32_e32 v2, vcc_lo, v27, v47, vcc_lo
	v_add_co_ci_u32_e32 v27, vcc_lo, 0, v49, vcc_lo
	s_delay_alu instid0(VALU_DEP_2) | instskip(NEXT) | instid1(VALU_DEP_2)
	v_add_co_u32 v2, vcc_lo, v2, v48
	v_add_co_ci_u32_e32 v46, vcc_lo, 0, v27, vcc_lo
	s_delay_alu instid0(VALU_DEP_2) | instskip(SKIP_1) | instid1(VALU_DEP_3)
	v_mul_lo_u32 v47, s3, v2
	v_mad_u64_u32 v[27:28], null, s2, v2, 0
	v_mul_lo_u32 v48, s2, v46
	s_delay_alu instid0(VALU_DEP_2) | instskip(NEXT) | instid1(VALU_DEP_2)
	v_sub_co_u32 v27, vcc_lo, v30, v27
	v_add3_u32 v28, v28, v48, v47
	s_delay_alu instid0(VALU_DEP_2) | instskip(NEXT) | instid1(VALU_DEP_2)
	v_cmp_le_u32_e64 s1, s2, v27
	v_sub_nc_u32_e32 v47, v34, v28
	s_delay_alu instid0(VALU_DEP_1) | instskip(SKIP_2) | instid1(VALU_DEP_3)
	v_subrev_co_ci_u32_e64 v30, s0, s3, v47, vcc_lo
	v_sub_co_u32 v47, s0, v27, s2
	v_sub_co_ci_u32_e32 v28, vcc_lo, v34, v28, vcc_lo
	v_subrev_co_ci_u32_e64 v30, s0, 0, v30, s0
	s_delay_alu instid0(VALU_DEP_3) | instskip(NEXT) | instid1(VALU_DEP_3)
	v_cmp_le_u32_e32 vcc_lo, s2, v47
	v_cmp_le_u32_e64 s2, s3, v28
	v_cndmask_b32_e64 v47, 0, -1, s1
	s_delay_alu instid0(VALU_DEP_4)
	v_cmp_le_u32_e64 s0, s3, v30
	v_cmp_eq_u32_e64 s1, s3, v28
	v_cndmask_b32_e64 v27, 0, -1, vcc_lo
	v_cmp_eq_u32_e32 vcc_lo, s3, v30
	v_cndmask_b32_e64 v28, 0, -1, s2
	v_cndmask_b32_e64 v30, 0, -1, s0
	v_add_co_u32 v34, s0, v2, 2
	s_delay_alu instid0(VALU_DEP_1) | instskip(NEXT) | instid1(VALU_DEP_3)
	v_add_co_ci_u32_e64 v48, s0, 0, v46, s0
	v_cndmask_b32_e32 v27, v30, v27, vcc_lo
	v_add_co_u32 v30, vcc_lo, v2, 1
	s_delay_alu instid0(VALU_DEP_2) | instskip(SKIP_2) | instid1(VALU_DEP_3)
	v_cmp_ne_u32_e64 s0, 0, v27
	v_cndmask_b32_e64 v27, v28, v47, s1
	v_add_co_ci_u32_e32 v28, vcc_lo, 0, v46, vcc_lo
	v_cndmask_b32_e64 v30, v30, v34, s0
	s_delay_alu instid0(VALU_DEP_3) | instskip(NEXT) | instid1(VALU_DEP_3)
	v_cmp_ne_u32_e32 vcc_lo, 0, v27
	v_cndmask_b32_e64 v27, v28, v48, s0
	v_xor_b32_e32 v28, s100, v29
	s_delay_alu instid0(VALU_DEP_4) | instskip(NEXT) | instid1(VALU_DEP_3)
	v_cndmask_b32_e32 v2, v2, v30, vcc_lo
	v_cndmask_b32_e32 v27, v46, v27, vcc_lo
                                        ; implicit-def: $vgpr30
	s_delay_alu instid0(VALU_DEP_2) | instskip(NEXT) | instid1(VALU_DEP_2)
	v_xor_b32_e32 v2, v2, v28
	v_xor_b32_e32 v29, v27, v28
	s_delay_alu instid0(VALU_DEP_2) | instskip(NEXT) | instid1(VALU_DEP_2)
	v_sub_co_u32 v27, vcc_lo, v2, v28
	v_sub_co_ci_u32_e32 v28, vcc_lo, v29, v28, vcc_lo
.LBB3_41:                               ;   in Loop: Header=BB3_3 Depth=1
	s_or_saveexec_b32 s0, s96
	v_cvt_f32_u32_e32 v46, s64
	s_xor_b32 exec_lo, exec_lo, s0
	s_cbranch_execz .LBB3_43
; %bb.42:                               ;   in Loop: Header=BB3_3 Depth=1
	s_delay_alu instid0(VALU_DEP_1) | instskip(SKIP_3) | instid1(VALU_DEP_1)
	v_rcp_iflag_f32_e32 v2, v46
	s_sub_i32 s1, 0, s64
	s_waitcnt_depctr 0xfff
	v_mul_f32_e32 v2, 0x4f7ffffe, v2
	v_cvt_u32_f32_e32 v2, v2
	s_delay_alu instid0(VALU_DEP_1) | instskip(NEXT) | instid1(VALU_DEP_1)
	v_mul_lo_u32 v27, s1, v2
	v_mul_hi_u32 v27, v2, v27
	s_delay_alu instid0(VALU_DEP_1) | instskip(NEXT) | instid1(VALU_DEP_1)
	v_add_nc_u32_e32 v2, v2, v27
	v_mul_hi_u32 v2, v30, v2
	s_delay_alu instid0(VALU_DEP_1) | instskip(SKIP_1) | instid1(VALU_DEP_2)
	v_mul_lo_u32 v27, v2, s64
	v_add_nc_u32_e32 v28, 1, v2
	v_sub_nc_u32_e32 v27, v30, v27
	s_delay_alu instid0(VALU_DEP_1) | instskip(SKIP_1) | instid1(VALU_DEP_1)
	v_cmp_le_u32_e32 vcc_lo, s64, v27
	v_subrev_nc_u32_e32 v29, s64, v27
	v_dual_cndmask_b32 v2, v2, v28 :: v_dual_cndmask_b32 v27, v27, v29
	s_delay_alu instid0(VALU_DEP_1) | instskip(NEXT) | instid1(VALU_DEP_2)
	v_add_nc_u32_e32 v28, 1, v2
	v_cmp_le_u32_e32 vcc_lo, s64, v27
	s_delay_alu instid0(VALU_DEP_2)
	v_dual_cndmask_b32 v27, v2, v28 :: v_dual_mov_b32 v28, v1
.LBB3_43:                               ;   in Loop: Header=BB3_3 Depth=1
	s_or_b32 exec_lo, exec_lo, s0
	v_or_b32_e32 v2, s65, v39
                                        ; implicit-def: $vgpr29_vgpr30
	s_mov_b32 s0, exec_lo
	s_delay_alu instid0(VALU_DEP_1)
	v_cmpx_ne_u64_e32 0, v[1:2]
	s_xor_b32 s96, exec_lo, s0
	s_cbranch_execz .LBB3_45
; %bb.44:                               ;   in Loop: Header=BB3_3 Depth=1
	s_ashr_i32 s100, s65, 31
	s_delay_alu instid0(SALU_CYCLE_1) | instskip(SKIP_2) | instid1(SALU_CYCLE_1)
	s_add_u32 s0, s64, s100
	s_mov_b32 s101, s100
	s_addc_u32 s1, s65, s100
	s_xor_b64 s[2:3], s[0:1], s[100:101]
	s_delay_alu instid0(SALU_CYCLE_1) | instskip(SKIP_3) | instid1(VALU_DEP_1)
	v_cvt_f32_u32_e32 v2, s2
	v_cvt_f32_u32_e32 v29, s3
	s_sub_u32 s0, 0, s2
	s_subb_u32 s1, 0, s3
	v_fmac_f32_e32 v2, 0x4f800000, v29
	s_delay_alu instid0(VALU_DEP_1) | instskip(SKIP_2) | instid1(VALU_DEP_1)
	v_rcp_f32_e32 v2, v2
	s_waitcnt_depctr 0xfff
	v_mul_f32_e32 v2, 0x5f7ffffc, v2
	v_mul_f32_e32 v29, 0x2f800000, v2
	s_delay_alu instid0(VALU_DEP_1) | instskip(NEXT) | instid1(VALU_DEP_1)
	v_trunc_f32_e32 v29, v29
	v_fmac_f32_e32 v2, 0xcf800000, v29
	v_cvt_u32_f32_e32 v29, v29
	s_delay_alu instid0(VALU_DEP_2) | instskip(NEXT) | instid1(VALU_DEP_2)
	v_cvt_u32_f32_e32 v2, v2
	v_mul_lo_u32 v30, s0, v29
	s_delay_alu instid0(VALU_DEP_2) | instskip(SKIP_1) | instid1(VALU_DEP_2)
	v_mul_hi_u32 v34, s0, v2
	v_mul_lo_u32 v47, s1, v2
	v_add_nc_u32_e32 v30, v34, v30
	v_mul_lo_u32 v34, s0, v2
	s_delay_alu instid0(VALU_DEP_2) | instskip(NEXT) | instid1(VALU_DEP_2)
	v_add_nc_u32_e32 v30, v30, v47
	v_mul_hi_u32 v47, v2, v34
	s_delay_alu instid0(VALU_DEP_2)
	v_mul_lo_u32 v48, v2, v30
	v_mul_hi_u32 v49, v2, v30
	v_mul_hi_u32 v50, v29, v34
	v_mul_lo_u32 v34, v29, v34
	v_mul_hi_u32 v51, v29, v30
	v_mul_lo_u32 v30, v29, v30
	v_add_co_u32 v47, vcc_lo, v47, v48
	v_add_co_ci_u32_e32 v48, vcc_lo, 0, v49, vcc_lo
	s_delay_alu instid0(VALU_DEP_2) | instskip(NEXT) | instid1(VALU_DEP_2)
	v_add_co_u32 v34, vcc_lo, v47, v34
	v_add_co_ci_u32_e32 v34, vcc_lo, v48, v50, vcc_lo
	v_add_co_ci_u32_e32 v47, vcc_lo, 0, v51, vcc_lo
	s_delay_alu instid0(VALU_DEP_2) | instskip(NEXT) | instid1(VALU_DEP_2)
	v_add_co_u32 v30, vcc_lo, v34, v30
	v_add_co_ci_u32_e32 v34, vcc_lo, 0, v47, vcc_lo
	s_delay_alu instid0(VALU_DEP_2) | instskip(NEXT) | instid1(VALU_DEP_2)
	v_add_co_u32 v2, vcc_lo, v2, v30
	v_add_co_ci_u32_e32 v29, vcc_lo, v29, v34, vcc_lo
	s_delay_alu instid0(VALU_DEP_2) | instskip(SKIP_1) | instid1(VALU_DEP_3)
	v_mul_hi_u32 v30, s0, v2
	v_mul_lo_u32 v47, s1, v2
	v_mul_lo_u32 v34, s0, v29
	s_delay_alu instid0(VALU_DEP_1) | instskip(SKIP_2) | instid1(VALU_DEP_3)
	v_add_nc_u32_e32 v30, v30, v34
	v_mul_lo_u32 v34, s0, v2
	v_add_co_u32 v38, s0, v38, v33
	v_add_nc_u32_e32 v30, v30, v47
	s_delay_alu instid0(VALU_DEP_3) | instskip(NEXT) | instid1(VALU_DEP_2)
	v_mul_hi_u32 v47, v2, v34
	v_mul_lo_u32 v48, v2, v30
	v_mul_hi_u32 v49, v2, v30
	v_mul_hi_u32 v50, v29, v34
	v_mul_lo_u32 v34, v29, v34
	v_mul_hi_u32 v51, v29, v30
	v_mul_lo_u32 v30, v29, v30
	v_add_co_u32 v47, vcc_lo, v47, v48
	v_add_co_ci_u32_e32 v48, vcc_lo, 0, v49, vcc_lo
	v_xor_b32_e32 v49, v38, v33
	s_delay_alu instid0(VALU_DEP_3) | instskip(NEXT) | instid1(VALU_DEP_3)
	v_add_co_u32 v34, vcc_lo, v47, v34
	v_add_co_ci_u32_e32 v34, vcc_lo, v48, v50, vcc_lo
	v_add_co_ci_u32_e32 v47, vcc_lo, 0, v51, vcc_lo
	v_add_co_ci_u32_e64 v39, vcc_lo, v39, v33, s0
	s_delay_alu instid0(VALU_DEP_3) | instskip(NEXT) | instid1(VALU_DEP_3)
	v_add_co_u32 v30, vcc_lo, v34, v30
	v_add_co_ci_u32_e32 v34, vcc_lo, 0, v47, vcc_lo
	s_delay_alu instid0(VALU_DEP_3) | instskip(NEXT) | instid1(VALU_DEP_3)
	v_xor_b32_e32 v50, v39, v33
	v_add_co_u32 v2, vcc_lo, v2, v30
	s_delay_alu instid0(VALU_DEP_3) | instskip(NEXT) | instid1(VALU_DEP_2)
	v_add_co_ci_u32_e32 v34, vcc_lo, v29, v34, vcc_lo
	v_mul_hi_u32 v51, v49, v2
	s_delay_alu instid0(VALU_DEP_4) | instskip(NEXT) | instid1(VALU_DEP_3)
	v_mad_u64_u32 v[38:39], null, v50, v2, 0
	v_mad_u64_u32 v[29:30], null, v49, v34, 0
	;; [unrolled: 1-line block ×3, first 2 shown]
	s_delay_alu instid0(VALU_DEP_2) | instskip(NEXT) | instid1(VALU_DEP_3)
	v_add_co_u32 v2, vcc_lo, v51, v29
	v_add_co_ci_u32_e32 v29, vcc_lo, 0, v30, vcc_lo
	s_delay_alu instid0(VALU_DEP_2) | instskip(NEXT) | instid1(VALU_DEP_2)
	v_add_co_u32 v2, vcc_lo, v2, v38
	v_add_co_ci_u32_e32 v2, vcc_lo, v29, v39, vcc_lo
	v_add_co_ci_u32_e32 v29, vcc_lo, 0, v48, vcc_lo
	s_delay_alu instid0(VALU_DEP_2) | instskip(NEXT) | instid1(VALU_DEP_2)
	v_add_co_u32 v2, vcc_lo, v2, v47
	v_add_co_ci_u32_e32 v34, vcc_lo, 0, v29, vcc_lo
	s_delay_alu instid0(VALU_DEP_2) | instskip(SKIP_1) | instid1(VALU_DEP_3)
	v_mul_lo_u32 v38, s3, v2
	v_mad_u64_u32 v[29:30], null, s2, v2, 0
	v_mul_lo_u32 v39, s2, v34
	s_delay_alu instid0(VALU_DEP_2) | instskip(NEXT) | instid1(VALU_DEP_2)
	v_sub_co_u32 v29, vcc_lo, v49, v29
	v_add3_u32 v30, v30, v39, v38
	s_delay_alu instid0(VALU_DEP_2) | instskip(NEXT) | instid1(VALU_DEP_2)
	v_cmp_le_u32_e64 s1, s2, v29
	v_sub_nc_u32_e32 v38, v50, v30
	s_delay_alu instid0(VALU_DEP_2) | instskip(NEXT) | instid1(VALU_DEP_2)
	v_cndmask_b32_e64 v47, 0, -1, s1
	v_subrev_co_ci_u32_e64 v38, s0, s3, v38, vcc_lo
	v_sub_co_u32 v39, s0, v29, s2
	v_sub_co_ci_u32_e32 v30, vcc_lo, v50, v30, vcc_lo
	s_delay_alu instid0(VALU_DEP_3) | instskip(NEXT) | instid1(VALU_DEP_3)
	v_subrev_co_ci_u32_e64 v38, s0, 0, v38, s0
	v_cmp_le_u32_e32 vcc_lo, s2, v39
	s_delay_alu instid0(VALU_DEP_3) | instskip(SKIP_1) | instid1(VALU_DEP_4)
	v_cmp_le_u32_e64 s2, s3, v30
	v_cmp_eq_u32_e64 s1, s3, v30
	v_cmp_le_u32_e64 s0, s3, v38
	v_cndmask_b32_e64 v29, 0, -1, vcc_lo
	v_cmp_eq_u32_e32 vcc_lo, s3, v38
	v_cndmask_b32_e64 v30, 0, -1, s2
	s_delay_alu instid0(VALU_DEP_4) | instskip(SKIP_1) | instid1(VALU_DEP_1)
	v_cndmask_b32_e64 v38, 0, -1, s0
	v_add_co_u32 v39, s0, v2, 2
	v_add_co_ci_u32_e64 v48, s0, 0, v34, s0
	s_delay_alu instid0(VALU_DEP_3) | instskip(SKIP_1) | instid1(VALU_DEP_2)
	v_cndmask_b32_e32 v29, v38, v29, vcc_lo
	v_add_co_u32 v38, vcc_lo, v2, 1
	v_cmp_ne_u32_e64 s0, 0, v29
	v_cndmask_b32_e64 v29, v30, v47, s1
	v_add_co_ci_u32_e32 v30, vcc_lo, 0, v34, vcc_lo
	s_delay_alu instid0(VALU_DEP_3) | instskip(NEXT) | instid1(VALU_DEP_3)
	v_cndmask_b32_e64 v38, v38, v39, s0
	v_cmp_ne_u32_e32 vcc_lo, 0, v29
	s_delay_alu instid0(VALU_DEP_3) | instskip(SKIP_1) | instid1(VALU_DEP_4)
	v_cndmask_b32_e64 v29, v30, v48, s0
	v_xor_b32_e32 v30, s100, v33
	v_cndmask_b32_e32 v2, v2, v38, vcc_lo
	s_delay_alu instid0(VALU_DEP_3) | instskip(NEXT) | instid1(VALU_DEP_2)
	v_cndmask_b32_e32 v29, v34, v29, vcc_lo
                                        ; implicit-def: $vgpr38
	v_xor_b32_e32 v2, v2, v30
	s_delay_alu instid0(VALU_DEP_2) | instskip(NEXT) | instid1(VALU_DEP_2)
	v_xor_b32_e32 v33, v29, v30
	v_sub_co_u32 v29, vcc_lo, v2, v30
	s_delay_alu instid0(VALU_DEP_2)
	v_sub_co_ci_u32_e32 v30, vcc_lo, v33, v30, vcc_lo
.LBB3_45:                               ;   in Loop: Header=BB3_3 Depth=1
	s_and_not1_saveexec_b32 s0, s96
	s_cbranch_execz .LBB3_47
; %bb.46:                               ;   in Loop: Header=BB3_3 Depth=1
	v_rcp_iflag_f32_e32 v2, v46
	s_sub_i32 s1, 0, s64
	s_waitcnt_depctr 0xfff
	v_mul_f32_e32 v2, 0x4f7ffffe, v2
	s_delay_alu instid0(VALU_DEP_1) | instskip(NEXT) | instid1(VALU_DEP_1)
	v_cvt_u32_f32_e32 v2, v2
	v_mul_lo_u32 v29, s1, v2
	s_delay_alu instid0(VALU_DEP_1) | instskip(NEXT) | instid1(VALU_DEP_1)
	v_mul_hi_u32 v29, v2, v29
	v_add_nc_u32_e32 v2, v2, v29
	s_delay_alu instid0(VALU_DEP_1) | instskip(NEXT) | instid1(VALU_DEP_1)
	v_mul_hi_u32 v2, v38, v2
	v_mul_lo_u32 v29, v2, s64
	v_add_nc_u32_e32 v30, 1, v2
	s_delay_alu instid0(VALU_DEP_2) | instskip(NEXT) | instid1(VALU_DEP_1)
	v_sub_nc_u32_e32 v29, v38, v29
	v_cmp_le_u32_e32 vcc_lo, s64, v29
	v_subrev_nc_u32_e32 v33, s64, v29
	s_delay_alu instid0(VALU_DEP_1) | instskip(NEXT) | instid1(VALU_DEP_1)
	v_dual_cndmask_b32 v2, v2, v30 :: v_dual_cndmask_b32 v29, v29, v33
	v_add_nc_u32_e32 v30, 1, v2
	s_delay_alu instid0(VALU_DEP_2) | instskip(NEXT) | instid1(VALU_DEP_2)
	v_cmp_le_u32_e32 vcc_lo, s64, v29
	v_dual_cndmask_b32 v29, v2, v30 :: v_dual_mov_b32 v30, v1
.LBB3_47:                               ;   in Loop: Header=BB3_3 Depth=1
	s_or_b32 exec_lo, exec_lo, s0
	v_or_b32_e32 v2, s65, v42
                                        ; implicit-def: $vgpr33_vgpr34
	s_mov_b32 s0, exec_lo
	s_delay_alu instid0(VALU_DEP_1)
	v_cmpx_ne_u64_e32 0, v[1:2]
	s_xor_b32 s96, exec_lo, s0
	s_cbranch_execz .LBB3_49
; %bb.48:                               ;   in Loop: Header=BB3_3 Depth=1
	s_ashr_i32 s100, s65, 31
	s_delay_alu instid0(SALU_CYCLE_1) | instskip(SKIP_2) | instid1(SALU_CYCLE_1)
	s_add_u32 s0, s64, s100
	s_mov_b32 s101, s100
	s_addc_u32 s1, s65, s100
	s_xor_b64 s[2:3], s[0:1], s[100:101]
	s_delay_alu instid0(SALU_CYCLE_1) | instskip(SKIP_3) | instid1(VALU_DEP_1)
	v_cvt_f32_u32_e32 v2, s2
	v_cvt_f32_u32_e32 v33, s3
	s_sub_u32 s0, 0, s2
	s_subb_u32 s1, 0, s3
	v_fmac_f32_e32 v2, 0x4f800000, v33
	s_delay_alu instid0(VALU_DEP_1) | instskip(SKIP_2) | instid1(VALU_DEP_1)
	v_rcp_f32_e32 v2, v2
	s_waitcnt_depctr 0xfff
	v_mul_f32_e32 v2, 0x5f7ffffc, v2
	v_mul_f32_e32 v33, 0x2f800000, v2
	s_delay_alu instid0(VALU_DEP_1) | instskip(NEXT) | instid1(VALU_DEP_1)
	v_trunc_f32_e32 v33, v33
	v_fmac_f32_e32 v2, 0xcf800000, v33
	v_cvt_u32_f32_e32 v33, v33
	s_delay_alu instid0(VALU_DEP_2) | instskip(NEXT) | instid1(VALU_DEP_2)
	v_cvt_u32_f32_e32 v2, v2
	v_mul_lo_u32 v34, s0, v33
	s_delay_alu instid0(VALU_DEP_2) | instskip(SKIP_1) | instid1(VALU_DEP_2)
	v_mul_hi_u32 v38, s0, v2
	v_mul_lo_u32 v39, s1, v2
	v_add_nc_u32_e32 v34, v38, v34
	v_mul_lo_u32 v38, s0, v2
	s_delay_alu instid0(VALU_DEP_2) | instskip(NEXT) | instid1(VALU_DEP_2)
	v_add_nc_u32_e32 v34, v34, v39
	v_mul_hi_u32 v39, v2, v38
	s_delay_alu instid0(VALU_DEP_2)
	v_mul_lo_u32 v47, v2, v34
	v_mul_hi_u32 v48, v2, v34
	v_mul_hi_u32 v49, v33, v38
	v_mul_lo_u32 v38, v33, v38
	v_mul_hi_u32 v50, v33, v34
	v_mul_lo_u32 v34, v33, v34
	v_add_co_u32 v39, vcc_lo, v39, v47
	v_add_co_ci_u32_e32 v47, vcc_lo, 0, v48, vcc_lo
	s_delay_alu instid0(VALU_DEP_2) | instskip(NEXT) | instid1(VALU_DEP_2)
	v_add_co_u32 v38, vcc_lo, v39, v38
	v_add_co_ci_u32_e32 v38, vcc_lo, v47, v49, vcc_lo
	v_add_co_ci_u32_e32 v39, vcc_lo, 0, v50, vcc_lo
	s_delay_alu instid0(VALU_DEP_2) | instskip(NEXT) | instid1(VALU_DEP_2)
	v_add_co_u32 v34, vcc_lo, v38, v34
	v_add_co_ci_u32_e32 v38, vcc_lo, 0, v39, vcc_lo
	s_delay_alu instid0(VALU_DEP_2) | instskip(NEXT) | instid1(VALU_DEP_2)
	v_add_co_u32 v2, vcc_lo, v2, v34
	v_add_co_ci_u32_e32 v33, vcc_lo, v33, v38, vcc_lo
	s_delay_alu instid0(VALU_DEP_2) | instskip(SKIP_1) | instid1(VALU_DEP_3)
	v_mul_hi_u32 v34, s0, v2
	v_mul_lo_u32 v39, s1, v2
	v_mul_lo_u32 v38, s0, v33
	s_delay_alu instid0(VALU_DEP_1) | instskip(SKIP_2) | instid1(VALU_DEP_3)
	v_add_nc_u32_e32 v34, v34, v38
	v_mul_lo_u32 v38, s0, v2
	v_add_co_u32 v41, s0, v41, v37
	v_add_nc_u32_e32 v34, v34, v39
	s_delay_alu instid0(VALU_DEP_3) | instskip(NEXT) | instid1(VALU_DEP_2)
	v_mul_hi_u32 v39, v2, v38
	v_mul_lo_u32 v47, v2, v34
	v_mul_hi_u32 v48, v2, v34
	v_mul_hi_u32 v49, v33, v38
	v_mul_lo_u32 v38, v33, v38
	v_mul_hi_u32 v50, v33, v34
	v_mul_lo_u32 v34, v33, v34
	v_add_co_u32 v39, vcc_lo, v39, v47
	v_add_co_ci_u32_e32 v47, vcc_lo, 0, v48, vcc_lo
	s_delay_alu instid0(VALU_DEP_2) | instskip(NEXT) | instid1(VALU_DEP_2)
	v_add_co_u32 v38, vcc_lo, v39, v38
	v_add_co_ci_u32_e32 v38, vcc_lo, v47, v49, vcc_lo
	v_add_co_ci_u32_e32 v39, vcc_lo, 0, v50, vcc_lo
	v_add_co_ci_u32_e64 v42, vcc_lo, v42, v37, s0
	s_delay_alu instid0(VALU_DEP_3) | instskip(NEXT) | instid1(VALU_DEP_3)
	v_add_co_u32 v34, vcc_lo, v38, v34
	v_add_co_ci_u32_e32 v38, vcc_lo, 0, v39, vcc_lo
	v_xor_b32_e32 v47, v41, v37
	s_delay_alu instid0(VALU_DEP_3) | instskip(NEXT) | instid1(VALU_DEP_3)
	v_add_co_u32 v2, vcc_lo, v2, v34
	v_add_co_ci_u32_e32 v48, vcc_lo, v33, v38, vcc_lo
	v_xor_b32_e32 v49, v42, v37
	s_delay_alu instid0(VALU_DEP_3) | instskip(NEXT) | instid1(VALU_DEP_3)
	v_mul_hi_u32 v50, v47, v2
	v_mad_u64_u32 v[33:34], null, v47, v48, 0
	s_delay_alu instid0(VALU_DEP_3) | instskip(SKIP_1) | instid1(VALU_DEP_3)
	v_mad_u64_u32 v[38:39], null, v49, v2, 0
	v_mad_u64_u32 v[41:42], null, v49, v48, 0
	v_add_co_u32 v2, vcc_lo, v50, v33
	s_delay_alu instid0(VALU_DEP_4) | instskip(NEXT) | instid1(VALU_DEP_2)
	v_add_co_ci_u32_e32 v33, vcc_lo, 0, v34, vcc_lo
	v_add_co_u32 v2, vcc_lo, v2, v38
	s_delay_alu instid0(VALU_DEP_2) | instskip(SKIP_1) | instid1(VALU_DEP_2)
	v_add_co_ci_u32_e32 v2, vcc_lo, v33, v39, vcc_lo
	v_add_co_ci_u32_e32 v33, vcc_lo, 0, v42, vcc_lo
	v_add_co_u32 v2, vcc_lo, v2, v41
	s_delay_alu instid0(VALU_DEP_2) | instskip(NEXT) | instid1(VALU_DEP_2)
	v_add_co_ci_u32_e32 v38, vcc_lo, 0, v33, vcc_lo
	v_mul_lo_u32 v39, s3, v2
	v_mad_u64_u32 v[33:34], null, s2, v2, 0
	s_delay_alu instid0(VALU_DEP_3) | instskip(NEXT) | instid1(VALU_DEP_2)
	v_mul_lo_u32 v41, s2, v38
	v_sub_co_u32 v33, vcc_lo, v47, v33
	s_delay_alu instid0(VALU_DEP_2) | instskip(NEXT) | instid1(VALU_DEP_2)
	v_add3_u32 v34, v34, v41, v39
	v_cmp_le_u32_e64 s1, s2, v33
	s_delay_alu instid0(VALU_DEP_2) | instskip(NEXT) | instid1(VALU_DEP_2)
	v_sub_nc_u32_e32 v39, v49, v34
	v_cndmask_b32_e64 v42, 0, -1, s1
	s_delay_alu instid0(VALU_DEP_2) | instskip(SKIP_2) | instid1(VALU_DEP_3)
	v_subrev_co_ci_u32_e64 v39, s0, s3, v39, vcc_lo
	v_sub_co_u32 v41, s0, v33, s2
	v_sub_co_ci_u32_e32 v34, vcc_lo, v49, v34, vcc_lo
	v_subrev_co_ci_u32_e64 v39, s0, 0, v39, s0
	s_delay_alu instid0(VALU_DEP_3) | instskip(NEXT) | instid1(VALU_DEP_3)
	v_cmp_le_u32_e32 vcc_lo, s2, v41
	v_cmp_le_u32_e64 s2, s3, v34
	v_cmp_eq_u32_e64 s1, s3, v34
	s_delay_alu instid0(VALU_DEP_4) | instskip(SKIP_3) | instid1(VALU_DEP_4)
	v_cmp_le_u32_e64 s0, s3, v39
	v_cndmask_b32_e64 v33, 0, -1, vcc_lo
	v_cmp_eq_u32_e32 vcc_lo, s3, v39
	v_cndmask_b32_e64 v34, 0, -1, s2
	v_cndmask_b32_e64 v39, 0, -1, s0
	v_add_co_u32 v41, s0, v2, 2
	s_delay_alu instid0(VALU_DEP_1) | instskip(NEXT) | instid1(VALU_DEP_3)
	v_add_co_ci_u32_e64 v47, s0, 0, v38, s0
	v_cndmask_b32_e32 v33, v39, v33, vcc_lo
	v_add_co_u32 v39, vcc_lo, v2, 1
	s_delay_alu instid0(VALU_DEP_2) | instskip(SKIP_2) | instid1(VALU_DEP_3)
	v_cmp_ne_u32_e64 s0, 0, v33
	v_cndmask_b32_e64 v33, v34, v42, s1
	v_add_co_ci_u32_e32 v34, vcc_lo, 0, v38, vcc_lo
	v_cndmask_b32_e64 v39, v39, v41, s0
	s_delay_alu instid0(VALU_DEP_3) | instskip(NEXT) | instid1(VALU_DEP_3)
	v_cmp_ne_u32_e32 vcc_lo, 0, v33
	v_cndmask_b32_e64 v33, v34, v47, s0
	v_xor_b32_e32 v34, s100, v37
                                        ; implicit-def: $vgpr41
	s_delay_alu instid0(VALU_DEP_4) | instskip(NEXT) | instid1(VALU_DEP_3)
	v_cndmask_b32_e32 v2, v2, v39, vcc_lo
	v_cndmask_b32_e32 v33, v38, v33, vcc_lo
	s_delay_alu instid0(VALU_DEP_2) | instskip(NEXT) | instid1(VALU_DEP_2)
	v_xor_b32_e32 v2, v2, v34
	v_xor_b32_e32 v37, v33, v34
	s_delay_alu instid0(VALU_DEP_2) | instskip(NEXT) | instid1(VALU_DEP_2)
	v_sub_co_u32 v33, vcc_lo, v2, v34
	v_sub_co_ci_u32_e32 v34, vcc_lo, v37, v34, vcc_lo
.LBB3_49:                               ;   in Loop: Header=BB3_3 Depth=1
	s_and_not1_saveexec_b32 s0, s96
	s_cbranch_execz .LBB3_51
; %bb.50:                               ;   in Loop: Header=BB3_3 Depth=1
	v_rcp_iflag_f32_e32 v2, v46
	s_sub_i32 s1, 0, s64
	s_waitcnt_depctr 0xfff
	v_mul_f32_e32 v2, 0x4f7ffffe, v2
	s_delay_alu instid0(VALU_DEP_1) | instskip(NEXT) | instid1(VALU_DEP_1)
	v_cvt_u32_f32_e32 v2, v2
	v_mul_lo_u32 v33, s1, v2
	s_delay_alu instid0(VALU_DEP_1) | instskip(NEXT) | instid1(VALU_DEP_1)
	v_mul_hi_u32 v33, v2, v33
	v_add_nc_u32_e32 v2, v2, v33
	s_delay_alu instid0(VALU_DEP_1) | instskip(NEXT) | instid1(VALU_DEP_1)
	v_mul_hi_u32 v2, v41, v2
	v_mul_lo_u32 v33, v2, s64
	v_add_nc_u32_e32 v34, 1, v2
	s_delay_alu instid0(VALU_DEP_2) | instskip(NEXT) | instid1(VALU_DEP_1)
	v_sub_nc_u32_e32 v33, v41, v33
	v_cmp_le_u32_e32 vcc_lo, s64, v33
	v_subrev_nc_u32_e32 v37, s64, v33
	s_delay_alu instid0(VALU_DEP_1) | instskip(NEXT) | instid1(VALU_DEP_1)
	v_dual_cndmask_b32 v2, v2, v34 :: v_dual_cndmask_b32 v33, v33, v37
	v_add_nc_u32_e32 v34, 1, v2
	s_delay_alu instid0(VALU_DEP_2) | instskip(NEXT) | instid1(VALU_DEP_2)
	v_cmp_le_u32_e32 vcc_lo, s64, v33
	v_dual_cndmask_b32 v33, v2, v34 :: v_dual_mov_b32 v34, v1
.LBB3_51:                               ;   in Loop: Header=BB3_3 Depth=1
	s_or_b32 exec_lo, exec_lo, s0
	v_or_b32_e32 v2, s65, v44
                                        ; implicit-def: $vgpr37_vgpr38
	s_mov_b32 s0, exec_lo
	s_delay_alu instid0(VALU_DEP_1)
	v_cmpx_ne_u64_e32 0, v[1:2]
	s_xor_b32 s96, exec_lo, s0
	s_cbranch_execz .LBB3_53
; %bb.52:                               ;   in Loop: Header=BB3_3 Depth=1
	s_ashr_i32 s100, s65, 31
	s_delay_alu instid0(SALU_CYCLE_1) | instskip(SKIP_2) | instid1(SALU_CYCLE_1)
	s_add_u32 s0, s64, s100
	s_mov_b32 s101, s100
	s_addc_u32 s1, s65, s100
	s_xor_b64 s[2:3], s[0:1], s[100:101]
	s_delay_alu instid0(SALU_CYCLE_1) | instskip(SKIP_3) | instid1(VALU_DEP_1)
	v_cvt_f32_u32_e32 v2, s2
	v_cvt_f32_u32_e32 v37, s3
	s_sub_u32 s0, 0, s2
	s_subb_u32 s1, 0, s3
	v_fmac_f32_e32 v2, 0x4f800000, v37
	s_delay_alu instid0(VALU_DEP_1) | instskip(SKIP_2) | instid1(VALU_DEP_1)
	v_rcp_f32_e32 v2, v2
	s_waitcnt_depctr 0xfff
	v_mul_f32_e32 v2, 0x5f7ffffc, v2
	v_mul_f32_e32 v37, 0x2f800000, v2
	s_delay_alu instid0(VALU_DEP_1) | instskip(NEXT) | instid1(VALU_DEP_1)
	v_trunc_f32_e32 v37, v37
	v_fmac_f32_e32 v2, 0xcf800000, v37
	v_cvt_u32_f32_e32 v37, v37
	s_delay_alu instid0(VALU_DEP_2) | instskip(NEXT) | instid1(VALU_DEP_2)
	v_cvt_u32_f32_e32 v2, v2
	v_mul_lo_u32 v38, s0, v37
	s_delay_alu instid0(VALU_DEP_2) | instskip(SKIP_1) | instid1(VALU_DEP_2)
	v_mul_hi_u32 v39, s0, v2
	v_mul_lo_u32 v41, s1, v2
	v_add_nc_u32_e32 v38, v39, v38
	v_mul_lo_u32 v39, s0, v2
	s_delay_alu instid0(VALU_DEP_2) | instskip(NEXT) | instid1(VALU_DEP_2)
	v_add_nc_u32_e32 v38, v38, v41
	v_mul_hi_u32 v41, v2, v39
	s_delay_alu instid0(VALU_DEP_2)
	v_mul_lo_u32 v42, v2, v38
	v_mul_hi_u32 v46, v2, v38
	v_mul_hi_u32 v47, v37, v39
	v_mul_lo_u32 v39, v37, v39
	v_mul_hi_u32 v48, v37, v38
	v_mul_lo_u32 v38, v37, v38
	v_add_co_u32 v41, vcc_lo, v41, v42
	v_add_co_ci_u32_e32 v42, vcc_lo, 0, v46, vcc_lo
	s_delay_alu instid0(VALU_DEP_2) | instskip(NEXT) | instid1(VALU_DEP_2)
	v_add_co_u32 v39, vcc_lo, v41, v39
	v_add_co_ci_u32_e32 v39, vcc_lo, v42, v47, vcc_lo
	v_add_co_ci_u32_e32 v41, vcc_lo, 0, v48, vcc_lo
	s_delay_alu instid0(VALU_DEP_2) | instskip(NEXT) | instid1(VALU_DEP_2)
	v_add_co_u32 v38, vcc_lo, v39, v38
	v_add_co_ci_u32_e32 v39, vcc_lo, 0, v41, vcc_lo
	s_delay_alu instid0(VALU_DEP_2) | instskip(NEXT) | instid1(VALU_DEP_2)
	v_add_co_u32 v2, vcc_lo, v2, v38
	v_add_co_ci_u32_e32 v37, vcc_lo, v37, v39, vcc_lo
	s_delay_alu instid0(VALU_DEP_2) | instskip(SKIP_1) | instid1(VALU_DEP_3)
	v_mul_hi_u32 v38, s0, v2
	v_mul_lo_u32 v41, s1, v2
	v_mul_lo_u32 v39, s0, v37
	s_delay_alu instid0(VALU_DEP_1) | instskip(SKIP_2) | instid1(VALU_DEP_3)
	v_add_nc_u32_e32 v38, v38, v39
	v_mul_lo_u32 v39, s0, v2
	v_add_co_u32 v43, s0, v43, v40
	v_add_nc_u32_e32 v38, v38, v41
	s_delay_alu instid0(VALU_DEP_3) | instskip(NEXT) | instid1(VALU_DEP_2)
	v_mul_hi_u32 v41, v2, v39
	v_mul_lo_u32 v42, v2, v38
	v_mul_hi_u32 v46, v2, v38
	v_mul_hi_u32 v47, v37, v39
	v_mul_lo_u32 v39, v37, v39
	v_mul_hi_u32 v48, v37, v38
	v_mul_lo_u32 v38, v37, v38
	v_add_co_u32 v41, vcc_lo, v41, v42
	v_add_co_ci_u32_e32 v42, vcc_lo, 0, v46, vcc_lo
	v_xor_b32_e32 v46, v43, v40
	s_delay_alu instid0(VALU_DEP_3) | instskip(NEXT) | instid1(VALU_DEP_3)
	v_add_co_u32 v39, vcc_lo, v41, v39
	v_add_co_ci_u32_e32 v39, vcc_lo, v42, v47, vcc_lo
	v_add_co_ci_u32_e32 v41, vcc_lo, 0, v48, vcc_lo
	v_add_co_ci_u32_e64 v42, vcc_lo, v44, v40, s0
	s_delay_alu instid0(VALU_DEP_3) | instskip(NEXT) | instid1(VALU_DEP_3)
	v_add_co_u32 v38, vcc_lo, v39, v38
	v_add_co_ci_u32_e32 v39, vcc_lo, 0, v41, vcc_lo
	s_delay_alu instid0(VALU_DEP_3) | instskip(NEXT) | instid1(VALU_DEP_3)
	v_xor_b32_e32 v47, v42, v40
	v_add_co_u32 v2, vcc_lo, v2, v38
	s_delay_alu instid0(VALU_DEP_3) | instskip(NEXT) | instid1(VALU_DEP_2)
	v_add_co_ci_u32_e32 v39, vcc_lo, v37, v39, vcc_lo
	v_mul_hi_u32 v48, v46, v2
	s_delay_alu instid0(VALU_DEP_4) | instskip(NEXT) | instid1(VALU_DEP_3)
	v_mad_u64_u32 v[41:42], null, v47, v2, 0
	v_mad_u64_u32 v[37:38], null, v46, v39, 0
	;; [unrolled: 1-line block ×3, first 2 shown]
	s_delay_alu instid0(VALU_DEP_2) | instskip(NEXT) | instid1(VALU_DEP_3)
	v_add_co_u32 v2, vcc_lo, v48, v37
	v_add_co_ci_u32_e32 v37, vcc_lo, 0, v38, vcc_lo
	s_delay_alu instid0(VALU_DEP_2) | instskip(NEXT) | instid1(VALU_DEP_2)
	v_add_co_u32 v2, vcc_lo, v2, v41
	v_add_co_ci_u32_e32 v2, vcc_lo, v37, v42, vcc_lo
	v_add_co_ci_u32_e32 v37, vcc_lo, 0, v44, vcc_lo
	s_delay_alu instid0(VALU_DEP_2) | instskip(NEXT) | instid1(VALU_DEP_2)
	v_add_co_u32 v2, vcc_lo, v2, v43
	v_add_co_ci_u32_e32 v39, vcc_lo, 0, v37, vcc_lo
	s_delay_alu instid0(VALU_DEP_2) | instskip(SKIP_1) | instid1(VALU_DEP_3)
	v_mul_lo_u32 v41, s3, v2
	v_mad_u64_u32 v[37:38], null, s2, v2, 0
	v_mul_lo_u32 v42, s2, v39
	s_delay_alu instid0(VALU_DEP_2) | instskip(NEXT) | instid1(VALU_DEP_2)
	v_sub_co_u32 v37, vcc_lo, v46, v37
	v_add3_u32 v38, v38, v42, v41
                                        ; implicit-def: $vgpr46
	s_delay_alu instid0(VALU_DEP_2) | instskip(NEXT) | instid1(VALU_DEP_2)
	v_cmp_le_u32_e64 s1, s2, v37
	v_sub_nc_u32_e32 v41, v47, v38
	s_delay_alu instid0(VALU_DEP_2) | instskip(NEXT) | instid1(VALU_DEP_2)
	v_cndmask_b32_e64 v43, 0, -1, s1
	v_subrev_co_ci_u32_e64 v41, s0, s3, v41, vcc_lo
	v_sub_co_u32 v42, s0, v37, s2
	v_sub_co_ci_u32_e32 v38, vcc_lo, v47, v38, vcc_lo
	s_delay_alu instid0(VALU_DEP_3) | instskip(NEXT) | instid1(VALU_DEP_3)
	v_subrev_co_ci_u32_e64 v41, s0, 0, v41, s0
	v_cmp_le_u32_e32 vcc_lo, s2, v42
	s_delay_alu instid0(VALU_DEP_3) | instskip(SKIP_1) | instid1(VALU_DEP_4)
	v_cmp_le_u32_e64 s2, s3, v38
	v_cmp_eq_u32_e64 s1, s3, v38
	v_cmp_le_u32_e64 s0, s3, v41
	v_cndmask_b32_e64 v37, 0, -1, vcc_lo
	v_cmp_eq_u32_e32 vcc_lo, s3, v41
	v_cndmask_b32_e64 v38, 0, -1, s2
	s_delay_alu instid0(VALU_DEP_4) | instskip(SKIP_1) | instid1(VALU_DEP_1)
	v_cndmask_b32_e64 v41, 0, -1, s0
	v_add_co_u32 v42, s0, v2, 2
	v_add_co_ci_u32_e64 v44, s0, 0, v39, s0
	s_delay_alu instid0(VALU_DEP_3) | instskip(SKIP_1) | instid1(VALU_DEP_2)
	v_cndmask_b32_e32 v37, v41, v37, vcc_lo
	v_add_co_u32 v41, vcc_lo, v2, 1
	v_cmp_ne_u32_e64 s0, 0, v37
	v_cndmask_b32_e64 v37, v38, v43, s1
	v_add_co_ci_u32_e32 v38, vcc_lo, 0, v39, vcc_lo
                                        ; implicit-def: $vgpr43
	s_delay_alu instid0(VALU_DEP_3) | instskip(NEXT) | instid1(VALU_DEP_3)
	v_cndmask_b32_e64 v41, v41, v42, s0
	v_cmp_ne_u32_e32 vcc_lo, 0, v37
	s_delay_alu instid0(VALU_DEP_3) | instskip(SKIP_1) | instid1(VALU_DEP_4)
	v_cndmask_b32_e64 v37, v38, v44, s0
	v_xor_b32_e32 v38, s100, v40
	v_cndmask_b32_e32 v2, v2, v41, vcc_lo
	s_delay_alu instid0(VALU_DEP_3) | instskip(NEXT) | instid1(VALU_DEP_2)
	v_cndmask_b32_e32 v37, v39, v37, vcc_lo
	v_xor_b32_e32 v2, v2, v38
	s_delay_alu instid0(VALU_DEP_2) | instskip(NEXT) | instid1(VALU_DEP_2)
	v_xor_b32_e32 v39, v37, v38
	v_sub_co_u32 v37, vcc_lo, v2, v38
	s_delay_alu instid0(VALU_DEP_2)
	v_sub_co_ci_u32_e32 v38, vcc_lo, v39, v38, vcc_lo
.LBB3_53:                               ;   in Loop: Header=BB3_3 Depth=1
	s_and_not1_saveexec_b32 s0, s96
	s_cbranch_execz .LBB3_55
; %bb.54:                               ;   in Loop: Header=BB3_3 Depth=1
	v_rcp_iflag_f32_e32 v2, v46
	s_sub_i32 s1, 0, s64
	s_waitcnt_depctr 0xfff
	v_mul_f32_e32 v2, 0x4f7ffffe, v2
	s_delay_alu instid0(VALU_DEP_1) | instskip(NEXT) | instid1(VALU_DEP_1)
	v_cvt_u32_f32_e32 v2, v2
	v_mul_lo_u32 v37, s1, v2
	s_delay_alu instid0(VALU_DEP_1) | instskip(NEXT) | instid1(VALU_DEP_1)
	v_mul_hi_u32 v37, v2, v37
	v_add_nc_u32_e32 v2, v2, v37
	s_delay_alu instid0(VALU_DEP_1) | instskip(NEXT) | instid1(VALU_DEP_1)
	v_mul_hi_u32 v2, v43, v2
	v_mul_lo_u32 v37, v2, s64
	v_add_nc_u32_e32 v38, 1, v2
	s_delay_alu instid0(VALU_DEP_2) | instskip(NEXT) | instid1(VALU_DEP_1)
	v_sub_nc_u32_e32 v37, v43, v37
	v_cmp_le_u32_e32 vcc_lo, s64, v37
	v_subrev_nc_u32_e32 v39, s64, v37
	s_delay_alu instid0(VALU_DEP_1) | instskip(NEXT) | instid1(VALU_DEP_1)
	v_dual_cndmask_b32 v2, v2, v38 :: v_dual_cndmask_b32 v37, v37, v39
	v_add_nc_u32_e32 v38, 1, v2
	s_delay_alu instid0(VALU_DEP_2) | instskip(NEXT) | instid1(VALU_DEP_2)
	v_cmp_le_u32_e32 vcc_lo, s64, v37
	v_dual_cndmask_b32 v37, v2, v38 :: v_dual_mov_b32 v38, v1
.LBB3_55:                               ;   in Loop: Header=BB3_3 Depth=1
	s_or_b32 exec_lo, exec_lo, s0
	v_or_b32_e32 v2, s53, v4
                                        ; implicit-def: $vgpr39_vgpr40
	s_mov_b32 s0, exec_lo
	s_delay_alu instid0(VALU_DEP_1)
	v_cmpx_ne_u64_e32 0, v[1:2]
	s_xor_b32 s96, exec_lo, s0
	s_cbranch_execz .LBB3_57
; %bb.56:                               ;   in Loop: Header=BB3_3 Depth=1
	s_ashr_i32 s100, s53, 31
	s_delay_alu instid0(SALU_CYCLE_1) | instskip(SKIP_2) | instid1(SALU_CYCLE_1)
	s_add_u32 s0, s52, s100
	s_mov_b32 s101, s100
	s_addc_u32 s1, s53, s100
	s_xor_b64 s[2:3], s[0:1], s[100:101]
	s_delay_alu instid0(SALU_CYCLE_1) | instskip(SKIP_3) | instid1(VALU_DEP_1)
	v_cvt_f32_u32_e32 v2, s2
	v_cvt_f32_u32_e32 v39, s3
	s_sub_u32 s0, 0, s2
	s_subb_u32 s1, 0, s3
	v_fmac_f32_e32 v2, 0x4f800000, v39
	s_delay_alu instid0(VALU_DEP_1) | instskip(SKIP_2) | instid1(VALU_DEP_1)
	v_rcp_f32_e32 v2, v2
	s_waitcnt_depctr 0xfff
	v_mul_f32_e32 v2, 0x5f7ffffc, v2
	v_mul_f32_e32 v39, 0x2f800000, v2
	s_delay_alu instid0(VALU_DEP_1) | instskip(NEXT) | instid1(VALU_DEP_1)
	v_trunc_f32_e32 v39, v39
	v_fmac_f32_e32 v2, 0xcf800000, v39
	v_cvt_u32_f32_e32 v39, v39
	s_delay_alu instid0(VALU_DEP_2) | instskip(NEXT) | instid1(VALU_DEP_2)
	v_cvt_u32_f32_e32 v2, v2
	v_mul_lo_u32 v40, s0, v39
	s_delay_alu instid0(VALU_DEP_2) | instskip(SKIP_1) | instid1(VALU_DEP_2)
	v_mul_hi_u32 v41, s0, v2
	v_mul_lo_u32 v42, s1, v2
	v_add_nc_u32_e32 v40, v41, v40
	v_mul_lo_u32 v41, s0, v2
	s_delay_alu instid0(VALU_DEP_2) | instskip(NEXT) | instid1(VALU_DEP_2)
	v_add_nc_u32_e32 v40, v40, v42
	v_mul_hi_u32 v42, v2, v41
	s_delay_alu instid0(VALU_DEP_2)
	v_mul_lo_u32 v43, v2, v40
	v_mul_hi_u32 v44, v2, v40
	v_mul_hi_u32 v46, v39, v41
	v_mul_lo_u32 v41, v39, v41
	v_mul_hi_u32 v47, v39, v40
	v_mul_lo_u32 v40, v39, v40
	v_add_co_u32 v42, vcc_lo, v42, v43
	v_add_co_ci_u32_e32 v43, vcc_lo, 0, v44, vcc_lo
	s_delay_alu instid0(VALU_DEP_2) | instskip(NEXT) | instid1(VALU_DEP_2)
	v_add_co_u32 v41, vcc_lo, v42, v41
	v_add_co_ci_u32_e32 v41, vcc_lo, v43, v46, vcc_lo
	v_add_co_ci_u32_e32 v42, vcc_lo, 0, v47, vcc_lo
	s_delay_alu instid0(VALU_DEP_2) | instskip(NEXT) | instid1(VALU_DEP_2)
	v_add_co_u32 v40, vcc_lo, v41, v40
	v_add_co_ci_u32_e32 v41, vcc_lo, 0, v42, vcc_lo
	s_delay_alu instid0(VALU_DEP_2) | instskip(NEXT) | instid1(VALU_DEP_2)
	v_add_co_u32 v2, vcc_lo, v2, v40
	v_add_co_ci_u32_e32 v39, vcc_lo, v39, v41, vcc_lo
	s_delay_alu instid0(VALU_DEP_2) | instskip(SKIP_1) | instid1(VALU_DEP_3)
	v_mul_hi_u32 v40, s0, v2
	v_mul_lo_u32 v42, s1, v2
	v_mul_lo_u32 v41, s0, v39
	s_delay_alu instid0(VALU_DEP_1) | instskip(SKIP_2) | instid1(VALU_DEP_3)
	v_add_nc_u32_e32 v40, v40, v41
	v_mul_lo_u32 v41, s0, v2
	v_add_co_u32 v46, s0, v3, v45
	v_add_nc_u32_e32 v40, v40, v42
	s_delay_alu instid0(VALU_DEP_2) | instskip(NEXT) | instid1(VALU_DEP_4)
	v_xor_b32_e32 v46, v46, v45
	v_mul_hi_u32 v42, v2, v41
	s_delay_alu instid0(VALU_DEP_3)
	v_mul_lo_u32 v43, v2, v40
	v_mul_hi_u32 v44, v2, v40
	v_mul_hi_u32 v47, v39, v41
	v_mul_lo_u32 v41, v39, v41
	v_mul_hi_u32 v48, v39, v40
	v_mul_lo_u32 v40, v39, v40
	v_add_co_u32 v42, vcc_lo, v42, v43
	v_add_co_ci_u32_e32 v43, vcc_lo, 0, v44, vcc_lo
	s_delay_alu instid0(VALU_DEP_2) | instskip(NEXT) | instid1(VALU_DEP_2)
	v_add_co_u32 v41, vcc_lo, v42, v41
	v_add_co_ci_u32_e32 v41, vcc_lo, v43, v47, vcc_lo
	v_add_co_ci_u32_e32 v42, vcc_lo, 0, v48, vcc_lo
	v_add_co_ci_u32_e64 v43, vcc_lo, v4, v45, s0
	s_delay_alu instid0(VALU_DEP_3) | instskip(NEXT) | instid1(VALU_DEP_3)
	v_add_co_u32 v40, vcc_lo, v41, v40
	v_add_co_ci_u32_e32 v41, vcc_lo, 0, v42, vcc_lo
	s_delay_alu instid0(VALU_DEP_3) | instskip(NEXT) | instid1(VALU_DEP_3)
	v_xor_b32_e32 v48, v43, v45
	v_add_co_u32 v2, vcc_lo, v2, v40
	s_delay_alu instid0(VALU_DEP_3) | instskip(NEXT) | instid1(VALU_DEP_2)
	v_add_co_ci_u32_e32 v47, vcc_lo, v39, v41, vcc_lo
	v_mul_hi_u32 v49, v46, v2
	s_delay_alu instid0(VALU_DEP_4) | instskip(NEXT) | instid1(VALU_DEP_3)
	v_mad_u64_u32 v[41:42], null, v48, v2, 0
	v_mad_u64_u32 v[39:40], null, v46, v47, 0
	;; [unrolled: 1-line block ×3, first 2 shown]
	s_delay_alu instid0(VALU_DEP_2) | instskip(NEXT) | instid1(VALU_DEP_3)
	v_add_co_u32 v2, vcc_lo, v49, v39
	v_add_co_ci_u32_e32 v39, vcc_lo, 0, v40, vcc_lo
	s_delay_alu instid0(VALU_DEP_2) | instskip(NEXT) | instid1(VALU_DEP_2)
	v_add_co_u32 v2, vcc_lo, v2, v41
	v_add_co_ci_u32_e32 v2, vcc_lo, v39, v42, vcc_lo
	v_add_co_ci_u32_e32 v39, vcc_lo, 0, v44, vcc_lo
	s_delay_alu instid0(VALU_DEP_2) | instskip(NEXT) | instid1(VALU_DEP_2)
	v_add_co_u32 v2, vcc_lo, v2, v43
	v_add_co_ci_u32_e32 v41, vcc_lo, 0, v39, vcc_lo
	s_delay_alu instid0(VALU_DEP_2) | instskip(SKIP_1) | instid1(VALU_DEP_3)
	v_mul_lo_u32 v42, s3, v2
	v_mad_u64_u32 v[39:40], null, s2, v2, 0
	v_mul_lo_u32 v43, s2, v41
	s_delay_alu instid0(VALU_DEP_2) | instskip(NEXT) | instid1(VALU_DEP_2)
	v_sub_co_u32 v39, vcc_lo, v46, v39
	v_add3_u32 v40, v40, v43, v42
	s_delay_alu instid0(VALU_DEP_2) | instskip(NEXT) | instid1(VALU_DEP_2)
	v_cmp_le_u32_e64 s1, s2, v39
	v_sub_nc_u32_e32 v42, v48, v40
	s_delay_alu instid0(VALU_DEP_2) | instskip(NEXT) | instid1(VALU_DEP_2)
	v_cndmask_b32_e64 v44, 0, -1, s1
	v_subrev_co_ci_u32_e64 v42, s0, s3, v42, vcc_lo
	v_sub_co_u32 v43, s0, v39, s2
	v_sub_co_ci_u32_e32 v40, vcc_lo, v48, v40, vcc_lo
	s_delay_alu instid0(VALU_DEP_3) | instskip(NEXT) | instid1(VALU_DEP_3)
	v_subrev_co_ci_u32_e64 v42, s0, 0, v42, s0
	v_cmp_le_u32_e32 vcc_lo, s2, v43
	s_delay_alu instid0(VALU_DEP_3) | instskip(SKIP_1) | instid1(VALU_DEP_4)
	v_cmp_le_u32_e64 s2, s3, v40
	v_cmp_eq_u32_e64 s1, s3, v40
	v_cmp_le_u32_e64 s0, s3, v42
	v_cndmask_b32_e64 v39, 0, -1, vcc_lo
	v_cmp_eq_u32_e32 vcc_lo, s3, v42
	v_cndmask_b32_e64 v40, 0, -1, s2
	s_delay_alu instid0(VALU_DEP_4) | instskip(SKIP_1) | instid1(VALU_DEP_1)
	v_cndmask_b32_e64 v42, 0, -1, s0
	v_add_co_u32 v43, s0, v2, 2
	v_add_co_ci_u32_e64 v46, s0, 0, v41, s0
	s_delay_alu instid0(VALU_DEP_3) | instskip(SKIP_1) | instid1(VALU_DEP_2)
	v_cndmask_b32_e32 v39, v42, v39, vcc_lo
	v_add_co_u32 v42, vcc_lo, v2, 1
	v_cmp_ne_u32_e64 s0, 0, v39
	v_cndmask_b32_e64 v39, v40, v44, s1
	v_add_co_ci_u32_e32 v40, vcc_lo, 0, v41, vcc_lo
	s_delay_alu instid0(VALU_DEP_3) | instskip(NEXT) | instid1(VALU_DEP_3)
	v_cndmask_b32_e64 v42, v42, v43, s0
	v_cmp_ne_u32_e32 vcc_lo, 0, v39
	s_delay_alu instid0(VALU_DEP_3) | instskip(SKIP_1) | instid1(VALU_DEP_2)
	v_cndmask_b32_e64 v39, v40, v46, s0
	v_xor_b32_e32 v40, s100, v45
	v_dual_cndmask_b32 v2, v2, v42 :: v_dual_cndmask_b32 v39, v41, v39
	s_delay_alu instid0(VALU_DEP_1) | instskip(NEXT) | instid1(VALU_DEP_2)
	v_xor_b32_e32 v2, v2, v40
	v_xor_b32_e32 v41, v39, v40
	s_delay_alu instid0(VALU_DEP_2) | instskip(NEXT) | instid1(VALU_DEP_2)
	v_sub_co_u32 v39, vcc_lo, v2, v40
	v_sub_co_ci_u32_e32 v40, vcc_lo, v41, v40, vcc_lo
.LBB3_57:                               ;   in Loop: Header=BB3_3 Depth=1
	s_and_not1_saveexec_b32 s0, s96
	s_cbranch_execz .LBB3_59
; %bb.58:                               ;   in Loop: Header=BB3_3 Depth=1
	v_cvt_f32_u32_e32 v2, s52
	s_sub_i32 s1, 0, s52
	s_delay_alu instid0(VALU_DEP_1) | instskip(SKIP_2) | instid1(VALU_DEP_1)
	v_rcp_iflag_f32_e32 v2, v2
	s_waitcnt_depctr 0xfff
	v_mul_f32_e32 v2, 0x4f7ffffe, v2
	v_cvt_u32_f32_e32 v2, v2
	s_delay_alu instid0(VALU_DEP_1) | instskip(NEXT) | instid1(VALU_DEP_1)
	v_mul_lo_u32 v39, s1, v2
	v_mul_hi_u32 v39, v2, v39
	s_delay_alu instid0(VALU_DEP_1) | instskip(NEXT) | instid1(VALU_DEP_1)
	v_add_nc_u32_e32 v2, v2, v39
	v_mul_hi_u32 v2, v3, v2
	s_delay_alu instid0(VALU_DEP_1) | instskip(SKIP_1) | instid1(VALU_DEP_2)
	v_mul_lo_u32 v39, v2, s52
	v_add_nc_u32_e32 v40, 1, v2
	v_sub_nc_u32_e32 v39, v3, v39
	s_delay_alu instid0(VALU_DEP_1) | instskip(SKIP_1) | instid1(VALU_DEP_1)
	v_cmp_le_u32_e32 vcc_lo, s52, v39
	v_subrev_nc_u32_e32 v41, s52, v39
	v_dual_cndmask_b32 v2, v2, v40 :: v_dual_cndmask_b32 v39, v39, v41
	s_delay_alu instid0(VALU_DEP_1) | instskip(NEXT) | instid1(VALU_DEP_2)
	v_add_nc_u32_e32 v40, 1, v2
	v_cmp_le_u32_e32 vcc_lo, s52, v39
	s_delay_alu instid0(VALU_DEP_2)
	v_dual_cndmask_b32 v39, v2, v40 :: v_dual_mov_b32 v40, v1
.LBB3_59:                               ;   in Loop: Header=BB3_3 Depth=1
	s_or_b32 exec_lo, exec_lo, s0
	s_delay_alu instid0(VALU_DEP_1) | instskip(NEXT) | instid1(VALU_DEP_2)
	v_mad_u64_u32 v[41:42], null, s50, v39, v[3:4]
	v_mul_lo_u32 v2, s50, v40
	v_mul_lo_u32 v43, s51, v39
	;; [unrolled: 1-line block ×4, first 2 shown]
	v_readlane_b32 s0, v67, 0
	v_readlane_b32 s1, v67, 1
	v_mul_lo_u32 v47, v41, s19
	v_add3_u32 v2, v43, v42, v2
	v_mad_u64_u32 v[42:43], null, v39, s16, 0
	v_mad_u64_u32 v[39:40], null, v41, s18, 0
	s_delay_alu instid0(VALU_DEP_3) | instskip(NEXT) | instid1(VALU_DEP_3)
	v_mul_lo_u32 v2, v2, s18
	v_add3_u32 v43, v43, v46, v44
	s_delay_alu instid0(VALU_DEP_2) | instskip(NEXT) | instid1(VALU_DEP_2)
	v_add3_u32 v40, v40, v47, v2
	v_lshlrev_b64 v[41:42], 3, v[42:43]
	s_delay_alu instid0(VALU_DEP_2) | instskip(NEXT) | instid1(VALU_DEP_2)
	v_lshlrev_b64 v[39:40], 3, v[39:40]
	v_add_co_u32 v2, vcc_lo, s0, v41
	s_delay_alu instid0(VALU_DEP_3) | instskip(SKIP_1) | instid1(VALU_DEP_2)
	v_add_co_ci_u32_e32 v41, vcc_lo, s1, v42, vcc_lo
	s_mov_b32 s0, exec_lo
	v_add_co_u32 v39, vcc_lo, v2, v39
	s_delay_alu instid0(VALU_DEP_2)
	v_add_co_ci_u32_e32 v40, vcc_lo, v41, v40, vcc_lo
	v_or_b32_e32 v2, s57, v4
                                        ; implicit-def: $vgpr41_vgpr42
	global_load_b64 v[39:40], v[39:40], off
	v_cmpx_ne_u64_e32 0, v[1:2]
	s_xor_b32 s96, exec_lo, s0
	s_cbranch_execz .LBB3_61
; %bb.60:                               ;   in Loop: Header=BB3_3 Depth=1
	s_ashr_i32 s100, s57, 31
	s_delay_alu instid0(SALU_CYCLE_1) | instskip(SKIP_2) | instid1(SALU_CYCLE_1)
	s_add_u32 s0, s56, s100
	s_mov_b32 s101, s100
	s_addc_u32 s1, s57, s100
	s_xor_b64 s[2:3], s[0:1], s[100:101]
	s_delay_alu instid0(SALU_CYCLE_1) | instskip(SKIP_3) | instid1(VALU_DEP_1)
	v_cvt_f32_u32_e32 v2, s2
	v_cvt_f32_u32_e32 v41, s3
	s_sub_u32 s0, 0, s2
	s_subb_u32 s1, 0, s3
	v_fmac_f32_e32 v2, 0x4f800000, v41
	s_delay_alu instid0(VALU_DEP_1) | instskip(SKIP_2) | instid1(VALU_DEP_1)
	v_rcp_f32_e32 v2, v2
	s_waitcnt_depctr 0xfff
	v_mul_f32_e32 v2, 0x5f7ffffc, v2
	v_mul_f32_e32 v41, 0x2f800000, v2
	s_delay_alu instid0(VALU_DEP_1) | instskip(NEXT) | instid1(VALU_DEP_1)
	v_trunc_f32_e32 v41, v41
	v_fmac_f32_e32 v2, 0xcf800000, v41
	v_cvt_u32_f32_e32 v41, v41
	s_delay_alu instid0(VALU_DEP_2) | instskip(NEXT) | instid1(VALU_DEP_2)
	v_cvt_u32_f32_e32 v2, v2
	v_mul_lo_u32 v42, s0, v41
	s_delay_alu instid0(VALU_DEP_2) | instskip(SKIP_1) | instid1(VALU_DEP_2)
	v_mul_hi_u32 v43, s0, v2
	v_mul_lo_u32 v44, s1, v2
	v_add_nc_u32_e32 v42, v43, v42
	v_mul_lo_u32 v43, s0, v2
	s_delay_alu instid0(VALU_DEP_2) | instskip(NEXT) | instid1(VALU_DEP_2)
	v_add_nc_u32_e32 v42, v42, v44
	v_mul_hi_u32 v44, v2, v43
	s_delay_alu instid0(VALU_DEP_2)
	v_mul_lo_u32 v46, v2, v42
	v_mul_hi_u32 v47, v2, v42
	v_mul_hi_u32 v48, v41, v43
	v_mul_lo_u32 v43, v41, v43
	v_mul_hi_u32 v49, v41, v42
	v_mul_lo_u32 v42, v41, v42
	v_add_co_u32 v44, vcc_lo, v44, v46
	v_add_co_ci_u32_e32 v46, vcc_lo, 0, v47, vcc_lo
	s_delay_alu instid0(VALU_DEP_2) | instskip(NEXT) | instid1(VALU_DEP_2)
	v_add_co_u32 v43, vcc_lo, v44, v43
	v_add_co_ci_u32_e32 v43, vcc_lo, v46, v48, vcc_lo
	v_add_co_ci_u32_e32 v44, vcc_lo, 0, v49, vcc_lo
	s_delay_alu instid0(VALU_DEP_2) | instskip(NEXT) | instid1(VALU_DEP_2)
	v_add_co_u32 v42, vcc_lo, v43, v42
	v_add_co_ci_u32_e32 v43, vcc_lo, 0, v44, vcc_lo
	s_delay_alu instid0(VALU_DEP_2) | instskip(NEXT) | instid1(VALU_DEP_2)
	v_add_co_u32 v2, vcc_lo, v2, v42
	v_add_co_ci_u32_e32 v41, vcc_lo, v41, v43, vcc_lo
	s_delay_alu instid0(VALU_DEP_2) | instskip(SKIP_1) | instid1(VALU_DEP_3)
	v_mul_hi_u32 v42, s0, v2
	v_mul_lo_u32 v44, s1, v2
	v_mul_lo_u32 v43, s0, v41
	s_delay_alu instid0(VALU_DEP_1) | instskip(SKIP_2) | instid1(VALU_DEP_3)
	v_add_nc_u32_e32 v42, v42, v43
	v_mul_lo_u32 v43, s0, v2
	v_add_co_u32 v48, s0, v3, v45
	v_add_nc_u32_e32 v42, v42, v44
	s_delay_alu instid0(VALU_DEP_2) | instskip(NEXT) | instid1(VALU_DEP_4)
	v_xor_b32_e32 v48, v48, v45
	v_mul_hi_u32 v44, v2, v43
	s_delay_alu instid0(VALU_DEP_3)
	v_mul_lo_u32 v46, v2, v42
	v_mul_hi_u32 v47, v2, v42
	v_mul_hi_u32 v49, v41, v43
	v_mul_lo_u32 v43, v41, v43
	v_mul_hi_u32 v50, v41, v42
	v_mul_lo_u32 v42, v41, v42
	v_add_co_u32 v44, vcc_lo, v44, v46
	v_add_co_ci_u32_e32 v46, vcc_lo, 0, v47, vcc_lo
	s_delay_alu instid0(VALU_DEP_2) | instskip(NEXT) | instid1(VALU_DEP_2)
	v_add_co_u32 v43, vcc_lo, v44, v43
	v_add_co_ci_u32_e32 v43, vcc_lo, v46, v49, vcc_lo
	v_add_co_ci_u32_e32 v44, vcc_lo, 0, v50, vcc_lo
	v_add_co_ci_u32_e64 v46, vcc_lo, v4, v45, s0
	s_delay_alu instid0(VALU_DEP_3) | instskip(NEXT) | instid1(VALU_DEP_3)
	v_add_co_u32 v42, vcc_lo, v43, v42
	v_add_co_ci_u32_e32 v43, vcc_lo, 0, v44, vcc_lo
	s_delay_alu instid0(VALU_DEP_3) | instskip(NEXT) | instid1(VALU_DEP_3)
	v_xor_b32_e32 v50, v46, v45
	v_add_co_u32 v2, vcc_lo, v2, v42
	s_delay_alu instid0(VALU_DEP_3) | instskip(NEXT) | instid1(VALU_DEP_2)
	v_add_co_ci_u32_e32 v49, vcc_lo, v41, v43, vcc_lo
	v_mul_hi_u32 v51, v48, v2
	s_delay_alu instid0(VALU_DEP_4) | instskip(NEXT) | instid1(VALU_DEP_3)
	v_mad_u64_u32 v[43:44], null, v50, v2, 0
	v_mad_u64_u32 v[41:42], null, v48, v49, 0
	;; [unrolled: 1-line block ×3, first 2 shown]
	s_delay_alu instid0(VALU_DEP_2) | instskip(NEXT) | instid1(VALU_DEP_3)
	v_add_co_u32 v2, vcc_lo, v51, v41
	v_add_co_ci_u32_e32 v41, vcc_lo, 0, v42, vcc_lo
	s_delay_alu instid0(VALU_DEP_2) | instskip(NEXT) | instid1(VALU_DEP_2)
	v_add_co_u32 v2, vcc_lo, v2, v43
	v_add_co_ci_u32_e32 v2, vcc_lo, v41, v44, vcc_lo
	v_add_co_ci_u32_e32 v41, vcc_lo, 0, v47, vcc_lo
	s_delay_alu instid0(VALU_DEP_2) | instskip(NEXT) | instid1(VALU_DEP_2)
	v_add_co_u32 v2, vcc_lo, v2, v46
	v_add_co_ci_u32_e32 v43, vcc_lo, 0, v41, vcc_lo
	s_delay_alu instid0(VALU_DEP_2) | instskip(SKIP_1) | instid1(VALU_DEP_3)
	v_mul_lo_u32 v44, s3, v2
	v_mad_u64_u32 v[41:42], null, s2, v2, 0
	v_mul_lo_u32 v46, s2, v43
	s_delay_alu instid0(VALU_DEP_2) | instskip(NEXT) | instid1(VALU_DEP_2)
	v_sub_co_u32 v41, vcc_lo, v48, v41
	v_add3_u32 v42, v42, v46, v44
	s_delay_alu instid0(VALU_DEP_2) | instskip(NEXT) | instid1(VALU_DEP_2)
	v_cmp_le_u32_e64 s1, s2, v41
	v_sub_nc_u32_e32 v44, v50, v42
	s_delay_alu instid0(VALU_DEP_2) | instskip(NEXT) | instid1(VALU_DEP_2)
	v_cndmask_b32_e64 v47, 0, -1, s1
	v_subrev_co_ci_u32_e64 v44, s0, s3, v44, vcc_lo
	v_sub_co_u32 v46, s0, v41, s2
	v_sub_co_ci_u32_e32 v42, vcc_lo, v50, v42, vcc_lo
	s_delay_alu instid0(VALU_DEP_3) | instskip(NEXT) | instid1(VALU_DEP_3)
	v_subrev_co_ci_u32_e64 v44, s0, 0, v44, s0
	v_cmp_le_u32_e32 vcc_lo, s2, v46
	s_delay_alu instid0(VALU_DEP_3) | instskip(SKIP_1) | instid1(VALU_DEP_4)
	v_cmp_le_u32_e64 s2, s3, v42
	v_cmp_eq_u32_e64 s1, s3, v42
	v_cmp_le_u32_e64 s0, s3, v44
	v_cndmask_b32_e64 v41, 0, -1, vcc_lo
	v_cmp_eq_u32_e32 vcc_lo, s3, v44
	v_cndmask_b32_e64 v42, 0, -1, s2
	s_delay_alu instid0(VALU_DEP_4) | instskip(SKIP_1) | instid1(VALU_DEP_1)
	v_cndmask_b32_e64 v44, 0, -1, s0
	v_add_co_u32 v46, s0, v2, 2
	v_add_co_ci_u32_e64 v48, s0, 0, v43, s0
	s_delay_alu instid0(VALU_DEP_3) | instskip(SKIP_1) | instid1(VALU_DEP_2)
	v_cndmask_b32_e32 v41, v44, v41, vcc_lo
	v_add_co_u32 v44, vcc_lo, v2, 1
	v_cmp_ne_u32_e64 s0, 0, v41
	v_cndmask_b32_e64 v41, v42, v47, s1
	v_add_co_ci_u32_e32 v42, vcc_lo, 0, v43, vcc_lo
	s_delay_alu instid0(VALU_DEP_3) | instskip(NEXT) | instid1(VALU_DEP_3)
	v_cndmask_b32_e64 v44, v44, v46, s0
	v_cmp_ne_u32_e32 vcc_lo, 0, v41
	s_delay_alu instid0(VALU_DEP_3) | instskip(SKIP_1) | instid1(VALU_DEP_2)
	v_cndmask_b32_e64 v41, v42, v48, s0
	v_xor_b32_e32 v42, s100, v45
	v_dual_cndmask_b32 v2, v2, v44 :: v_dual_cndmask_b32 v41, v43, v41
	s_delay_alu instid0(VALU_DEP_1) | instskip(NEXT) | instid1(VALU_DEP_2)
	v_xor_b32_e32 v2, v2, v42
	v_xor_b32_e32 v43, v41, v42
	s_delay_alu instid0(VALU_DEP_2) | instskip(NEXT) | instid1(VALU_DEP_2)
	v_sub_co_u32 v41, vcc_lo, v2, v42
	v_sub_co_ci_u32_e32 v42, vcc_lo, v43, v42, vcc_lo
.LBB3_61:                               ;   in Loop: Header=BB3_3 Depth=1
	s_and_not1_saveexec_b32 s0, s96
	s_cbranch_execz .LBB3_63
; %bb.62:                               ;   in Loop: Header=BB3_3 Depth=1
	v_cvt_f32_u32_e32 v2, s56
	s_sub_i32 s1, 0, s56
	s_delay_alu instid0(VALU_DEP_1) | instskip(SKIP_2) | instid1(VALU_DEP_1)
	v_rcp_iflag_f32_e32 v2, v2
	s_waitcnt_depctr 0xfff
	v_mul_f32_e32 v2, 0x4f7ffffe, v2
	v_cvt_u32_f32_e32 v2, v2
	s_delay_alu instid0(VALU_DEP_1) | instskip(NEXT) | instid1(VALU_DEP_1)
	v_mul_lo_u32 v41, s1, v2
	v_mul_hi_u32 v41, v2, v41
	s_delay_alu instid0(VALU_DEP_1) | instskip(NEXT) | instid1(VALU_DEP_1)
	v_add_nc_u32_e32 v2, v2, v41
	v_mul_hi_u32 v2, v3, v2
	s_delay_alu instid0(VALU_DEP_1) | instskip(SKIP_1) | instid1(VALU_DEP_2)
	v_mul_lo_u32 v41, v2, s56
	v_add_nc_u32_e32 v42, 1, v2
	v_sub_nc_u32_e32 v41, v3, v41
	s_delay_alu instid0(VALU_DEP_1) | instskip(SKIP_1) | instid1(VALU_DEP_1)
	v_cmp_le_u32_e32 vcc_lo, s56, v41
	v_subrev_nc_u32_e32 v43, s56, v41
	v_dual_cndmask_b32 v2, v2, v42 :: v_dual_cndmask_b32 v41, v41, v43
	s_delay_alu instid0(VALU_DEP_1) | instskip(NEXT) | instid1(VALU_DEP_2)
	v_add_nc_u32_e32 v42, 1, v2
	v_cmp_le_u32_e32 vcc_lo, s56, v41
	s_delay_alu instid0(VALU_DEP_2)
	v_dual_cndmask_b32 v41, v2, v42 :: v_dual_mov_b32 v42, v1
.LBB3_63:                               ;   in Loop: Header=BB3_3 Depth=1
	s_or_b32 exec_lo, exec_lo, s0
	v_or_b32_e32 v2, s61, v4
                                        ; implicit-def: $vgpr43_vgpr44
	s_mov_b32 s0, exec_lo
	s_delay_alu instid0(VALU_DEP_1)
	v_cmpx_ne_u64_e32 0, v[1:2]
	s_xor_b32 s96, exec_lo, s0
	s_cbranch_execz .LBB3_65
; %bb.64:                               ;   in Loop: Header=BB3_3 Depth=1
	s_ashr_i32 s100, s61, 31
	s_delay_alu instid0(SALU_CYCLE_1) | instskip(SKIP_2) | instid1(SALU_CYCLE_1)
	s_add_u32 s0, s60, s100
	s_mov_b32 s101, s100
	s_addc_u32 s1, s61, s100
	s_xor_b64 s[2:3], s[0:1], s[100:101]
	s_delay_alu instid0(SALU_CYCLE_1) | instskip(SKIP_3) | instid1(VALU_DEP_1)
	v_cvt_f32_u32_e32 v2, s2
	v_cvt_f32_u32_e32 v43, s3
	s_sub_u32 s0, 0, s2
	s_subb_u32 s1, 0, s3
	v_fmac_f32_e32 v2, 0x4f800000, v43
	s_delay_alu instid0(VALU_DEP_1) | instskip(SKIP_2) | instid1(VALU_DEP_1)
	v_rcp_f32_e32 v2, v2
	s_waitcnt_depctr 0xfff
	v_mul_f32_e32 v2, 0x5f7ffffc, v2
	v_mul_f32_e32 v43, 0x2f800000, v2
	s_delay_alu instid0(VALU_DEP_1) | instskip(NEXT) | instid1(VALU_DEP_1)
	v_trunc_f32_e32 v43, v43
	v_fmac_f32_e32 v2, 0xcf800000, v43
	v_cvt_u32_f32_e32 v43, v43
	s_delay_alu instid0(VALU_DEP_2) | instskip(NEXT) | instid1(VALU_DEP_2)
	v_cvt_u32_f32_e32 v2, v2
	v_mul_lo_u32 v44, s0, v43
	s_delay_alu instid0(VALU_DEP_2) | instskip(SKIP_1) | instid1(VALU_DEP_2)
	v_mul_hi_u32 v46, s0, v2
	v_mul_lo_u32 v47, s1, v2
	v_add_nc_u32_e32 v44, v46, v44
	v_mul_lo_u32 v46, s0, v2
	s_delay_alu instid0(VALU_DEP_2) | instskip(NEXT) | instid1(VALU_DEP_2)
	v_add_nc_u32_e32 v44, v44, v47
	v_mul_hi_u32 v47, v2, v46
	s_delay_alu instid0(VALU_DEP_2)
	v_mul_lo_u32 v48, v2, v44
	v_mul_hi_u32 v49, v2, v44
	v_mul_hi_u32 v50, v43, v46
	v_mul_lo_u32 v46, v43, v46
	v_mul_hi_u32 v51, v43, v44
	v_mul_lo_u32 v44, v43, v44
	v_add_co_u32 v47, vcc_lo, v47, v48
	v_add_co_ci_u32_e32 v48, vcc_lo, 0, v49, vcc_lo
	s_delay_alu instid0(VALU_DEP_2) | instskip(NEXT) | instid1(VALU_DEP_2)
	v_add_co_u32 v46, vcc_lo, v47, v46
	v_add_co_ci_u32_e32 v46, vcc_lo, v48, v50, vcc_lo
	v_add_co_ci_u32_e32 v47, vcc_lo, 0, v51, vcc_lo
	s_delay_alu instid0(VALU_DEP_2) | instskip(NEXT) | instid1(VALU_DEP_2)
	v_add_co_u32 v44, vcc_lo, v46, v44
	v_add_co_ci_u32_e32 v46, vcc_lo, 0, v47, vcc_lo
	s_delay_alu instid0(VALU_DEP_2) | instskip(NEXT) | instid1(VALU_DEP_2)
	v_add_co_u32 v2, vcc_lo, v2, v44
	v_add_co_ci_u32_e32 v43, vcc_lo, v43, v46, vcc_lo
	s_delay_alu instid0(VALU_DEP_2) | instskip(SKIP_1) | instid1(VALU_DEP_3)
	v_mul_hi_u32 v44, s0, v2
	v_mul_lo_u32 v47, s1, v2
	v_mul_lo_u32 v46, s0, v43
	s_delay_alu instid0(VALU_DEP_1) | instskip(SKIP_2) | instid1(VALU_DEP_3)
	v_add_nc_u32_e32 v44, v44, v46
	v_mul_lo_u32 v46, s0, v2
	v_add_co_u32 v50, s0, v3, v45
	v_add_nc_u32_e32 v44, v44, v47
	s_delay_alu instid0(VALU_DEP_2) | instskip(NEXT) | instid1(VALU_DEP_4)
	v_xor_b32_e32 v50, v50, v45
	v_mul_hi_u32 v47, v2, v46
	s_delay_alu instid0(VALU_DEP_3)
	v_mul_lo_u32 v48, v2, v44
	v_mul_hi_u32 v49, v2, v44
	v_mul_hi_u32 v51, v43, v46
	v_mul_lo_u32 v46, v43, v46
	v_mul_hi_u32 v52, v43, v44
	v_mul_lo_u32 v44, v43, v44
	v_add_co_u32 v47, vcc_lo, v47, v48
	v_add_co_ci_u32_e32 v48, vcc_lo, 0, v49, vcc_lo
	s_delay_alu instid0(VALU_DEP_2) | instskip(NEXT) | instid1(VALU_DEP_2)
	v_add_co_u32 v46, vcc_lo, v47, v46
	v_add_co_ci_u32_e32 v46, vcc_lo, v48, v51, vcc_lo
	v_add_co_ci_u32_e32 v47, vcc_lo, 0, v52, vcc_lo
	v_add_co_ci_u32_e64 v48, vcc_lo, v4, v45, s0
	s_delay_alu instid0(VALU_DEP_3) | instskip(NEXT) | instid1(VALU_DEP_3)
	v_add_co_u32 v44, vcc_lo, v46, v44
	v_add_co_ci_u32_e32 v46, vcc_lo, 0, v47, vcc_lo
	s_delay_alu instid0(VALU_DEP_3) | instskip(NEXT) | instid1(VALU_DEP_3)
	v_xor_b32_e32 v52, v48, v45
	v_add_co_u32 v2, vcc_lo, v2, v44
	s_delay_alu instid0(VALU_DEP_3) | instskip(NEXT) | instid1(VALU_DEP_2)
	v_add_co_ci_u32_e32 v51, vcc_lo, v43, v46, vcc_lo
	v_mul_hi_u32 v53, v50, v2
	s_delay_alu instid0(VALU_DEP_4) | instskip(NEXT) | instid1(VALU_DEP_3)
	v_mad_u64_u32 v[46:47], null, v52, v2, 0
	v_mad_u64_u32 v[43:44], null, v50, v51, 0
	;; [unrolled: 1-line block ×3, first 2 shown]
	s_delay_alu instid0(VALU_DEP_2) | instskip(NEXT) | instid1(VALU_DEP_3)
	v_add_co_u32 v2, vcc_lo, v53, v43
	v_add_co_ci_u32_e32 v43, vcc_lo, 0, v44, vcc_lo
	s_delay_alu instid0(VALU_DEP_2) | instskip(NEXT) | instid1(VALU_DEP_2)
	v_add_co_u32 v2, vcc_lo, v2, v46
	v_add_co_ci_u32_e32 v2, vcc_lo, v43, v47, vcc_lo
	v_add_co_ci_u32_e32 v43, vcc_lo, 0, v49, vcc_lo
	s_delay_alu instid0(VALU_DEP_2) | instskip(NEXT) | instid1(VALU_DEP_2)
	v_add_co_u32 v2, vcc_lo, v2, v48
	v_add_co_ci_u32_e32 v46, vcc_lo, 0, v43, vcc_lo
	s_delay_alu instid0(VALU_DEP_2) | instskip(SKIP_1) | instid1(VALU_DEP_3)
	v_mul_lo_u32 v47, s3, v2
	v_mad_u64_u32 v[43:44], null, s2, v2, 0
	v_mul_lo_u32 v48, s2, v46
	s_delay_alu instid0(VALU_DEP_2) | instskip(NEXT) | instid1(VALU_DEP_2)
	v_sub_co_u32 v43, vcc_lo, v50, v43
	v_add3_u32 v44, v44, v48, v47
	s_delay_alu instid0(VALU_DEP_2) | instskip(NEXT) | instid1(VALU_DEP_2)
	v_cmp_le_u32_e64 s1, s2, v43
	v_sub_nc_u32_e32 v47, v52, v44
	s_delay_alu instid0(VALU_DEP_2) | instskip(NEXT) | instid1(VALU_DEP_2)
	v_cndmask_b32_e64 v49, 0, -1, s1
	v_subrev_co_ci_u32_e64 v47, s0, s3, v47, vcc_lo
	v_sub_co_u32 v48, s0, v43, s2
	v_sub_co_ci_u32_e32 v44, vcc_lo, v52, v44, vcc_lo
	s_delay_alu instid0(VALU_DEP_3) | instskip(NEXT) | instid1(VALU_DEP_3)
	v_subrev_co_ci_u32_e64 v47, s0, 0, v47, s0
	v_cmp_le_u32_e32 vcc_lo, s2, v48
	s_delay_alu instid0(VALU_DEP_3) | instskip(SKIP_1) | instid1(VALU_DEP_4)
	v_cmp_le_u32_e64 s2, s3, v44
	v_cmp_eq_u32_e64 s1, s3, v44
	v_cmp_le_u32_e64 s0, s3, v47
	v_cndmask_b32_e64 v43, 0, -1, vcc_lo
	v_cmp_eq_u32_e32 vcc_lo, s3, v47
	v_cndmask_b32_e64 v44, 0, -1, s2
	s_delay_alu instid0(VALU_DEP_4) | instskip(SKIP_1) | instid1(VALU_DEP_1)
	v_cndmask_b32_e64 v47, 0, -1, s0
	v_add_co_u32 v48, s0, v2, 2
	v_add_co_ci_u32_e64 v50, s0, 0, v46, s0
	s_delay_alu instid0(VALU_DEP_3) | instskip(SKIP_1) | instid1(VALU_DEP_2)
	v_cndmask_b32_e32 v43, v47, v43, vcc_lo
	v_add_co_u32 v47, vcc_lo, v2, 1
	v_cmp_ne_u32_e64 s0, 0, v43
	v_cndmask_b32_e64 v43, v44, v49, s1
	v_add_co_ci_u32_e32 v44, vcc_lo, 0, v46, vcc_lo
	s_delay_alu instid0(VALU_DEP_3) | instskip(NEXT) | instid1(VALU_DEP_3)
	v_cndmask_b32_e64 v47, v47, v48, s0
	v_cmp_ne_u32_e32 vcc_lo, 0, v43
	s_delay_alu instid0(VALU_DEP_3) | instskip(SKIP_1) | instid1(VALU_DEP_4)
	v_cndmask_b32_e64 v43, v44, v50, s0
	v_xor_b32_e32 v44, s100, v45
	v_cndmask_b32_e32 v2, v2, v47, vcc_lo
	s_delay_alu instid0(VALU_DEP_3) | instskip(NEXT) | instid1(VALU_DEP_2)
	v_cndmask_b32_e32 v43, v46, v43, vcc_lo
	v_xor_b32_e32 v2, v2, v44
	s_delay_alu instid0(VALU_DEP_2) | instskip(NEXT) | instid1(VALU_DEP_2)
	v_xor_b32_e32 v45, v43, v44
	v_sub_co_u32 v43, vcc_lo, v2, v44
	s_delay_alu instid0(VALU_DEP_2)
	v_sub_co_ci_u32_e32 v44, vcc_lo, v45, v44, vcc_lo
.LBB3_65:                               ;   in Loop: Header=BB3_3 Depth=1
	s_and_not1_saveexec_b32 s0, s96
	s_cbranch_execz .LBB3_67
; %bb.66:                               ;   in Loop: Header=BB3_3 Depth=1
	v_cvt_f32_u32_e32 v2, s60
	s_sub_i32 s1, 0, s60
	s_delay_alu instid0(VALU_DEP_1) | instskip(SKIP_2) | instid1(VALU_DEP_1)
	v_rcp_iflag_f32_e32 v2, v2
	s_waitcnt_depctr 0xfff
	v_mul_f32_e32 v2, 0x4f7ffffe, v2
	v_cvt_u32_f32_e32 v2, v2
	s_delay_alu instid0(VALU_DEP_1) | instskip(NEXT) | instid1(VALU_DEP_1)
	v_mul_lo_u32 v43, s1, v2
	v_mul_hi_u32 v43, v2, v43
	s_delay_alu instid0(VALU_DEP_1) | instskip(NEXT) | instid1(VALU_DEP_1)
	v_add_nc_u32_e32 v2, v2, v43
	v_mul_hi_u32 v2, v3, v2
	s_delay_alu instid0(VALU_DEP_1) | instskip(SKIP_1) | instid1(VALU_DEP_2)
	v_mul_lo_u32 v43, v2, s60
	v_add_nc_u32_e32 v44, 1, v2
	v_sub_nc_u32_e32 v43, v3, v43
	s_delay_alu instid0(VALU_DEP_1) | instskip(SKIP_1) | instid1(VALU_DEP_1)
	v_cmp_le_u32_e32 vcc_lo, s60, v43
	v_subrev_nc_u32_e32 v45, s60, v43
	v_dual_cndmask_b32 v2, v2, v44 :: v_dual_cndmask_b32 v43, v43, v45
	s_delay_alu instid0(VALU_DEP_1) | instskip(NEXT) | instid1(VALU_DEP_2)
	v_add_nc_u32_e32 v44, 1, v2
	v_cmp_le_u32_e32 vcc_lo, s60, v43
	s_delay_alu instid0(VALU_DEP_2)
	v_dual_cndmask_b32 v43, v2, v44 :: v_dual_mov_b32 v44, v1
.LBB3_67:                               ;   in Loop: Header=BB3_3 Depth=1
	s_or_b32 exec_lo, exec_lo, s0
	v_mov_b32_e32 v49, 0
	v_mov_b32_e32 v50, 0
	s_delay_alu instid0(VALU_DEP_2) | instskip(SKIP_2) | instid1(VALU_DEP_3)
	v_mov_b32_e32 v45, v49
	v_mov_b32_e32 v47, v49
	s_and_not1_b32 vcc_lo, exec_lo, s33
	v_mov_b32_e32 v48, v50
	v_dual_mov_b32 v54, v50 :: v_dual_mov_b32 v53, v49
	v_mov_b32_e32 v46, v50
	v_dual_mov_b32 v60, v50 :: v_dual_mov_b32 v59, v49
	v_dual_mov_b32 v56, v50 :: v_dual_mov_b32 v55, v49
	;; [unrolled: 1-line block ×4, first 2 shown]
	s_cbranch_vccnz .LBB3_2
; %bb.68:                               ;   in Loop: Header=BB3_3 Depth=1
	v_readlane_b32 s0, v67, 7
	v_mad_u64_u32 v[45:46], null, s102, v15, v[3:4]
	v_mul_lo_u32 v2, s102, v16
	v_sub_co_u32 v50, vcc_lo, 1, v15
	s_delay_alu instid0(VALU_DEP_4) | instskip(SKIP_2) | instid1(VALU_DEP_4)
	v_mul_lo_u32 v47, s0, v15
	v_sub_co_ci_u32_e32 v51, vcc_lo, 0, v16, vcc_lo
	v_mul_lo_u32 v48, v45, s45
	v_mul_lo_u32 v52, s5, v50
	v_sub_co_u32 v53, vcc_lo, 2, v15
	v_add3_u32 v2, v47, v46, v2
	v_mad_u64_u32 v[46:47], null, v45, s44, 0
	s_delay_alu instid0(VALU_DEP_3) | instskip(NEXT) | instid1(VALU_DEP_3)
	v_mul_lo_u32 v55, s5, v53
	v_mul_lo_u32 v49, v2, s44
	v_mul_lo_u32 v2, v2, s48
	s_delay_alu instid0(VALU_DEP_2) | instskip(SKIP_2) | instid1(VALU_DEP_3)
	v_add3_u32 v47, v47, v48, v49
	v_mad_u64_u32 v[48:49], null, s4, v50, v[3:4]
	v_mul_lo_u32 v50, s4, v51
	v_lshlrev_b64 v[46:47], 3, v[46:47]
	s_delay_alu instid0(VALU_DEP_3) | instskip(NEXT) | instid1(VALU_DEP_3)
	v_mul_lo_u32 v51, v48, s45
	v_add3_u32 v60, v52, v49, v50
	v_mad_u64_u32 v[49:50], null, v48, s44, 0
	s_delay_alu instid0(VALU_DEP_2) | instskip(NEXT) | instid1(VALU_DEP_1)
	v_mul_lo_u32 v52, v60, s44
	v_add3_u32 v50, v50, v51, v52
	v_sub_co_ci_u32_e32 v51, vcc_lo, 0, v16, vcc_lo
	v_add_co_u32 v46, vcc_lo, s34, v46
	s_delay_alu instid0(VALU_DEP_3) | instskip(NEXT) | instid1(VALU_DEP_3)
	v_lshlrev_b64 v[49:50], 3, v[49:50]
	v_mul_lo_u32 v54, s4, v51
	v_mad_u64_u32 v[51:52], null, s4, v53, v[3:4]
	v_add_co_ci_u32_e32 v47, vcc_lo, s35, v47, vcc_lo
	s_delay_alu instid0(VALU_DEP_4) | instskip(SKIP_1) | instid1(VALU_DEP_4)
	v_add_co_u32 v49, vcc_lo, s34, v49
	v_add_co_ci_u32_e32 v50, vcc_lo, s35, v50, vcc_lo
	v_add3_u32 v61, v55, v52, v54
	v_mul_lo_u32 v55, v51, s45
	v_mad_u64_u32 v[52:53], null, v51, s44, 0
	s_delay_alu instid0(VALU_DEP_3) | instskip(NEXT) | instid1(VALU_DEP_1)
	v_mul_lo_u32 v54, v61, s44
	v_add3_u32 v53, v53, v55, v54
	v_sub_co_u32 v54, vcc_lo, 3, v15
	v_sub_co_ci_u32_e32 v15, vcc_lo, 0, v16, vcc_lo
	s_delay_alu instid0(VALU_DEP_3) | instskip(NEXT) | instid1(VALU_DEP_3)
	v_lshlrev_b64 v[52:53], 3, v[52:53]
	v_mul_lo_u32 v56, s5, v54
	s_delay_alu instid0(VALU_DEP_3) | instskip(SKIP_1) | instid1(VALU_DEP_1)
	v_mul_lo_u32 v55, s4, v15
	v_mad_u64_u32 v[15:16], null, s4, v54, v[3:4]
	v_add3_u32 v16, v56, v16, v55
	s_delay_alu instid0(VALU_DEP_2) | instskip(SKIP_1) | instid1(VALU_DEP_3)
	v_mul_lo_u32 v57, v15, s45
	v_mad_u64_u32 v[54:55], null, v15, s44, 0
	v_mul_lo_u32 v56, v16, s44
	s_delay_alu instid0(VALU_DEP_1) | instskip(SKIP_2) | instid1(VALU_DEP_3)
	v_add3_u32 v55, v55, v57, v56
	v_add_co_u32 v56, vcc_lo, s34, v52
	v_add_co_ci_u32_e32 v57, vcc_lo, s35, v53, vcc_lo
	v_lshlrev_b64 v[52:53], 3, v[54:55]
	v_mul_lo_u32 v54, v45, s49
	s_delay_alu instid0(VALU_DEP_2) | instskip(NEXT) | instid1(VALU_DEP_3)
	v_add_co_u32 v58, vcc_lo, s34, v52
	v_add_co_ci_u32_e32 v59, vcc_lo, s35, v53, vcc_lo
	v_mad_u64_u32 v[52:53], null, v45, s48, 0
	v_mul_lo_u32 v45, v48, s49
	s_delay_alu instid0(VALU_DEP_2) | instskip(SKIP_2) | instid1(VALU_DEP_1)
	v_add3_u32 v53, v53, v54, v2
	v_mul_lo_u32 v2, v60, s48
	v_mad_u64_u32 v[54:55], null, v48, s48, 0
	v_add3_u32 v55, v55, v45, v2
	v_mul_lo_u32 v2, v61, s48
	v_mul_lo_u32 v45, v51, s49
	v_mad_u64_u32 v[60:61], null, v51, s48, 0
	v_lshlrev_b64 v[51:52], 3, v[52:53]
	s_delay_alu instid0(VALU_DEP_1) | instskip(NEXT) | instid1(VALU_DEP_3)
	v_add_co_u32 v63, vcc_lo, s46, v51
	v_add3_u32 v61, v61, v45, v2
	s_delay_alu instid0(VALU_DEP_3) | instskip(SKIP_3) | instid1(VALU_DEP_1)
	v_add_co_ci_u32_e32 v64, vcc_lo, s47, v52, vcc_lo
	v_mul_lo_u32 v2, v16, s48
	v_mul_lo_u32 v16, v15, s49
	v_mad_u64_u32 v[51:52], null, v15, s48, 0
	v_add3_u32 v52, v52, v16, v2
	v_lshlrev_b64 v[15:16], 3, v[54:55]
	v_lshlrev_b64 v[53:54], 3, v[60:61]
	s_delay_alu instid0(VALU_DEP_3) | instskip(NEXT) | instid1(VALU_DEP_3)
	v_lshlrev_b64 v[51:52], 3, v[51:52]
	v_add_co_u32 v15, vcc_lo, s46, v15
	s_delay_alu instid0(VALU_DEP_4) | instskip(NEXT) | instid1(VALU_DEP_4)
	v_add_co_ci_u32_e32 v16, vcc_lo, s47, v16, vcc_lo
	v_add_co_u32 v53, vcc_lo, s46, v53
	v_add_co_ci_u32_e32 v54, vcc_lo, s47, v54, vcc_lo
	v_add_co_u32 v65, vcc_lo, s46, v51
	v_add_co_ci_u32_e32 v66, vcc_lo, s47, v52, vcc_lo
	s_clause 0x3
	global_load_b64 v[61:62], v[46:47], off
	global_load_b64 v[51:52], v[49:50], off
	global_load_b64 v[55:56], v[56:57], off
	global_load_b64 v[47:48], v[58:59], off
	s_clause 0x3
	global_load_b64 v[59:60], v[63:64], off
	global_load_b64 v[49:50], v[15:16], off
	;; [unrolled: 1-line block ×4, first 2 shown]
	s_branch .LBB3_2
.LBB3_69:
	s_nop 0
	s_sendmsg sendmsg(MSG_DEALLOC_VGPRS)
	s_endpgm
	.section	.rodata,"a",@progbits
	.p2align	6, 0x0
	.amdhsa_kernel _ZN2at6native12_GLOBAL__N_16kernel17lstm_cell_forwardIddlLi2EEEvNS_4cuda6detail10TensorInfoIT_T1_EES9_S9_S9_S9_S9_S9_S9_S8_S8_
		.amdhsa_group_segment_fixed_size 0
		.amdhsa_private_segment_fixed_size 0
		.amdhsa_kernarg_size 3600
		.amdhsa_user_sgpr_count 15
		.amdhsa_user_sgpr_dispatch_ptr 0
		.amdhsa_user_sgpr_queue_ptr 0
		.amdhsa_user_sgpr_kernarg_segment_ptr 1
		.amdhsa_user_sgpr_dispatch_id 0
		.amdhsa_user_sgpr_private_segment_size 0
		.amdhsa_wavefront_size32 1
		.amdhsa_uses_dynamic_stack 0
		.amdhsa_enable_private_segment 0
		.amdhsa_system_sgpr_workgroup_id_x 1
		.amdhsa_system_sgpr_workgroup_id_y 0
		.amdhsa_system_sgpr_workgroup_id_z 0
		.amdhsa_system_sgpr_workgroup_info 0
		.amdhsa_system_vgpr_workitem_id 0
		.amdhsa_next_free_vgpr 68
		.amdhsa_next_free_sgpr 105
		.amdhsa_reserve_vcc 1
		.amdhsa_float_round_mode_32 0
		.amdhsa_float_round_mode_16_64 0
		.amdhsa_float_denorm_mode_32 3
		.amdhsa_float_denorm_mode_16_64 3
		.amdhsa_dx10_clamp 1
		.amdhsa_ieee_mode 1
		.amdhsa_fp16_overflow 0
		.amdhsa_workgroup_processor_mode 1
		.amdhsa_memory_ordered 1
		.amdhsa_forward_progress 0
		.amdhsa_shared_vgpr_count 0
		.amdhsa_exception_fp_ieee_invalid_op 0
		.amdhsa_exception_fp_denorm_src 0
		.amdhsa_exception_fp_ieee_div_zero 0
		.amdhsa_exception_fp_ieee_overflow 0
		.amdhsa_exception_fp_ieee_underflow 0
		.amdhsa_exception_fp_ieee_inexact 0
		.amdhsa_exception_int_div_zero 0
	.end_amdhsa_kernel
	.section	.text._ZN2at6native12_GLOBAL__N_16kernel17lstm_cell_forwardIddlLi2EEEvNS_4cuda6detail10TensorInfoIT_T1_EES9_S9_S9_S9_S9_S9_S9_S8_S8_,"axG",@progbits,_ZN2at6native12_GLOBAL__N_16kernel17lstm_cell_forwardIddlLi2EEEvNS_4cuda6detail10TensorInfoIT_T1_EES9_S9_S9_S9_S9_S9_S9_S8_S8_,comdat
.Lfunc_end3:
	.size	_ZN2at6native12_GLOBAL__N_16kernel17lstm_cell_forwardIddlLi2EEEvNS_4cuda6detail10TensorInfoIT_T1_EES9_S9_S9_S9_S9_S9_S9_S8_S8_, .Lfunc_end3-_ZN2at6native12_GLOBAL__N_16kernel17lstm_cell_forwardIddlLi2EEEvNS_4cuda6detail10TensorInfoIT_T1_EES9_S9_S9_S9_S9_S9_S9_S8_S8_
                                        ; -- End function
	.section	.AMDGPU.csdata,"",@progbits
; Kernel info:
; codeLenInByte = 25088
; NumSgprs: 107
; NumVgprs: 68
; ScratchSize: 0
; MemoryBound: 0
; FloatMode: 240
; IeeeMode: 1
; LDSByteSize: 0 bytes/workgroup (compile time only)
; SGPRBlocks: 13
; VGPRBlocks: 8
; NumSGPRsForWavesPerEU: 107
; NumVGPRsForWavesPerEU: 68
; Occupancy: 16
; WaveLimiterHint : 1
; COMPUTE_PGM_RSRC2:SCRATCH_EN: 0
; COMPUTE_PGM_RSRC2:USER_SGPR: 15
; COMPUTE_PGM_RSRC2:TRAP_HANDLER: 0
; COMPUTE_PGM_RSRC2:TGID_X_EN: 1
; COMPUTE_PGM_RSRC2:TGID_Y_EN: 0
; COMPUTE_PGM_RSRC2:TGID_Z_EN: 0
; COMPUTE_PGM_RSRC2:TIDIG_COMP_CNT: 0
	.section	.text._ZN2at6native12_GLOBAL__N_16kernel17lstm_cell_forwardIffiLi1EEEvNS_4cuda6detail10TensorInfoIT_T1_EES9_S9_S9_S9_S9_S9_S9_S8_S8_,"axG",@progbits,_ZN2at6native12_GLOBAL__N_16kernel17lstm_cell_forwardIffiLi1EEEvNS_4cuda6detail10TensorInfoIT_T1_EES9_S9_S9_S9_S9_S9_S9_S8_S8_,comdat
	.globl	_ZN2at6native12_GLOBAL__N_16kernel17lstm_cell_forwardIffiLi1EEEvNS_4cuda6detail10TensorInfoIT_T1_EES9_S9_S9_S9_S9_S9_S9_S8_S8_ ; -- Begin function _ZN2at6native12_GLOBAL__N_16kernel17lstm_cell_forwardIffiLi1EEEvNS_4cuda6detail10TensorInfoIT_T1_EES9_S9_S9_S9_S9_S9_S9_S8_S8_
	.p2align	8
	.type	_ZN2at6native12_GLOBAL__N_16kernel17lstm_cell_forwardIffiLi1EEEvNS_4cuda6detail10TensorInfoIT_T1_EES9_S9_S9_S9_S9_S9_S9_S8_S8_,@function
_ZN2at6native12_GLOBAL__N_16kernel17lstm_cell_forwardIffiLi1EEEvNS_4cuda6detail10TensorInfoIT_T1_EES9_S9_S9_S9_S9_S9_S9_S8_S8_: ; @_ZN2at6native12_GLOBAL__N_16kernel17lstm_cell_forwardIffiLi1EEEvNS_4cuda6detail10TensorInfoIT_T1_EES9_S9_S9_S9_S9_S9_S9_S8_S8_
; %bb.0:
	s_clause 0x1
	s_load_b32 s4, s[0:1], 0x6d4
	s_load_b64 s[2:3], s[0:1], 0x6c0
	s_add_u32 s8, s0, 0x6c8
	s_addc_u32 s9, s1, 0
	s_waitcnt lgkmcnt(0)
	s_and_b32 s28, s4, 0xffff
	s_mov_b32 s4, exec_lo
	v_mad_u64_u32 v[1:2], null, s15, s28, v[0:1]
	s_delay_alu instid0(VALU_DEP_1)
	v_cmpx_gt_i32_e64 s3, v1
	s_cbranch_execz .LBB4_13
; %bb.1:
	s_clause 0x3
	s_load_b64 s[4:5], s[0:1], 0x1b0
	s_load_b32 s20, s[0:1], 0x21c
	s_load_b64 s[6:7], s[0:1], 0x288
	s_load_b32 s21, s[0:1], 0x2f4
	s_load_b32 s29, s[8:9], 0x0
	s_clause 0x9
	s_load_b64 s[8:9], s[0:1], 0x360
	s_load_b32 s31, s[0:1], 0x3cc
	s_load_b64 s[10:11], s[0:1], 0x438
	s_load_b32 s33, s[0:1], 0x4a4
	s_load_b32 s34, s[0:1], 0x57c
	s_load_b64 s[12:13], s[0:1], 0x510
	s_load_b64 s[14:15], s[0:1], 0x0
	s_load_b32 s24, s[0:1], 0x6c
	s_load_b64 s[16:17], s[0:1], 0xd8
	s_load_b32 s25, s[0:1], 0x144
	s_mov_b32 s26, 0
	s_mul_i32 s27, s2, 3
	s_mov_b32 s35, 0xbbbac73d
	s_waitcnt lgkmcnt(0)
	s_cmp_lg_u64 s[4:5], 0
	s_cselect_b32 s22, -1, 0
	s_abs_i32 s23, s2
	v_mul_lo_u32 v4, v1, s33
	v_cvt_f32_u32_e32 v0, s23
	s_sub_i32 s18, 0, s23
	v_mul_lo_u32 v6, v1, s34
	s_mul_i32 s28, s29, s28
	s_ashr_i32 s29, s2, 31
	v_rcp_iflag_f32_e32 v0, v0
	s_sub_i32 s30, 0, s2
	s_mul_i32 s33, s28, s33
	s_mul_i32 s34, s28, s34
	s_waitcnt_depctr 0xfff
	v_mul_f32_e32 v0, 0x4f7ffffe, v0
	s_delay_alu instid0(VALU_DEP_1) | instskip(NEXT) | instid1(VALU_DEP_1)
	v_cvt_u32_f32_e32 v0, v0
	v_mul_lo_u32 v2, s18, v0
	s_clause 0x1
	s_load_b64 s[18:19], s[0:1], 0x5e8
	s_load_b32 s1, s[0:1], 0x654
	s_delay_alu instid0(VALU_DEP_1) | instskip(SKIP_2) | instid1(VALU_DEP_2)
	v_mul_hi_u32 v3, v0, v2
	v_mul_lo_u32 v2, v1, s31
	s_mul_i32 s31, s28, s31
	v_add_nc_u32_e32 v0, v0, v3
	s_branch .LBB4_3
.LBB4_2:                                ;   in Loop: Header=BB4_3 Depth=1
	s_or_b32 exec_lo, exec_lo, s0
	v_add_f32_e32 v5, v5, v8
	s_waitcnt_depctr 0xfff
	v_bfi_b32 v26, 0x7fffffff, v10, v17
	s_waitcnt lgkmcnt(0)
	v_mul_lo_u32 v20, v7, s1
	v_ashrrev_i32_e32 v7, 31, v6
	v_add_nc_u32_e32 v1, s28, v1
	v_add_f32_e32 v5, v5, v14
	v_mul_lo_u32 v18, v9, s1
	v_add_nc_u32_e32 v2, s31, v2
	v_lshlrev_b64 v[22:23], 2, v[6:7]
	s_delay_alu instid0(VALU_DEP_4) | instskip(SKIP_2) | instid1(VALU_DEP_3)
	v_dual_add_f32 v5, v15, v5 :: v_dual_add_nc_u32 v6, s34, v6
	v_ashrrev_i32_e32 v21, 31, v20
	v_ashrrev_i32_e32 v19, 31, v18
	v_mul_f32_e32 v8, 0xbfb8aa3b, v5
	s_delay_alu instid0(VALU_DEP_3) | instskip(NEXT) | instid1(VALU_DEP_3)
	v_lshlrev_b64 v[20:21], 2, v[20:21]
	v_lshlrev_b64 v[18:19], 2, v[18:19]
	s_delay_alu instid0(VALU_DEP_3) | instskip(SKIP_1) | instid1(VALU_DEP_2)
	v_fma_f32 v14, 0xbfb8aa3b, v5, -v8
	v_rndne_f32_e32 v15, v8
	v_fmac_f32_e32 v14, 0xb2a5705f, v5
	s_delay_alu instid0(VALU_DEP_2) | instskip(NEXT) | instid1(VALU_DEP_1)
	v_sub_f32_e32 v8, v8, v15
	v_add_f32_e32 v8, v8, v14
	v_cvt_i32_f32_e32 v14, v15
	v_cmp_nlt_f32_e32 vcc_lo, 0x42ce8ed0, v5
	s_delay_alu instid0(VALU_DEP_3) | instskip(SKIP_3) | instid1(VALU_DEP_2)
	v_exp_f32_e32 v8, v8
	s_waitcnt_depctr 0xfff
	v_ldexp_f32 v8, v8, v14
	v_mul_lo_u32 v14, v3, s1
	v_cndmask_b32_e32 v8, 0, v8, vcc_lo
	v_cmp_ngt_f32_e32 vcc_lo, 0xc2b17218, v5
	s_delay_alu instid0(VALU_DEP_3) | instskip(NEXT) | instid1(VALU_DEP_3)
	v_ashrrev_i32_e32 v15, 31, v14
	v_cndmask_b32_e32 v5, 0x7f800000, v8, vcc_lo
	v_mul_lo_u32 v8, v11, s1
	v_cmp_le_i32_e32 vcc_lo, s3, v1
	s_delay_alu instid0(VALU_DEP_4) | instskip(NEXT) | instid1(VALU_DEP_4)
	v_lshlrev_b64 v[14:15], 2, v[14:15]
	v_add_f32_e32 v24, 1.0, v5
	v_ashrrev_i32_e32 v5, 31, v4
	s_or_b32 s26, vcc_lo, s26
	v_ashrrev_i32_e32 v9, 31, v8
	s_delay_alu instid0(VALU_DEP_3) | instskip(NEXT) | instid1(VALU_DEP_3)
	v_div_scale_f32 v25, null, v24, v24, 1.0
	v_lshlrev_b64 v[10:11], 2, v[4:5]
	v_div_scale_f32 v27, s0, 1.0, v24, 1.0
	s_delay_alu instid0(VALU_DEP_3) | instskip(NEXT) | instid1(VALU_DEP_2)
	v_rcp_f32_e32 v3, v25
	v_add_co_u32 v10, vcc_lo, s10, v10
	s_delay_alu instid0(VALU_DEP_3) | instskip(SKIP_4) | instid1(VALU_DEP_1)
	v_add_co_ci_u32_e32 v11, vcc_lo, s11, v11, vcc_lo
	v_add_co_u32 v22, vcc_lo, s12, v22
	v_add_co_ci_u32_e32 v23, vcc_lo, s13, v23, vcc_lo
	s_waitcnt_depctr 0xfff
	v_fma_f32 v5, -v25, v3, 1.0
	v_fmac_f32_e32 v3, v5, v3
	s_delay_alu instid0(VALU_DEP_1) | instskip(NEXT) | instid1(VALU_DEP_1)
	v_mul_f32_e32 v5, v27, v3
	v_fma_f32 v7, -v25, v5, v27
	s_delay_alu instid0(VALU_DEP_1) | instskip(SKIP_1) | instid1(VALU_DEP_2)
	v_fmac_f32_e32 v5, v7, v3
	v_lshlrev_b64 v[7:8], 2, v[8:9]
	v_fma_f32 v9, -v25, v5, v27
	s_delay_alu instid0(VALU_DEP_2) | instskip(NEXT) | instid1(VALU_DEP_3)
	v_add_co_u32 v7, vcc_lo, s18, v7
	v_add_co_ci_u32_e32 v8, vcc_lo, s19, v8, vcc_lo
	s_mov_b32 vcc_lo, s0
	s_delay_alu instid0(VALU_DEP_3) | instskip(SKIP_2) | instid1(VALU_DEP_3)
	v_div_fmas_f32 v3, v9, v3, v5
	v_add_co_u32 v14, vcc_lo, s18, v14
	v_add_co_ci_u32_e32 v15, vcc_lo, s19, v15, vcc_lo
	v_div_fixup_f32 v3, v3, v24, 1.0
	v_add_nc_u32_e32 v4, s33, v4
	v_add_co_u32 v18, vcc_lo, s18, v18
	v_add_co_ci_u32_e32 v19, vcc_lo, s19, v19, vcc_lo
	s_delay_alu instid0(VALU_DEP_4)
	v_mul_f32_e32 v5, v3, v26
	v_add_co_u32 v20, vcc_lo, s18, v20
	v_add_co_ci_u32_e32 v21, vcc_lo, s19, v21, vcc_lo
	global_store_b32 v[10:11], v5, off
	global_store_b32 v[22:23], v17, off
	s_clause 0x3
	global_store_b32 v[7:8], v12, off
	global_store_b32 v[14:15], v16, off
	global_store_b32 v[18:19], v13, off
	global_store_b32 v[20:21], v3, off
	s_and_not1_b32 exec_lo, exec_lo, s26
	s_cbranch_execz .LBB4_13
.LBB4_3:                                ; =>This Inner Loop Header: Depth=1
	v_sub_nc_u32_e32 v3, 0, v1
	s_delay_alu instid0(VALU_DEP_1) | instskip(NEXT) | instid1(VALU_DEP_1)
	v_max_i32_e32 v3, v1, v3
	v_mul_hi_u32 v5, v3, v0
	s_delay_alu instid0(VALU_DEP_1) | instskip(NEXT) | instid1(VALU_DEP_1)
	v_mul_lo_u32 v7, v5, s23
	v_sub_nc_u32_e32 v3, v3, v7
	v_add_nc_u32_e32 v7, 1, v5
	s_delay_alu instid0(VALU_DEP_2) | instskip(SKIP_1) | instid1(VALU_DEP_3)
	v_subrev_nc_u32_e32 v8, s23, v3
	v_cmp_le_u32_e32 vcc_lo, s23, v3
	v_cndmask_b32_e32 v5, v5, v7, vcc_lo
	s_delay_alu instid0(VALU_DEP_3) | instskip(SKIP_1) | instid1(VALU_DEP_3)
	v_cndmask_b32_e32 v3, v3, v8, vcc_lo
	v_ashrrev_i32_e32 v7, 31, v1
	v_add_nc_u32_e32 v8, 1, v5
	s_delay_alu instid0(VALU_DEP_3) | instskip(NEXT) | instid1(VALU_DEP_3)
	v_cmp_le_u32_e32 vcc_lo, s23, v3
	v_xor_b32_e32 v18, s29, v7
	s_delay_alu instid0(VALU_DEP_3) | instskip(NEXT) | instid1(VALU_DEP_2)
	v_cndmask_b32_e32 v3, v5, v8, vcc_lo
	v_mul_i32_i24_e32 v5, 3, v18
	s_delay_alu instid0(VALU_DEP_2) | instskip(SKIP_1) | instid1(VALU_DEP_2)
	v_xor_b32_e32 v19, v3, v18
	v_ashrrev_i32_e32 v3, 31, v2
	v_lshl_add_u32 v7, v19, 1, v19
	v_sub_nc_u32_e32 v20, v19, v18
	s_delay_alu instid0(VALU_DEP_2) | instskip(NEXT) | instid1(VALU_DEP_2)
	v_sub_nc_u32_e32 v5, v7, v5
	v_mad_u64_u32 v[11:12], null, s27, v20, v[1:2]
	v_lshlrev_b64 v[12:13], 2, v[2:3]
	s_delay_alu instid0(VALU_DEP_3) | instskip(SKIP_4) | instid1(VALU_DEP_4)
	v_mul_lo_u32 v3, s2, v5
	v_add_nc_u32_e32 v7, 2, v5
	v_add_nc_u32_e32 v5, 3, v5
	v_mul_lo_u32 v14, v11, s24
	v_mul_lo_u32 v16, v11, s25
	v_mad_u64_u32 v[9:10], null, s2, v7, v[1:2]
	v_add3_u32 v3, v3, s2, v1
	v_mad_u64_u32 v[7:8], null, s2, v5, v[1:2]
	v_add_co_u32 v23, vcc_lo, s8, v12
	v_ashrrev_i32_e32 v15, 31, v14
	s_delay_alu instid0(VALU_DEP_4)
	v_mul_lo_u32 v12, v3, s24
	v_ashrrev_i32_e32 v17, 31, v16
	v_mul_lo_u32 v21, v9, s24
	v_mul_lo_u32 v25, v7, s24
	v_lshlrev_b64 v[14:15], 2, v[14:15]
	v_add_co_ci_u32_e32 v24, vcc_lo, s9, v13, vcc_lo
	v_lshlrev_b64 v[16:17], 2, v[16:17]
	v_ashrrev_i32_e32 v13, 31, v12
	v_mul_lo_u32 v27, v3, s25
	v_mul_lo_u32 v29, v9, s25
	v_mul_lo_u32 v31, v7, s25
	v_ashrrev_i32_e32 v22, 31, v21
	v_add_co_u32 v14, vcc_lo, s14, v14
	v_add_co_ci_u32_e32 v15, vcc_lo, s15, v15, vcc_lo
	v_lshlrev_b64 v[12:13], 2, v[12:13]
	v_ashrrev_i32_e32 v26, 31, v25
	v_add_co_u32 v33, vcc_lo, s16, v16
	v_add_co_ci_u32_e32 v34, vcc_lo, s17, v17, vcc_lo
	v_lshlrev_b64 v[16:17], 2, v[21:22]
	v_ashrrev_i32_e32 v28, 31, v27
	v_ashrrev_i32_e32 v30, 31, v29
	;; [unrolled: 1-line block ×3, first 2 shown]
	v_lshlrev_b64 v[21:22], 2, v[25:26]
	v_add_co_u32 v12, vcc_lo, s14, v12
	v_add_co_ci_u32_e32 v13, vcc_lo, s15, v13, vcc_lo
	v_lshlrev_b64 v[25:26], 2, v[27:28]
	v_lshlrev_b64 v[27:28], 2, v[29:30]
	;; [unrolled: 1-line block ×3, first 2 shown]
	v_add_co_u32 v31, vcc_lo, s14, v16
	v_add_co_ci_u32_e32 v32, vcc_lo, s15, v17, vcc_lo
	v_add_co_u32 v35, vcc_lo, s14, v21
	v_add_co_ci_u32_e32 v36, vcc_lo, s15, v22, vcc_lo
	;; [unrolled: 2-line block ×5, first 2 shown]
	s_clause 0x3
	global_load_b32 v16, v[14:15], off
	global_load_b32 v12, v[12:13], off
	;; [unrolled: 1-line block ×4, first 2 shown]
	s_clause 0x3
	global_load_b32 v17, v[33:34], off
	global_load_b32 v13, v[25:26], off
	;; [unrolled: 1-line block ×5, first 2 shown]
	v_dual_mov_b32 v26, 0 :: v_dual_mov_b32 v23, 0
	v_mov_b32_e32 v27, 0
	v_dual_mov_b32 v15, 0 :: v_dual_mov_b32 v24, 0
	v_mov_b32_e32 v14, 0
	v_dual_mov_b32 v28, 0 :: v_dual_mov_b32 v25, 0
	s_and_not1_b32 vcc_lo, exec_lo, s22
	s_cbranch_vccnz .LBB4_5
; %bb.4:                                ;   in Loop: Header=BB4_3 Depth=1
	v_sub_nc_u32_e32 v18, v18, v19
	v_mad_u64_u32 v[14:15], null, s30, v20, v[1:2]
	s_delay_alu instid0(VALU_DEP_2) | instskip(SKIP_2) | instid1(VALU_DEP_4)
	v_mul_lo_u32 v15, s2, v18
	v_add_nc_u32_e32 v19, 2, v18
	v_add_nc_u32_e32 v20, 3, v18
	v_mul_lo_u32 v18, v14, s20
	v_mul_lo_u32 v14, v14, s21
	s_delay_alu instid0(VALU_DEP_4) | instskip(SKIP_3) | instid1(VALU_DEP_3)
	v_mad_u64_u32 v[23:24], null, s2, v19, v[1:2]
	v_add3_u32 v28, v15, s2, v1
	v_mad_u64_u32 v[24:25], null, s2, v20, v[1:2]
	v_ashrrev_i32_e32 v19, 31, v18
	v_mul_lo_u32 v25, v28, s20
	v_mul_lo_u32 v27, v23, s20
	;; [unrolled: 1-line block ×3, first 2 shown]
	v_ashrrev_i32_e32 v15, 31, v14
	v_mul_lo_u32 v29, v24, s20
	v_lshlrev_b64 v[18:19], 2, v[18:19]
	v_mul_lo_u32 v23, v23, s21
	s_delay_alu instid0(VALU_DEP_4) | instskip(SKIP_4) | instid1(VALU_DEP_4)
	v_lshlrev_b64 v[14:15], 2, v[14:15]
	v_ashrrev_i32_e32 v26, 31, v25
	v_ashrrev_i32_e32 v28, 31, v27
	v_add_co_u32 v18, vcc_lo, s4, v18
	v_ashrrev_i32_e32 v30, 31, v29
	v_lshlrev_b64 v[25:26], 2, v[25:26]
	s_delay_alu instid0(VALU_DEP_4) | instskip(SKIP_1) | instid1(VALU_DEP_4)
	v_lshlrev_b64 v[27:28], 2, v[27:28]
	v_add_co_ci_u32_e32 v19, vcc_lo, s5, v19, vcc_lo
	v_lshlrev_b64 v[29:30], 2, v[29:30]
	v_ashrrev_i32_e32 v32, 31, v31
	v_add_co_u32 v33, vcc_lo, s4, v25
	v_mul_lo_u32 v25, v24, s21
	v_add_co_ci_u32_e32 v34, vcc_lo, s5, v26, vcc_lo
	v_add_co_u32 v27, vcc_lo, s4, v27
	v_add_co_ci_u32_e32 v28, vcc_lo, s5, v28, vcc_lo
	v_add_co_u32 v29, vcc_lo, s4, v29
	v_ashrrev_i32_e32 v24, 31, v23
	v_add_co_ci_u32_e32 v30, vcc_lo, s5, v30, vcc_lo
	v_lshlrev_b64 v[31:32], 2, v[31:32]
	v_add_co_u32 v35, vcc_lo, s6, v14
	v_ashrrev_i32_e32 v26, 31, v25
	v_add_co_ci_u32_e32 v36, vcc_lo, s7, v15, vcc_lo
	v_lshlrev_b64 v[14:15], 2, v[23:24]
	v_add_co_u32 v31, vcc_lo, s6, v31
	s_delay_alu instid0(VALU_DEP_4) | instskip(SKIP_1) | instid1(VALU_DEP_4)
	v_lshlrev_b64 v[23:24], 2, v[25:26]
	v_add_co_ci_u32_e32 v32, vcc_lo, s7, v32, vcc_lo
	v_add_co_u32 v37, vcc_lo, s6, v14
	v_add_co_ci_u32_e32 v38, vcc_lo, s7, v15, vcc_lo
	s_delay_alu instid0(VALU_DEP_4)
	v_add_co_u32 v39, vcc_lo, s6, v23
	v_add_co_ci_u32_e32 v40, vcc_lo, s7, v24, vcc_lo
	s_clause 0x3
	global_load_b32 v26, v[18:19], off
	global_load_b32 v25, v[33:34], off
	;; [unrolled: 1-line block ×4, first 2 shown]
	s_clause 0x3
	global_load_b32 v24, v[35:36], off
	global_load_b32 v23, v[31:32], off
	;; [unrolled: 1-line block ×4, first 2 shown]
.LBB4_5:                                ;   in Loop: Header=BB4_3 Depth=1
	s_waitcnt vmcnt(2)
	v_add_f32_e32 v18, v21, v22
                                        ; implicit-def: $vgpr19
	s_delay_alu instid0(VALU_DEP_1) | instskip(SKIP_1) | instid1(VALU_DEP_1)
	v_add_f32_e32 v18, v18, v28
	s_waitcnt vmcnt(1)
	v_add_f32_e32 v18, v27, v18
	s_delay_alu instid0(VALU_DEP_1) | instskip(NEXT) | instid1(VALU_DEP_1)
	v_cmp_ngt_f32_e64 s0, 0x3f200000, |v18|
	s_and_saveexec_b32 s36, s0
	s_delay_alu instid0(SALU_CYCLE_1)
	s_xor_b32 s0, exec_lo, s36
	s_cbranch_execz .LBB4_7
; %bb.6:                                ;   in Loop: Header=BB4_3 Depth=1
	v_add_f32_e64 v19, |v18|, |v18|
	s_delay_alu instid0(VALU_DEP_1) | instskip(SKIP_1) | instid1(VALU_DEP_2)
	v_mul_f32_e32 v20, 0x3fb8aa3b, v19
	v_cmp_ngt_f32_e32 vcc_lo, 0xc2ce8ed0, v19
	v_rndne_f32_e32 v21, v20
	v_fma_f32 v22, 0x3fb8aa3b, v19, -v20
	s_delay_alu instid0(VALU_DEP_2) | instskip(NEXT) | instid1(VALU_DEP_2)
	v_sub_f32_e32 v20, v20, v21
	v_fmac_f32_e32 v22, 0x32a5705f, v19
	v_cvt_i32_f32_e32 v21, v21
	s_delay_alu instid0(VALU_DEP_2) | instskip(NEXT) | instid1(VALU_DEP_1)
	v_add_f32_e32 v20, v20, v22
	v_exp_f32_e32 v20, v20
	s_waitcnt_depctr 0xfff
	v_ldexp_f32 v20, v20, v21
	s_delay_alu instid0(VALU_DEP_1) | instskip(SKIP_1) | instid1(VALU_DEP_2)
	v_cndmask_b32_e32 v20, 0, v20, vcc_lo
	v_cmp_nlt_f32_e32 vcc_lo, 0x42b17218, v19
	v_cndmask_b32_e32 v19, 0x7f800000, v20, vcc_lo
	s_delay_alu instid0(VALU_DEP_1) | instskip(NEXT) | instid1(VALU_DEP_1)
	v_add_f32_e32 v19, 1.0, v19
	v_rcp_f32_e32 v19, v19
	s_waitcnt_depctr 0xfff
	v_fma_f32 v19, v19, -2.0, 1.0
.LBB4_7:                                ;   in Loop: Header=BB4_3 Depth=1
	s_and_not1_saveexec_b32 s0, s0
; %bb.8:                                ;   in Loop: Header=BB4_3 Depth=1
	v_mul_f32_e32 v19, v18, v18
	s_delay_alu instid0(VALU_DEP_1) | instskip(NEXT) | instid1(VALU_DEP_1)
	v_fmaak_f32 v20, s35, v19, 0x3ca908c9
	v_fmaak_f32 v20, v19, v20, 0xbd5c1c4e
	s_delay_alu instid0(VALU_DEP_1) | instskip(NEXT) | instid1(VALU_DEP_1)
	v_fmaak_f32 v20, v19, v20, 0x3e088382
	v_fmaak_f32 v20, v19, v20, 0xbeaaaa99
	s_delay_alu instid0(VALU_DEP_1) | instskip(NEXT) | instid1(VALU_DEP_1)
	v_mul_f32_e64 v20, |v18|, v20
	v_fma_f32 v19, v19, v20, |v18|
; %bb.9:                                ;   in Loop: Header=BB4_3 Depth=1
	s_or_b32 exec_lo, exec_lo, s0
	v_add_f32_e32 v12, v12, v13
	s_delay_alu instid0(VALU_DEP_1) | instskip(NEXT) | instid1(VALU_DEP_1)
	v_add_f32_e32 v12, v12, v25
	v_add_f32_e32 v12, v23, v12
	s_delay_alu instid0(VALU_DEP_1) | instskip(NEXT) | instid1(VALU_DEP_1)
	v_dual_add_f32 v16, v16, v17 :: v_dual_mul_f32 v17, 0xbfb8aa3b, v12
	v_fma_f32 v22, 0xbfb8aa3b, v12, -v17
	s_delay_alu instid0(VALU_DEP_2) | instskip(SKIP_1) | instid1(VALU_DEP_2)
	v_add_f32_e32 v13, v16, v26
	v_rndne_f32_e32 v23, v17
	v_dual_fmac_f32 v22, 0xb2a5705f, v12 :: v_dual_add_f32 v13, v24, v13
	s_delay_alu instid0(VALU_DEP_1) | instskip(NEXT) | instid1(VALU_DEP_1)
	v_dual_sub_f32 v17, v17, v23 :: v_dual_mul_f32 v16, 0xbfb8aa3b, v13
	v_add_f32_e32 v17, v17, v22
	v_cmp_nlt_f32_e32 vcc_lo, 0x42ce8ed0, v13
	s_delay_alu instid0(VALU_DEP_3) | instskip(SKIP_1) | instid1(VALU_DEP_4)
	v_fma_f32 v20, 0xbfb8aa3b, v13, -v16
	v_rndne_f32_e32 v21, v16
	v_exp_f32_e32 v17, v17
	s_delay_alu instid0(VALU_DEP_2) | instskip(NEXT) | instid1(VALU_DEP_2)
	v_fmac_f32_e32 v20, 0xb2a5705f, v13
	v_sub_f32_e32 v16, v16, v21
	s_delay_alu instid0(VALU_DEP_1) | instskip(SKIP_2) | instid1(VALU_DEP_3)
	v_add_f32_e32 v16, v16, v20
	v_cvt_i32_f32_e32 v20, v21
	v_cvt_i32_f32_e32 v21, v23
	v_exp_f32_e32 v16, v16
	s_delay_alu instid0(TRANS32_DEP_2) | instid1(VALU_DEP_1)
	v_ldexp_f32 v17, v17, v21
	s_waitcnt_depctr 0xfff
	v_ldexp_f32 v16, v16, v20
	s_delay_alu instid0(VALU_DEP_1) | instskip(SKIP_3) | instid1(VALU_DEP_4)
	v_cndmask_b32_e32 v16, 0, v16, vcc_lo
	v_cmp_nlt_f32_e32 vcc_lo, 0x42ce8ed0, v12
	v_cndmask_b32_e32 v17, 0, v17, vcc_lo
	v_cmp_ngt_f32_e32 vcc_lo, 0xc2b17218, v13
	v_cndmask_b32_e32 v13, 0x7f800000, v16, vcc_lo
	v_cmp_ngt_f32_e32 vcc_lo, 0xc2b17218, v12
	s_delay_alu instid0(VALU_DEP_2) | instskip(SKIP_1) | instid1(VALU_DEP_2)
	v_add_f32_e32 v13, 1.0, v13
	v_cndmask_b32_e32 v12, 0x7f800000, v17, vcc_lo
	v_div_scale_f32 v24, vcc_lo, 1.0, v13, 1.0
	s_delay_alu instid0(VALU_DEP_2) | instskip(SKIP_1) | instid1(VALU_DEP_2)
	v_add_f32_e32 v16, 1.0, v12
	v_div_scale_f32 v12, null, v13, v13, 1.0
	v_div_scale_f32 v17, null, v16, v16, 1.0
	s_delay_alu instid0(VALU_DEP_2) | instskip(NEXT) | instid1(VALU_DEP_1)
	v_rcp_f32_e32 v20, v12
	v_rcp_f32_e32 v21, v17
	s_waitcnt_depctr 0xfff
	v_fma_f32 v22, -v12, v20, 1.0
	v_fma_f32 v23, -v17, v21, 1.0
	s_delay_alu instid0(VALU_DEP_1) | instskip(SKIP_1) | instid1(VALU_DEP_1)
	v_dual_fmac_f32 v21, v23, v21 :: v_dual_fmac_f32 v20, v22, v20
	v_div_scale_f32 v22, s0, 1.0, v16, 1.0
	v_mul_f32_e32 v25, v22, v21
	s_delay_alu instid0(VALU_DEP_1) | instskip(NEXT) | instid1(VALU_DEP_1)
	v_fma_f32 v27, -v17, v25, v22
	v_fmac_f32_e32 v25, v27, v21
	v_mul_f32_e32 v23, v24, v20
	s_delay_alu instid0(VALU_DEP_2) | instskip(NEXT) | instid1(VALU_DEP_2)
	v_fma_f32 v17, -v17, v25, v22
	v_fma_f32 v26, -v12, v23, v24
	s_delay_alu instid0(VALU_DEP_1) | instskip(NEXT) | instid1(VALU_DEP_1)
	v_fmac_f32_e32 v23, v26, v20
	v_fma_f32 v12, -v12, v23, v24
	s_delay_alu instid0(VALU_DEP_1) | instskip(SKIP_2) | instid1(VALU_DEP_2)
	v_div_fmas_f32 v12, v12, v20, v23
	s_mov_b32 vcc_lo, s0
	v_div_fmas_f32 v17, v17, v21, v25
	v_div_fixup_f32 v12, v12, v13, 1.0
	v_bfi_b32 v13, 0x7fffffff, v19, v18
	s_delay_alu instid0(VALU_DEP_3) | instskip(NEXT) | instid1(VALU_DEP_2)
	v_div_fixup_f32 v16, v17, v16, 1.0
	v_mul_f32_e32 v17, v12, v13
	s_waitcnt vmcnt(0)
	s_delay_alu instid0(VALU_DEP_1) | instskip(NEXT) | instid1(VALU_DEP_1)
	v_fmac_f32_e32 v17, v10, v16
                                        ; implicit-def: $vgpr10
	v_cmp_ngt_f32_e64 s0, 0x3f200000, |v17|
	s_delay_alu instid0(VALU_DEP_1) | instskip(NEXT) | instid1(SALU_CYCLE_1)
	s_and_saveexec_b32 s36, s0
	s_xor_b32 s0, exec_lo, s36
	s_cbranch_execz .LBB4_11
; %bb.10:                               ;   in Loop: Header=BB4_3 Depth=1
	v_add_f32_e64 v10, |v17|, |v17|
	s_delay_alu instid0(VALU_DEP_1) | instskip(SKIP_1) | instid1(VALU_DEP_2)
	v_mul_f32_e32 v18, 0x3fb8aa3b, v10
	v_cmp_ngt_f32_e32 vcc_lo, 0xc2ce8ed0, v10
	v_rndne_f32_e32 v19, v18
	v_fma_f32 v20, 0x3fb8aa3b, v10, -v18
	s_delay_alu instid0(VALU_DEP_2) | instskip(NEXT) | instid1(VALU_DEP_2)
	v_sub_f32_e32 v18, v18, v19
	v_fmac_f32_e32 v20, 0x32a5705f, v10
	v_cvt_i32_f32_e32 v19, v19
	s_delay_alu instid0(VALU_DEP_2) | instskip(NEXT) | instid1(VALU_DEP_1)
	v_add_f32_e32 v18, v18, v20
	v_exp_f32_e32 v18, v18
	s_waitcnt_depctr 0xfff
	v_ldexp_f32 v18, v18, v19
	s_delay_alu instid0(VALU_DEP_1) | instskip(SKIP_1) | instid1(VALU_DEP_2)
	v_cndmask_b32_e32 v18, 0, v18, vcc_lo
	v_cmp_nlt_f32_e32 vcc_lo, 0x42b17218, v10
	v_cndmask_b32_e32 v10, 0x7f800000, v18, vcc_lo
	s_delay_alu instid0(VALU_DEP_1) | instskip(NEXT) | instid1(VALU_DEP_1)
	v_add_f32_e32 v10, 1.0, v10
	v_rcp_f32_e32 v10, v10
	s_waitcnt_depctr 0xfff
	v_fma_f32 v10, v10, -2.0, 1.0
.LBB4_11:                               ;   in Loop: Header=BB4_3 Depth=1
	s_and_not1_saveexec_b32 s0, s0
	s_cbranch_execz .LBB4_2
; %bb.12:                               ;   in Loop: Header=BB4_3 Depth=1
	v_mul_f32_e32 v10, v17, v17
	s_delay_alu instid0(VALU_DEP_1) | instskip(NEXT) | instid1(VALU_DEP_1)
	v_fmaak_f32 v18, s35, v10, 0x3ca908c9
	v_fmaak_f32 v18, v10, v18, 0xbd5c1c4e
	s_delay_alu instid0(VALU_DEP_1) | instskip(NEXT) | instid1(VALU_DEP_1)
	v_fmaak_f32 v18, v10, v18, 0x3e088382
	v_fmaak_f32 v18, v10, v18, 0xbeaaaa99
	s_delay_alu instid0(VALU_DEP_1) | instskip(NEXT) | instid1(VALU_DEP_1)
	v_mul_f32_e64 v18, |v17|, v18
	v_fma_f32 v10, v10, v18, |v17|
	s_branch .LBB4_2
.LBB4_13:
	s_nop 0
	s_sendmsg sendmsg(MSG_DEALLOC_VGPRS)
	s_endpgm
	.section	.rodata,"a",@progbits
	.p2align	6, 0x0
	.amdhsa_kernel _ZN2at6native12_GLOBAL__N_16kernel17lstm_cell_forwardIffiLi1EEEvNS_4cuda6detail10TensorInfoIT_T1_EES9_S9_S9_S9_S9_S9_S9_S8_S8_
		.amdhsa_group_segment_fixed_size 0
		.amdhsa_private_segment_fixed_size 0
		.amdhsa_kernarg_size 1992
		.amdhsa_user_sgpr_count 15
		.amdhsa_user_sgpr_dispatch_ptr 0
		.amdhsa_user_sgpr_queue_ptr 0
		.amdhsa_user_sgpr_kernarg_segment_ptr 1
		.amdhsa_user_sgpr_dispatch_id 0
		.amdhsa_user_sgpr_private_segment_size 0
		.amdhsa_wavefront_size32 1
		.amdhsa_uses_dynamic_stack 0
		.amdhsa_enable_private_segment 0
		.amdhsa_system_sgpr_workgroup_id_x 1
		.amdhsa_system_sgpr_workgroup_id_y 0
		.amdhsa_system_sgpr_workgroup_id_z 0
		.amdhsa_system_sgpr_workgroup_info 0
		.amdhsa_system_vgpr_workitem_id 0
		.amdhsa_next_free_vgpr 41
		.amdhsa_next_free_sgpr 37
		.amdhsa_reserve_vcc 1
		.amdhsa_float_round_mode_32 0
		.amdhsa_float_round_mode_16_64 0
		.amdhsa_float_denorm_mode_32 3
		.amdhsa_float_denorm_mode_16_64 3
		.amdhsa_dx10_clamp 1
		.amdhsa_ieee_mode 1
		.amdhsa_fp16_overflow 0
		.amdhsa_workgroup_processor_mode 1
		.amdhsa_memory_ordered 1
		.amdhsa_forward_progress 0
		.amdhsa_shared_vgpr_count 0
		.amdhsa_exception_fp_ieee_invalid_op 0
		.amdhsa_exception_fp_denorm_src 0
		.amdhsa_exception_fp_ieee_div_zero 0
		.amdhsa_exception_fp_ieee_overflow 0
		.amdhsa_exception_fp_ieee_underflow 0
		.amdhsa_exception_fp_ieee_inexact 0
		.amdhsa_exception_int_div_zero 0
	.end_amdhsa_kernel
	.section	.text._ZN2at6native12_GLOBAL__N_16kernel17lstm_cell_forwardIffiLi1EEEvNS_4cuda6detail10TensorInfoIT_T1_EES9_S9_S9_S9_S9_S9_S9_S8_S8_,"axG",@progbits,_ZN2at6native12_GLOBAL__N_16kernel17lstm_cell_forwardIffiLi1EEEvNS_4cuda6detail10TensorInfoIT_T1_EES9_S9_S9_S9_S9_S9_S9_S8_S8_,comdat
.Lfunc_end4:
	.size	_ZN2at6native12_GLOBAL__N_16kernel17lstm_cell_forwardIffiLi1EEEvNS_4cuda6detail10TensorInfoIT_T1_EES9_S9_S9_S9_S9_S9_S9_S8_S8_, .Lfunc_end4-_ZN2at6native12_GLOBAL__N_16kernel17lstm_cell_forwardIffiLi1EEEvNS_4cuda6detail10TensorInfoIT_T1_EES9_S9_S9_S9_S9_S9_S9_S8_S8_
                                        ; -- End function
	.section	.AMDGPU.csdata,"",@progbits
; Kernel info:
; codeLenInByte = 2848
; NumSgprs: 39
; NumVgprs: 41
; ScratchSize: 0
; MemoryBound: 0
; FloatMode: 240
; IeeeMode: 1
; LDSByteSize: 0 bytes/workgroup (compile time only)
; SGPRBlocks: 4
; VGPRBlocks: 5
; NumSGPRsForWavesPerEU: 39
; NumVGPRsForWavesPerEU: 41
; Occupancy: 16
; WaveLimiterHint : 1
; COMPUTE_PGM_RSRC2:SCRATCH_EN: 0
; COMPUTE_PGM_RSRC2:USER_SGPR: 15
; COMPUTE_PGM_RSRC2:TRAP_HANDLER: 0
; COMPUTE_PGM_RSRC2:TGID_X_EN: 1
; COMPUTE_PGM_RSRC2:TGID_Y_EN: 0
; COMPUTE_PGM_RSRC2:TGID_Z_EN: 0
; COMPUTE_PGM_RSRC2:TIDIG_COMP_CNT: 0
	.section	.text._ZN2at6native12_GLOBAL__N_16kernel17lstm_cell_forwardIffiLi2EEEvNS_4cuda6detail10TensorInfoIT_T1_EES9_S9_S9_S9_S9_S9_S9_S8_S8_,"axG",@progbits,_ZN2at6native12_GLOBAL__N_16kernel17lstm_cell_forwardIffiLi2EEEvNS_4cuda6detail10TensorInfoIT_T1_EES9_S9_S9_S9_S9_S9_S9_S8_S8_,comdat
	.globl	_ZN2at6native12_GLOBAL__N_16kernel17lstm_cell_forwardIffiLi2EEEvNS_4cuda6detail10TensorInfoIT_T1_EES9_S9_S9_S9_S9_S9_S9_S8_S8_ ; -- Begin function _ZN2at6native12_GLOBAL__N_16kernel17lstm_cell_forwardIffiLi2EEEvNS_4cuda6detail10TensorInfoIT_T1_EES9_S9_S9_S9_S9_S9_S9_S8_S8_
	.p2align	8
	.type	_ZN2at6native12_GLOBAL__N_16kernel17lstm_cell_forwardIffiLi2EEEvNS_4cuda6detail10TensorInfoIT_T1_EES9_S9_S9_S9_S9_S9_S9_S8_S8_,@function
_ZN2at6native12_GLOBAL__N_16kernel17lstm_cell_forwardIffiLi2EEEvNS_4cuda6detail10TensorInfoIT_T1_EES9_S9_S9_S9_S9_S9_S9_S8_S8_: ; @_ZN2at6native12_GLOBAL__N_16kernel17lstm_cell_forwardIffiLi2EEEvNS_4cuda6detail10TensorInfoIT_T1_EES9_S9_S9_S9_S9_S9_S9_S8_S8_
; %bb.0:
	s_clause 0x1
	s_load_b32 s6, s[0:1], 0x6d4
	s_load_b64 s[4:5], s[0:1], 0x6c0
	s_add_u32 s2, s0, 0x6c8
	s_addc_u32 s3, s1, 0
	s_waitcnt lgkmcnt(0)
	s_and_b32 s43, s6, 0xffff
	s_mov_b32 s6, exec_lo
	v_mad_u64_u32 v[1:2], null, s15, s43, v[0:1]
	s_delay_alu instid0(VALU_DEP_1)
	v_cmpx_gt_i32_e64 s5, v1
	s_cbranch_execz .LBB5_13
; %bb.1:
	s_clause 0x9
	s_load_b64 s[6:7], s[0:1], 0x1b0
	s_load_b32 s33, s[0:1], 0xe4
	s_load_b64 s[8:9], s[0:1], 0x144
	s_load_b64 s[10:11], s[0:1], 0x0
	s_load_b32 s36, s[0:1], 0xc
	s_load_b32 s37, s[0:1], 0x21c
	s_load_b64 s[12:13], s[0:1], 0x288
	s_load_b32 s38, s[0:1], 0x2f4
	s_load_b64 s[14:15], s[0:1], 0x360
	s_load_b32 s58, s[0:1], 0x36c
	s_load_b32 s2, s[2:3], 0x0
	s_clause 0xb
	s_load_b64 s[16:17], s[0:1], 0x3cc
	s_load_b64 s[18:19], s[0:1], 0x438
	s_load_b32 s59, s[0:1], 0x444
	s_load_b32 s3, s[0:1], 0x5f4
	s_load_b64 s[20:21], s[0:1], 0x510
	s_load_b32 s60, s[0:1], 0x51c
	s_load_b64 s[22:23], s[0:1], 0x6c
	s_load_b64 s[24:25], s[0:1], 0xd8
	;; [unrolled: 1-line block ×6, first 2 shown]
	s_waitcnt lgkmcnt(0)
	s_cmp_lg_u64 s[6:7], 0
	s_mov_b32 s41, 0
	s_cselect_b32 s39, -1, 0
	s_abs_i32 s40, s4
	s_abs_i32 s45, s33
	v_cvt_f32_u32_e32 v0, s40
	v_cvt_f32_u32_e32 v3, s45
	s_abs_i32 s42, s36
	s_sub_i32 s0, 0, s40
	v_cvt_f32_u32_e32 v2, s42
	v_rcp_iflag_f32_e32 v0, v0
	v_rcp_iflag_f32_e32 v3, v3
	s_abs_i32 s47, s58
	s_abs_i32 s48, s59
	v_rcp_iflag_f32_e32 v2, v2
	v_cvt_f32_u32_e32 v5, s47
	s_abs_i32 s46, s3
	s_abs_i32 s49, s60
	v_cvt_f32_u32_e32 v4, s46
	v_cvt_f32_u32_e32 v8, s49
	s_waitcnt_depctr 0xfff
	v_dual_mul_f32 v0, 0x4f7ffffe, v0 :: v_dual_mul_f32 v3, 0x4f7ffffe, v3
	v_rcp_iflag_f32_e32 v5, v5
	v_rcp_iflag_f32_e32 v4, v4
	v_mul_f32_e32 v2, 0x4f7ffffe, v2
	s_delay_alu instid0(VALU_DEP_2)
	v_cvt_u32_f32_e32 v0, v0
	v_cvt_u32_f32_e32 v3, v3
	v_rcp_iflag_f32_e32 v8, v8
	v_cvt_f32_u32_e32 v6, s48
	s_sub_i32 s1, 0, s46
	v_mul_lo_u32 v7, s0, v0
	s_sub_i32 s0, 0, s42
	v_mul_f32_e32 v5, 0x4f7ffffe, v5
	v_cvt_u32_f32_e32 v2, v2
	v_rcp_iflag_f32_e32 v6, v6
	s_mul_i32 s43, s2, s43
	s_ashr_i32 s44, s4, 31
	v_cvt_u32_f32_e32 v11, v5
	v_mul_hi_u32 v7, v0, v7
	v_mul_lo_u32 v9, s0, v2
	s_sub_i32 s0, 0, s45
	s_ashr_i32 s50, s36, 31
	s_ashr_i32 s51, s33, 31
	;; [unrolled: 1-line block ×5, first 2 shown]
	v_add_nc_u32_e32 v0, v0, v7
	v_mul_lo_u32 v7, s0, v3
	s_sub_i32 s0, 0, s47
	s_ashr_i32 s55, s60, 31
	v_mul_lo_u32 v5, s0, v11
	s_sub_i32 s0, 0, s49
	s_mul_i32 s56, s4, 3
	s_sub_i32 s57, 0, s4
	s_sub_i32 s58, 0, s58
	v_mul_hi_u32 v7, v3, v7
	v_mul_f32_e32 v4, 0x4f7ffffe, v4
	s_sub_i32 s59, 0, s59
	s_sub_i32 s60, 0, s60
	s_mov_b32 s61, 0xbbbac73d
	s_delay_alu instid0(VALU_DEP_1) | instskip(SKIP_1) | instid1(VALU_DEP_2)
	v_cvt_u32_f32_e32 v10, v4
	v_mul_hi_u32 v4, v2, v9
	v_mul_lo_u32 v9, s1, v10
	s_sub_i32 s1, 0, s48
	s_delay_alu instid0(VALU_DEP_2) | instskip(SKIP_2) | instid1(VALU_DEP_4)
	v_add_nc_u32_e32 v4, v2, v4
	v_mul_hi_u32 v2, v11, v5
	v_dual_mul_f32 v8, 0x4f7ffffe, v8 :: v_dual_add_nc_u32 v5, v3, v7
	v_mul_hi_u32 v9, v10, v9
	s_delay_alu instid0(VALU_DEP_3) | instskip(NEXT) | instid1(VALU_DEP_3)
	v_add_nc_u32_e32 v7, v11, v2
	v_cvt_u32_f32_e32 v13, v8
	s_delay_alu instid0(VALU_DEP_1) | instskip(NEXT) | instid1(VALU_DEP_1)
	v_mul_lo_u32 v8, s0, v13
	v_mul_hi_u32 v3, v13, v8
	v_mul_f32_e32 v6, 0x4f7ffffe, v6
	s_delay_alu instid0(VALU_DEP_1) | instskip(NEXT) | instid1(VALU_DEP_1)
	v_cvt_u32_f32_e32 v12, v6
	v_mul_lo_u32 v6, s1, v12
	s_delay_alu instid0(VALU_DEP_1) | instskip(SKIP_2) | instid1(VALU_DEP_3)
	v_mul_hi_u32 v14, v12, v6
	v_add_nc_u32_e32 v6, v10, v9
	v_add_nc_u32_e32 v9, v13, v3
	;; [unrolled: 1-line block ×3, first 2 shown]
	s_branch .LBB5_3
.LBB5_2:                                ;   in Loop: Header=BB5_3 Depth=1
	s_or_b32 exec_lo, exec_lo, s0
	v_add_f32_e32 v25, v25, v27
	v_mul_hi_u32 v27, v14, v6
	v_mul_hi_u32 v31, v17, v6
	;; [unrolled: 1-line block ×3, first 2 shown]
	v_xor_b32_e32 v21, s52, v21
	v_add_f32_e32 v25, v25, v30
	v_mul_hi_u32 v30, v15, v6
	v_xor_b32_e32 v20, s52, v20
	v_xor_b32_e32 v19, s52, v19
	v_mul_lo_u32 v36, v27, s46
	v_mul_lo_u32 v42, v31, s46
	;; [unrolled: 1-line block ×3, first 2 shown]
	v_add_nc_u32_e32 v47, 1, v33
	v_mul_hi_u32 v35, v11, v9
	v_mul_lo_u32 v38, v30, s46
	v_xor_b32_e32 v18, s52, v18
	v_xor_b32_e32 v32, s54, v10
	v_sub_nc_u32_e32 v14, v14, v36
	v_sub_nc_u32_e32 v17, v17, v42
	;; [unrolled: 1-line block ×3, first 2 shown]
	v_add_nc_u32_e32 v37, 1, v27
	v_sub_nc_u32_e32 v15, v15, v38
	v_cmp_le_u32_e32 vcc_lo, s46, v14
	v_subrev_nc_u32_e32 v38, s46, v14
	v_add_f32_e32 v25, v29, v25
	v_mul_hi_u32 v29, v16, v6
	v_cmp_le_u32_e64 s0, s46, v15
	v_cmp_le_u32_e64 s1, s46, v17
	v_cndmask_b32_e32 v14, v14, v38, vcc_lo
	v_mul_f32_e32 v34, 0xbfb8aa3b, v25
	v_cndmask_b32_e32 v27, v27, v37, vcc_lo
	v_cmp_nlt_f32_e32 vcc_lo, 0x42ce8ed0, v25
	v_cmp_ngt_f32_e64 s2, 0xc2b17218, v25
	v_mul_lo_u32 v44, v29, s46
	v_fma_f32 v39, 0xbfb8aa3b, v25, -v34
	v_rndne_f32_e32 v40, v34
	s_delay_alu instid0(VALU_DEP_2) | instskip(NEXT) | instid1(VALU_DEP_2)
	v_dual_fmac_f32 v39, 0xb2a5705f, v25 :: v_dual_add_nc_u32 v38, 1, v27
	v_sub_f32_e32 v34, v34, v40
	v_cvt_i32_f32_e32 v37, v40
	v_sub_nc_u32_e32 v16, v16, v44
	v_subrev_nc_u32_e32 v40, s46, v15
	s_delay_alu instid0(VALU_DEP_4) | instskip(SKIP_1) | instid1(VALU_DEP_3)
	v_add_f32_e32 v34, v34, v39
	v_mul_lo_u32 v39, v35, s49
	v_cndmask_b32_e64 v15, v15, v40, s0
	s_delay_alu instid0(VALU_DEP_3) | instskip(NEXT) | instid1(VALU_DEP_2)
	v_exp_f32_e32 v34, v34
	v_sub_nc_u32_e32 v11, v11, v39
	s_waitcnt_depctr 0xfff
	v_ldexp_f32 v34, v34, v37
	v_add_nc_u32_e32 v43, 1, v31
	v_subrev_nc_u32_e32 v37, s46, v17
	s_delay_alu instid0(VALU_DEP_3) | instskip(SKIP_1) | instid1(VALU_DEP_4)
	v_cndmask_b32_e32 v34, 0, v34, vcc_lo
	v_cmp_le_u32_e32 vcc_lo, s46, v16
	v_cndmask_b32_e64 v31, v31, v43, s1
	s_delay_alu instid0(VALU_DEP_4) | instskip(NEXT) | instid1(VALU_DEP_4)
	v_cndmask_b32_e64 v17, v17, v37, s1
	v_cndmask_b32_e64 v25, 0x7f800000, v34, s2
	v_cmp_le_u32_e64 s2, s46, v14
	s_delay_alu instid0(VALU_DEP_2) | instskip(NEXT) | instid1(VALU_DEP_2)
	v_add_f32_e32 v25, 1.0, v25
	v_cndmask_b32_e64 v14, v27, v38, s2
	v_add_nc_u32_e32 v38, 1, v31
	v_subrev_nc_u32_e32 v27, s46, v16
	v_add_nc_u32_e32 v41, 1, v30
	v_div_scale_f32 v37, null, v25, v25, 1.0
	v_xor_b32_e32 v14, v14, v21
	s_delay_alu instid0(VALU_DEP_4) | instskip(NEXT) | instid1(VALU_DEP_4)
	v_cndmask_b32_e32 v16, v16, v27, vcc_lo
	v_cndmask_b32_e64 v30, v30, v41, s0
	v_cmp_le_u32_e64 s0, s46, v15
	v_rcp_f32_e32 v15, v37
	v_sub_nc_u32_e32 v21, v14, v21
	v_cmp_le_u32_e64 s1, s46, v16
	v_add_nc_u32_e32 v34, 1, v30
	s_delay_alu instid0(VALU_DEP_1) | instskip(SKIP_2) | instid1(VALU_DEP_3)
	v_cndmask_b32_e64 v14, v30, v34, s0
	v_cmp_le_u32_e64 s0, s46, v17
	v_mul_lo_u32 v30, v21, s3
	v_xor_b32_e32 v14, v14, v19
	s_delay_alu instid0(VALU_DEP_3) | instskip(SKIP_1) | instid1(VALU_DEP_4)
	v_cndmask_b32_e64 v17, v31, v38, s0
	v_cmp_le_u32_e64 s0, s48, v36
	v_sub_nc_u32_e32 v12, v12, v30
	s_delay_alu instid0(VALU_DEP_3) | instskip(NEXT) | instid1(VALU_DEP_3)
	v_xor_b32_e32 v17, v17, v20
	v_cndmask_b32_e64 v31, v33, v47, s0
	v_fma_f32 v33, -v37, v15, 1.0
	v_sub_nc_u32_e32 v19, v14, v19
	v_add_nc_u32_e32 v12, v1, v12
	v_sub_nc_u32_e32 v17, v17, v20
	s_delay_alu instid0(VALU_DEP_4) | instskip(SKIP_3) | instid1(VALU_DEP_3)
	v_fmac_f32_e32 v15, v33, v15
	v_add_nc_u32_e32 v45, 1, v29
	v_mul_lo_u32 v16, v19, s3
	v_mul_lo_u32 v12, v12, s35
	v_cndmask_b32_e32 v29, v29, v45, vcc_lo
	v_div_scale_f32 v30, vcc_lo, 1.0, v25, 1.0
	s_delay_alu instid0(VALU_DEP_4) | instskip(NEXT) | instid1(VALU_DEP_2)
	v_sub_nc_u32_e32 v2, v2, v16
	v_dual_mul_f32 v20, v30, v15 :: v_dual_add_nc_u32 v27, 1, v29
	s_delay_alu instid0(VALU_DEP_1) | instskip(NEXT) | instid1(VALU_DEP_2)
	v_cndmask_b32_e64 v14, v29, v27, s1
	v_fma_f32 v33, -v37, v20, v30
	v_mul_lo_u32 v29, v17, s3
	v_subrev_nc_u32_e32 v27, s48, v36
	s_delay_alu instid0(VALU_DEP_4) | instskip(NEXT) | instid1(VALU_DEP_4)
	v_xor_b32_e32 v14, v14, v18
	v_fmac_f32_e32 v20, v33, v15
	s_delay_alu instid0(VALU_DEP_3) | instskip(NEXT) | instid1(VALU_DEP_3)
	v_cndmask_b32_e64 v16, v36, v27, s0
	v_sub_nc_u32_e32 v27, v14, v18
	v_sub_nc_u32_e32 v18, v13, v29
	v_mad_u64_u32 v[13:14], null, v21, s34, v[12:13]
	v_fma_f32 v12, -v37, v20, v30
	v_add_nc_u32_e32 v14, 1, v31
	v_add_nc_u32_e32 v21, 1, v35
	v_cmp_le_u32_e64 s0, s48, v16
	s_delay_alu instid0(VALU_DEP_4)
	v_div_fmas_f32 v20, v12, v15, v20
	v_subrev_nc_u32_e32 v12, s49, v11
	v_cmp_le_u32_e32 vcc_lo, s49, v11
	v_add_nc_u32_e32 v2, v1, v2
	v_cndmask_b32_e64 v14, v31, v14, s0
	v_div_fixup_f32 v25, v20, v25, 1.0
	v_cndmask_b32_e32 v11, v11, v12, vcc_lo
	v_cndmask_b32_e32 v15, v35, v21, vcc_lo
	s_delay_alu instid0(VALU_DEP_4)
	v_xor_b32_e32 v14, v14, v32
	v_mul_lo_u32 v2, v2, s35
	v_xor_b32_e32 v21, s55, v10
	v_cmp_le_u32_e32 vcc_lo, s49, v11
	v_add_nc_u32_e32 v12, 1, v15
	v_add_nc_u32_e32 v16, v1, v18
	v_sub_nc_u32_e32 v29, v14, v32
	v_mul_lo_u32 v18, v27, s3
	v_ashrrev_i32_e32 v14, 31, v13
	v_cndmask_b32_e32 v11, v15, v12, vcc_lo
	v_mul_lo_u32 v10, v16, s35
	v_mad_u64_u32 v[15:16], null, v19, s34, v[2:3]
	s_delay_alu instid0(VALU_DEP_3) | instskip(SKIP_2) | instid1(VALU_DEP_3)
	v_xor_b32_e32 v30, v11, v21
	v_mad_u64_u32 v[11:12], null, s59, v29, v[1:2]
	v_sub_nc_u32_e32 v12, v3, v18
	v_sub_nc_u32_e32 v21, v30, v21
	v_ashrrev_i32_e32 v16, 31, v15
	s_delay_alu instid0(VALU_DEP_4) | instskip(NEXT) | instid1(VALU_DEP_4)
	v_mad_u64_u32 v[2:3], null, v17, s34, v[10:11]
	v_add_nc_u32_e32 v17, v1, v12
	v_mul_lo_u32 v10, v11, s27
	s_delay_alu instid0(VALU_DEP_4) | instskip(NEXT) | instid1(VALU_DEP_4)
	v_lshlrev_b64 v[15:16], 2, v[15:16]
	v_mad_u64_u32 v[11:12], null, s60, v21, v[1:2]
	v_lshlrev_b64 v[12:13], 2, v[13:14]
	v_mul_lo_u32 v14, v17, s35
	v_ashrrev_i32_e32 v3, 31, v2
	v_add_nc_u32_e32 v1, s43, v1
	v_mad_u64_u32 v[17:18], null, v29, s26, v[10:11]
	v_mul_lo_u32 v10, v11, s29
	v_add_co_u32 v11, vcc_lo, s30, v12
	v_add_co_ci_u32_e32 v12, vcc_lo, s31, v13, vcc_lo
	v_mad_u64_u32 v[19:20], null, v27, s34, v[14:15]
	v_ashrrev_i32_e32 v18, 31, v17
	s_delay_alu instid0(VALU_DEP_4) | instskip(SKIP_2) | instid1(VALU_DEP_4)
	v_mad_u64_u32 v[13:14], null, v21, s28, v[10:11]
	v_lshlrev_b64 v[2:3], 2, v[2:3]
	v_add_co_u32 v15, vcc_lo, s30, v15
	v_lshlrev_b64 v[17:18], 2, v[17:18]
	v_ashrrev_i32_e32 v20, 31, v19
	v_add_co_ci_u32_e32 v16, vcc_lo, s31, v16, vcc_lo
	v_ashrrev_i32_e32 v14, 31, v13
	v_add_co_u32 v2, vcc_lo, s30, v2
	v_add_co_ci_u32_e32 v3, vcc_lo, s31, v3, vcc_lo
	s_delay_alu instid0(VALU_DEP_3) | instskip(SKIP_3) | instid1(VALU_DEP_4)
	v_lshlrev_b64 v[13:14], 2, v[13:14]
	v_lshlrev_b64 v[19:20], 2, v[19:20]
	v_add_co_u32 v17, vcc_lo, s18, v17
	v_add_co_ci_u32_e32 v18, vcc_lo, s19, v18, vcc_lo
	v_add_co_u32 v13, vcc_lo, s20, v13
	v_add_co_ci_u32_e32 v14, vcc_lo, s21, v14, vcc_lo
	v_bfi_b32 v10, 0x7fffffff, v28, v26
	v_add_co_u32 v19, vcc_lo, s30, v19
	v_add_co_ci_u32_e32 v20, vcc_lo, s31, v20, vcc_lo
	v_cmp_le_i32_e32 vcc_lo, s5, v1
	s_delay_alu instid0(VALU_DEP_4)
	v_mul_f32_e32 v10, v25, v10
	global_store_b32 v[17:18], v10, off
	global_store_b32 v[13:14], v26, off
	s_clause 0x1
	global_store_b32 v[11:12], v23, off
	global_store_b32 v[15:16], v24, off
	s_or_b32 s41, vcc_lo, s41
	s_clause 0x1
	global_store_b32 v[2:3], v22, off
	global_store_b32 v[19:20], v25, off
	s_and_not1_b32 exec_lo, exec_lo, s41
	s_cbranch_execz .LBB5_13
.LBB5_3:                                ; =>This Inner Loop Header: Depth=1
	v_sub_nc_u32_e32 v2, 0, v1
	s_delay_alu instid0(VALU_DEP_1) | instskip(NEXT) | instid1(VALU_DEP_1)
	v_max_i32_e32 v11, v1, v2
	v_mul_hi_u32 v2, v11, v0
	s_delay_alu instid0(VALU_DEP_1) | instskip(NEXT) | instid1(VALU_DEP_1)
	v_mul_lo_u32 v3, v2, s40
	v_sub_nc_u32_e32 v3, v11, v3
	s_delay_alu instid0(VALU_DEP_1) | instskip(SKIP_1) | instid1(VALU_DEP_2)
	v_subrev_nc_u32_e32 v12, s40, v3
	v_cmp_le_u32_e32 vcc_lo, s40, v3
	v_dual_cndmask_b32 v3, v3, v12 :: v_dual_add_nc_u32 v10, 1, v2
	s_delay_alu instid0(VALU_DEP_1) | instskip(SKIP_1) | instid1(VALU_DEP_3)
	v_cndmask_b32_e32 v2, v2, v10, vcc_lo
	v_ashrrev_i32_e32 v10, 31, v1
	v_cmp_le_u32_e32 vcc_lo, s40, v3
	s_delay_alu instid0(VALU_DEP_3) | instskip(NEXT) | instid1(VALU_DEP_3)
	v_add_nc_u32_e32 v12, 1, v2
	v_xor_b32_e32 v22, s44, v10
	s_delay_alu instid0(VALU_DEP_2) | instskip(NEXT) | instid1(VALU_DEP_1)
	v_cndmask_b32_e32 v2, v2, v12, vcc_lo
	v_xor_b32_e32 v23, v2, v22
	v_mul_i32_i24_e32 v2, 3, v22
	s_delay_alu instid0(VALU_DEP_2) | instskip(SKIP_1) | instid1(VALU_DEP_2)
	v_lshl_add_u32 v3, v23, 1, v23
	v_sub_nc_u32_e32 v24, v23, v22
	v_sub_nc_u32_e32 v13, v3, v2
	s_delay_alu instid0(VALU_DEP_2) | instskip(NEXT) | instid1(VALU_DEP_2)
	v_mul_lo_u32 v12, s56, v24
	v_add_nc_u32_e32 v15, 3, v13
	v_mad_u64_u32 v[2:3], null, s4, v13, s[4:5]
	v_add_nc_u32_e32 v3, 2, v13
	s_delay_alu instid0(VALU_DEP_1) | instskip(NEXT) | instid1(VALU_DEP_4)
	v_mul_lo_u32 v13, s4, v3
	v_mul_lo_u32 v3, s4, v15
	s_delay_alu instid0(VALU_DEP_2) | instskip(NEXT) | instid1(VALU_DEP_2)
	v_add_nc_u32_e32 v16, v1, v13
	v_add_nc_u32_e32 v17, v1, v3
	s_delay_alu instid0(VALU_DEP_2) | instskip(NEXT) | instid1(VALU_DEP_2)
	v_ashrrev_i32_e32 v20, 31, v16
	v_ashrrev_i32_e32 v18, 31, v17
	s_delay_alu instid0(VALU_DEP_2) | instskip(NEXT) | instid1(VALU_DEP_2)
	v_add3_u32 v16, v20, v13, v1
	v_add3_u32 v31, v18, v3, v1
	v_xor_b32_e32 v29, s50, v20
	v_xor_b32_e32 v30, s50, v18
	;; [unrolled: 1-line block ×5, first 2 shown]
	s_delay_alu instid0(VALU_DEP_2) | instskip(NEXT) | instid1(VALU_DEP_2)
	v_mul_hi_u32 v42, v17, v5
	v_mul_hi_u32 v43, v16, v5
	;; [unrolled: 1-line block ×4, first 2 shown]
	s_delay_alu instid0(VALU_DEP_4)
	v_mul_lo_u32 v52, v42, s45
	v_add_nc_u32_e32 v53, 1, v42
	v_add_nc_u32_e32 v55, 1, v43
	v_mul_lo_u32 v48, v40, s42
	v_mul_lo_u32 v50, v41, s42
	;; [unrolled: 1-line block ×3, first 2 shown]
	v_add_nc_u32_e32 v49, 1, v40
	v_sub_nc_u32_e32 v52, v17, v52
	v_add_nc_u32_e32 v14, v1, v12
	v_sub_nc_u32_e32 v48, v17, v48
	v_sub_nc_u32_e32 v50, v16, v50
	;; [unrolled: 1-line block ×3, first 2 shown]
	s_delay_alu instid0(VALU_DEP_4) | instskip(SKIP_2) | instid1(VALU_DEP_3)
	v_ashrrev_i32_e32 v21, 31, v14
	v_add_nc_u32_e32 v14, v1, v2
	v_add_nc_u32_e32 v51, 1, v41
	v_add3_u32 v15, v21, v12, v1
	s_delay_alu instid0(VALU_DEP_3) | instskip(SKIP_2) | instid1(VALU_DEP_4)
	v_ashrrev_i32_e32 v19, 31, v14
	v_xor_b32_e32 v25, s50, v21
	v_xor_b32_e32 v27, s51, v21
	;; [unrolled: 1-line block ×3, first 2 shown]
	s_delay_alu instid0(VALU_DEP_4) | instskip(SKIP_2) | instid1(VALU_DEP_4)
	v_add3_u32 v15, v19, v2, v1
	v_xor_b32_e32 v26, s50, v19
	v_xor_b32_e32 v35, s51, v19
	v_mul_hi_u32 v28, v14, v4
	s_delay_alu instid0(VALU_DEP_4) | instskip(SKIP_1) | instid1(VALU_DEP_2)
	v_xor_b32_e32 v15, v15, v19
	v_mul_hi_u32 v32, v14, v5
	v_mul_hi_u32 v33, v15, v4
	v_mul_hi_u32 v31, v15, v5
	v_mul_lo_u32 v34, v28, s42
	s_delay_alu instid0(VALU_DEP_4) | instskip(NEXT) | instid1(VALU_DEP_4)
	v_mul_lo_u32 v38, v32, s45
	v_mul_lo_u32 v44, v33, s42
	v_add_nc_u32_e32 v45, 1, v33
	s_delay_alu instid0(VALU_DEP_4) | instskip(SKIP_2) | instid1(VALU_DEP_3)
	v_sub_nc_u32_e32 v34, v14, v34
	v_mul_lo_u32 v46, v31, s45
	v_sub_nc_u32_e32 v38, v14, v38
	v_cmp_le_u32_e32 vcc_lo, s42, v34
	v_sub_nc_u32_e32 v44, v15, v44
	v_add_nc_u32_e32 v37, 1, v28
	s_delay_alu instid0(VALU_DEP_4) | instskip(SKIP_1) | instid1(VALU_DEP_3)
	v_cmp_le_u32_e64 s0, s45, v38
	v_sub_nc_u32_e32 v46, v15, v46
	v_cndmask_b32_e32 v28, v28, v37, vcc_lo
	v_subrev_nc_u32_e32 v37, s42, v34
	s_delay_alu instid0(VALU_DEP_1) | instskip(NEXT) | instid1(VALU_DEP_1)
	v_dual_cndmask_b32 v34, v34, v37 :: v_dual_add_nc_u32 v39, 1, v32
	v_cndmask_b32_e64 v32, v32, v39, s0
	v_subrev_nc_u32_e32 v39, s45, v38
	v_cmp_le_u32_e32 vcc_lo, s42, v44
	v_add_nc_u32_e32 v37, 1, v28
	v_cmp_le_u32_e64 s1, s42, v34
	s_delay_alu instid0(VALU_DEP_4)
	v_cndmask_b32_e64 v38, v38, v39, s0
	v_cndmask_b32_e32 v33, v33, v45, vcc_lo
	v_subrev_nc_u32_e32 v45, s42, v44
	v_add_nc_u32_e32 v39, 1, v32
	v_cndmask_b32_e64 v28, v28, v37, s1
	v_cmp_le_u32_e64 s2, s45, v38
	v_add_nc_u32_e32 v37, 1, v33
	v_cndmask_b32_e32 v34, v44, v45, vcc_lo
	v_cmp_le_u32_e32 vcc_lo, s42, v48
	v_subrev_nc_u32_e32 v44, s42, v48
	v_cndmask_b32_e64 v32, v32, v39, s2
	v_add_nc_u32_e32 v47, 1, v31
	v_cmp_le_u32_e64 s2, s42, v34
	v_cndmask_b32_e32 v40, v40, v49, vcc_lo
	v_cmp_le_u32_e64 s1, s42, v50
	v_subrev_nc_u32_e32 v45, s42, v50
	v_cndmask_b32_e32 v34, v48, v44, vcc_lo
	v_xor_b32_e32 v28, v28, v25
	v_cndmask_b32_e64 v33, v33, v37, s2
	v_cndmask_b32_e64 v41, v41, v51, s1
	v_add_nc_u32_e32 v37, 1, v40
	v_cndmask_b32_e64 v38, v50, v45, s1
	v_cmp_le_u32_e32 vcc_lo, s42, v34
	v_sub_nc_u32_e32 v44, v28, v25
	v_xor_b32_e32 v25, v33, v26
	v_add_nc_u32_e32 v39, 1, v41
	v_cmp_le_u32_e64 s0, s45, v46
	v_cndmask_b32_e32 v28, v40, v37, vcc_lo
	v_cmp_le_u32_e32 vcc_lo, s42, v38
	v_sub_nc_u32_e32 v37, v25, v26
	v_mul_lo_u32 v34, v44, s36
	v_cndmask_b32_e64 v31, v31, v47, s0
	v_xor_b32_e32 v25, v28, v29
	v_cndmask_b32_e32 v33, v41, v39, vcc_lo
	v_mul_lo_u32 v38, v37, s36
	v_subrev_nc_u32_e32 v47, s45, v46
	v_cmp_le_u32_e32 vcc_lo, s45, v52
	v_sub_nc_u32_e32 v39, v25, v29
	v_xor_b32_e32 v33, v33, v30
	v_sub_nc_u32_e32 v25, v12, v34
	v_cndmask_b32_e64 v26, v46, v47, s0
	v_subrev_nc_u32_e32 v29, s45, v52
	v_add_nc_u32_e32 v28, 1, v31
	v_sub_nc_u32_e32 v41, v33, v30
	v_sub_nc_u32_e32 v33, v2, v38
	v_add_nc_u32_e32 v25, v1, v25
	v_mul_lo_u32 v30, v39, s36
	v_cmp_le_u32_e64 s0, s45, v26
	v_mul_lo_u32 v34, v41, s36
	v_add_nc_u32_e32 v33, v1, v33
	v_mul_lo_u32 v25, v25, s23
	v_xor_b32_e32 v32, v32, v27
	v_cndmask_b32_e32 v45, v52, v29, vcc_lo
	v_cndmask_b32_e32 v40, v42, v53, vcc_lo
	v_mul_lo_u32 v26, v33, s23
	v_sub_nc_u32_e32 v30, v13, v30
	v_sub_nc_u32_e32 v29, v3, v34
	v_cndmask_b32_e64 v42, v31, v28, s0
	v_sub_nc_u32_e32 v46, v32, v27
	v_subrev_nc_u32_e32 v38, s45, v54
	v_add_nc_u32_e32 v30, v1, v30
	v_cmp_le_u32_e64 s0, s45, v45
	v_mad_u64_u32 v[27:28], null, v44, s22, v[25:26]
	v_add_nc_u32_e32 v28, v1, v29
	s_delay_alu instid0(VALU_DEP_4) | instskip(SKIP_1) | instid1(VALU_DEP_4)
	v_mul_lo_u32 v25, v30, s23
	v_mul_lo_u32 v33, v46, s33
	v_mad_u64_u32 v[29:30], null, v37, s22, v[26:27]
	s_delay_alu instid0(VALU_DEP_4) | instskip(SKIP_2) | instid1(VALU_DEP_2)
	v_mul_lo_u32 v26, v28, s23
	v_ashrrev_i32_e32 v28, 31, v27
	v_add_nc_u32_e32 v37, 1, v40
	v_lshlrev_b64 v[27:28], 2, v[27:28]
	v_ashrrev_i32_e32 v30, 31, v29
	v_mad_u64_u32 v[31:32], null, v39, s22, v[25:26]
	v_xor_b32_e32 v39, v42, v35
	v_sub_nc_u32_e32 v42, v12, v33
	v_mad_u64_u32 v[33:34], null, v41, s22, v[26:27]
	v_lshlrev_b64 v[25:26], 2, v[29:30]
	v_add_co_u32 v27, vcc_lo, s10, v27
	v_ashrrev_i32_e32 v32, 31, v31
	v_add_co_ci_u32_e32 v28, vcc_lo, s11, v28, vcc_lo
	s_delay_alu instid0(VALU_DEP_4) | instskip(NEXT) | instid1(VALU_DEP_3)
	v_add_co_u32 v25, vcc_lo, s10, v25
	v_lshlrev_b64 v[29:30], 2, v[31:32]
	v_add_co_ci_u32_e32 v26, vcc_lo, s11, v26, vcc_lo
	v_cndmask_b32_e64 v32, v40, v37, s0
	v_mul_hi_u32 v37, v11, v7
	v_sub_nc_u32_e32 v41, v39, v35
	v_add_co_u32 v29, vcc_lo, s10, v29
	v_add_co_ci_u32_e32 v30, vcc_lo, s11, v30, vcc_lo
	v_cmp_le_u32_e32 vcc_lo, s45, v54
	v_xor_b32_e32 v32, v32, v36
	v_xor_b32_e32 v39, s51, v18
	v_dual_cndmask_b32 v31, v43, v55 :: v_dual_cndmask_b32 v34, v54, v38
	s_delay_alu instid0(VALU_DEP_3) | instskip(SKIP_2) | instid1(VALU_DEP_4)
	v_sub_nc_u32_e32 v43, v32, v36
	v_add_nc_u32_e32 v36, v1, v42
	v_mul_lo_u32 v38, v41, s33
	v_add_nc_u32_e32 v35, 1, v31
	v_cmp_le_u32_e32 vcc_lo, s45, v34
	v_ashrrev_i32_e32 v34, 31, v33
	v_mul_lo_u32 v42, v43, s33
	s_delay_alu instid0(VALU_DEP_4) | instskip(SKIP_2) | instid1(VALU_DEP_3)
	v_cndmask_b32_e32 v31, v31, v35, vcc_lo
	v_mul_lo_u32 v35, v37, s47
	v_sub_nc_u32_e32 v38, v2, v38
	v_xor_b32_e32 v40, v31, v39
	v_lshlrev_b64 v[31:32], 2, v[33:34]
	v_mul_lo_u32 v33, v36, s9
	s_delay_alu instid0(VALU_DEP_4) | instskip(SKIP_4) | instid1(VALU_DEP_4)
	v_add_nc_u32_e32 v38, v1, v38
	v_sub_nc_u32_e32 v34, v11, v35
	v_sub_nc_u32_e32 v44, v40, v39
	v_add_nc_u32_e32 v35, 1, v37
	v_sub_nc_u32_e32 v39, v13, v42
	v_subrev_nc_u32_e32 v42, s47, v34
	v_cmp_le_u32_e32 vcc_lo, s47, v34
	v_mul_lo_u32 v40, v44, s33
	s_delay_alu instid0(VALU_DEP_4) | instskip(SKIP_4) | instid1(VALU_DEP_4)
	v_add_nc_u32_e32 v39, v1, v39
	v_cndmask_b32_e32 v37, v37, v35, vcc_lo
	v_mad_u64_u32 v[35:36], null, v46, s8, v[33:34]
	v_cndmask_b32_e32 v34, v34, v42, vcc_lo
	v_xor_b32_e32 v42, s53, v10
	v_add_nc_u32_e32 v36, 1, v37
	v_mul_lo_u32 v33, v38, s9
	v_sub_nc_u32_e32 v40, v3, v40
	v_cmp_le_u32_e32 vcc_lo, s47, v34
	s_delay_alu instid0(VALU_DEP_4) | instskip(SKIP_2) | instid1(VALU_DEP_3)
	v_cndmask_b32_e32 v34, v37, v36, vcc_lo
	v_add_co_u32 v37, vcc_lo, s10, v31
	v_add_co_ci_u32_e32 v38, vcc_lo, s11, v32, vcc_lo
	v_xor_b32_e32 v32, v34, v42
	v_mul_lo_u32 v31, v39, s9
	v_add_nc_u32_e32 v34, v1, v40
	v_ashrrev_i32_e32 v36, 31, v35
	s_delay_alu instid0(VALU_DEP_4) | instskip(NEXT) | instid1(VALU_DEP_3)
	v_sub_nc_u32_e32 v45, v32, v42
	v_mad_u64_u32 v[39:40], null, v41, s8, v[33:34]
	v_mad_u64_u32 v[41:42], null, v43, s8, v[31:32]
	v_mul_lo_u32 v31, v34, s9
	s_delay_alu instid0(VALU_DEP_4)
	v_mad_u64_u32 v[33:34], null, s58, v45, v[1:2]
	s_clause 0x3
	global_load_b32 v32, v[27:28], off
	global_load_b32 v26, v[25:26], off
	;; [unrolled: 1-line block ×4, first 2 shown]
	v_ashrrev_i32_e32 v40, 31, v39
	v_lshlrev_b64 v[27:28], 2, v[35:36]
	v_ashrrev_i32_e32 v42, 31, v41
	v_mul_lo_u32 v29, v33, s17
	s_delay_alu instid0(VALU_DEP_3) | instskip(NEXT) | instid1(VALU_DEP_4)
	v_add_co_u32 v27, vcc_lo, s24, v27
	v_add_co_ci_u32_e32 v28, vcc_lo, s25, v28, vcc_lo
	s_waitcnt vmcnt(3)
	v_mad_u64_u32 v[35:36], null, v44, s8, v[31:32]
	v_lshlrev_b64 v[30:31], 2, v[39:40]
	v_lshlrev_b64 v[39:40], 2, v[41:42]
	s_delay_alu instid0(VALU_DEP_2) | instskip(NEXT) | instid1(VALU_DEP_4)
	v_mad_u64_u32 v[37:38], null, v45, s16, v[29:30]
	v_ashrrev_i32_e32 v36, 31, v35
	v_add_co_u32 v29, vcc_lo, s24, v30
	v_add_co_ci_u32_e32 v30, vcc_lo, s25, v31, vcc_lo
	s_delay_alu instid0(VALU_DEP_3) | instskip(SKIP_3) | instid1(VALU_DEP_3)
	v_lshlrev_b64 v[35:36], 2, v[35:36]
	v_ashrrev_i32_e32 v38, 31, v37
	v_add_co_u32 v39, vcc_lo, s24, v39
	v_add_co_ci_u32_e32 v40, vcc_lo, s25, v40, vcc_lo
	v_lshlrev_b64 v[37:38], 2, v[37:38]
	v_add_co_u32 v41, vcc_lo, s24, v35
	v_add_co_ci_u32_e32 v42, vcc_lo, s25, v36, vcc_lo
	s_delay_alu instid0(VALU_DEP_3) | instskip(NEXT) | instid1(VALU_DEP_4)
	v_add_co_u32 v36, vcc_lo, s14, v37
	v_add_co_ci_u32_e32 v37, vcc_lo, s15, v38, vcc_lo
	s_clause 0x3
	global_load_b32 v33, v[27:28], off
	global_load_b32 v31, v[29:30], off
	;; [unrolled: 1-line block ×5, first 2 shown]
	v_dual_mov_b32 v39, 0 :: v_dual_mov_b32 v36, 0
	v_dual_mov_b32 v40, 0 :: v_dual_mov_b32 v29, 0
	;; [unrolled: 1-line block ×4, first 2 shown]
	s_and_not1_b32 vcc_lo, exec_lo, s39
	s_cbranch_vccnz .LBB5_5
; %bb.4:                                ;   in Loop: Header=BB5_3 Depth=1
	v_sub_nc_u32_e32 v29, v22, v23
	v_mad_u64_u32 v[22:23], null, s57, v24, v[1:2]
	s_delay_alu instid0(VALU_DEP_2) | instskip(SKIP_2) | instid1(VALU_DEP_4)
	v_mul_lo_u32 v24, s4, v29
	v_add_nc_u32_e32 v36, 2, v29
	v_add_nc_u32_e32 v38, 3, v29
	v_mul_lo_u32 v23, v22, s37
	s_delay_alu instid0(VALU_DEP_3) | instskip(SKIP_1) | instid1(VALU_DEP_4)
	v_mad_u64_u32 v[29:30], null, s4, v36, v[1:2]
	v_add3_u32 v30, v24, s4, v1
	v_mad_u64_u32 v[36:37], null, s4, v38, v[1:2]
	v_mul_lo_u32 v37, v22, s38
	v_ashrrev_i32_e32 v24, 31, v23
	s_delay_alu instid0(VALU_DEP_4)
	v_mul_lo_u32 v39, v30, s37
	v_mul_lo_u32 v22, v29, s37
	;; [unrolled: 1-line block ×5, first 2 shown]
	v_lshlrev_b64 v[43:44], 2, v[23:24]
	v_ashrrev_i32_e32 v38, 31, v37
	v_mul_lo_u32 v36, v36, s38
	v_ashrrev_i32_e32 v40, 31, v39
	v_ashrrev_i32_e32 v23, 31, v22
	v_ashrrev_i32_e32 v46, 31, v45
	v_add_co_u32 v43, vcc_lo, s6, v43
	s_delay_alu instid0(VALU_DEP_4) | instskip(SKIP_4) | instid1(VALU_DEP_4)
	v_lshlrev_b64 v[39:40], 2, v[39:40]
	v_ashrrev_i32_e32 v42, 31, v41
	v_lshlrev_b64 v[22:23], 2, v[22:23]
	v_add_co_ci_u32_e32 v44, vcc_lo, s7, v44, vcc_lo
	v_lshlrev_b64 v[37:38], 2, v[37:38]
	v_lshlrev_b64 v[41:42], 2, v[41:42]
	v_add_co_u32 v47, vcc_lo, s6, v39
	v_add_co_ci_u32_e32 v48, vcc_lo, s7, v40, vcc_lo
	v_add_co_u32 v22, vcc_lo, s6, v22
	v_add_co_ci_u32_e32 v23, vcc_lo, s7, v23, vcc_lo
	v_add_co_u32 v49, vcc_lo, s6, v41
	v_ashrrev_i32_e32 v30, 31, v29
	v_add_co_ci_u32_e32 v50, vcc_lo, s7, v42, vcc_lo
	v_lshlrev_b64 v[39:40], 2, v[45:46]
	v_add_co_u32 v45, vcc_lo, s12, v37
	v_ashrrev_i32_e32 v37, 31, v36
	v_lshlrev_b64 v[29:30], 2, v[29:30]
	v_add_co_ci_u32_e32 v46, vcc_lo, s13, v38, vcc_lo
	v_add_co_u32 v51, vcc_lo, s12, v39
	s_delay_alu instid0(VALU_DEP_4) | instskip(SKIP_3) | instid1(VALU_DEP_4)
	v_lshlrev_b64 v[36:37], 2, v[36:37]
	v_add_co_ci_u32_e32 v52, vcc_lo, s13, v40, vcc_lo
	v_add_co_u32 v53, vcc_lo, s12, v29
	v_add_co_ci_u32_e32 v54, vcc_lo, s13, v30, vcc_lo
	v_add_co_u32 v55, vcc_lo, s12, v36
	v_add_co_ci_u32_e32 v56, vcc_lo, s13, v37, vcc_lo
	s_clause 0x3
	global_load_b32 v39, v[43:44], off
	global_load_b32 v38, v[47:48], off
	;; [unrolled: 1-line block ×4, first 2 shown]
	s_clause 0x3
	global_load_b32 v37, v[45:46], off
	global_load_b32 v36, v[51:52], off
	;; [unrolled: 1-line block ×4, first 2 shown]
.LBB5_5:                                ;   in Loop: Header=BB5_3 Depth=1
	s_waitcnt vmcnt(2)
	v_add_f32_e32 v22, v34, v35
                                        ; implicit-def: $vgpr24
	s_delay_alu instid0(VALU_DEP_1) | instskip(SKIP_1) | instid1(VALU_DEP_1)
	v_add_f32_e32 v22, v22, v41
	s_waitcnt vmcnt(1)
	v_add_f32_e32 v22, v40, v22
	s_delay_alu instid0(VALU_DEP_1) | instskip(NEXT) | instid1(VALU_DEP_1)
	v_cmp_ngt_f32_e64 s0, 0x3f200000, |v22|
	s_and_saveexec_b32 s1, s0
	s_delay_alu instid0(SALU_CYCLE_1)
	s_xor_b32 s0, exec_lo, s1
	s_cbranch_execz .LBB5_7
; %bb.6:                                ;   in Loop: Header=BB5_3 Depth=1
	v_add_f32_e64 v23, |v22|, |v22|
	s_delay_alu instid0(VALU_DEP_1) | instskip(SKIP_1) | instid1(VALU_DEP_2)
	v_mul_f32_e32 v24, 0x3fb8aa3b, v23
	v_cmp_ngt_f32_e32 vcc_lo, 0xc2ce8ed0, v23
	v_rndne_f32_e32 v34, v24
	v_fma_f32 v35, 0x3fb8aa3b, v23, -v24
	s_delay_alu instid0(VALU_DEP_1) | instskip(SKIP_1) | instid1(VALU_DEP_2)
	v_dual_sub_f32 v24, v24, v34 :: v_dual_fmac_f32 v35, 0x32a5705f, v23
	v_cvt_i32_f32_e32 v34, v34
	v_add_f32_e32 v24, v24, v35
	s_delay_alu instid0(VALU_DEP_1) | instskip(SKIP_2) | instid1(VALU_DEP_1)
	v_exp_f32_e32 v24, v24
	s_waitcnt_depctr 0xfff
	v_ldexp_f32 v24, v24, v34
	v_cndmask_b32_e32 v24, 0, v24, vcc_lo
	v_cmp_nlt_f32_e32 vcc_lo, 0x42b17218, v23
	s_delay_alu instid0(VALU_DEP_2) | instskip(NEXT) | instid1(VALU_DEP_1)
	v_cndmask_b32_e32 v23, 0x7f800000, v24, vcc_lo
	v_add_f32_e32 v23, 1.0, v23
	s_delay_alu instid0(VALU_DEP_1)
	v_rcp_f32_e32 v23, v23
	s_waitcnt_depctr 0xfff
	v_fma_f32 v24, v23, -2.0, 1.0
.LBB5_7:                                ;   in Loop: Header=BB5_3 Depth=1
	s_and_not1_saveexec_b32 s0, s0
; %bb.8:                                ;   in Loop: Header=BB5_3 Depth=1
	v_mul_f32_e32 v23, v22, v22
	s_delay_alu instid0(VALU_DEP_1) | instskip(NEXT) | instid1(VALU_DEP_1)
	v_fmaak_f32 v24, s61, v23, 0x3ca908c9
	v_fmaak_f32 v24, v23, v24, 0xbd5c1c4e
	s_delay_alu instid0(VALU_DEP_1) | instskip(NEXT) | instid1(VALU_DEP_1)
	v_fmaak_f32 v24, v23, v24, 0x3e088382
	v_fmaak_f32 v24, v23, v24, 0xbeaaaa99
	s_delay_alu instid0(VALU_DEP_1) | instskip(NEXT) | instid1(VALU_DEP_1)
	v_mul_f32_e64 v24, |v22|, v24
	v_fma_f32 v24, v23, v24, |v22|
; %bb.9:                                ;   in Loop: Header=BB5_3 Depth=1
	s_or_b32 exec_lo, exec_lo, s0
	v_dual_add_f32 v23, v32, v33 :: v_dual_add_f32 v26, v26, v31
	s_delay_alu instid0(VALU_DEP_2) | instskip(NEXT) | instid1(VALU_DEP_2)
	v_bfi_b32 v22, 0x7fffffff, v24, v22
	v_dual_add_f32 v23, v23, v39 :: v_dual_add_f32 v26, v26, v38
	s_delay_alu instid0(VALU_DEP_1) | instskip(NEXT) | instid1(VALU_DEP_1)
	v_dual_add_f32 v23, v37, v23 :: v_dual_add_f32 v26, v36, v26
	v_dual_mul_f32 v31, 0xbfb8aa3b, v23 :: v_dual_mul_f32 v32, 0xbfb8aa3b, v26
	v_cmp_nlt_f32_e32 vcc_lo, 0x42ce8ed0, v23
	s_delay_alu instid0(VALU_DEP_2) | instskip(SKIP_1) | instid1(VALU_DEP_4)
	v_fma_f32 v33, 0xbfb8aa3b, v23, -v31
	v_rndne_f32_e32 v34, v31
	v_fma_f32 v35, 0xbfb8aa3b, v26, -v32
	v_rndne_f32_e32 v36, v32
	s_delay_alu instid0(VALU_DEP_4) | instskip(NEXT) | instid1(VALU_DEP_2)
	v_fmac_f32_e32 v33, 0xb2a5705f, v23
	v_dual_fmac_f32 v35, 0xb2a5705f, v26 :: v_dual_sub_f32 v32, v32, v36
	s_delay_alu instid0(VALU_DEP_1) | instskip(NEXT) | instid1(VALU_DEP_1)
	v_dual_sub_f32 v31, v31, v34 :: v_dual_add_f32 v32, v32, v35
	v_add_f32_e32 v31, v31, v33
	v_cvt_i32_f32_e32 v33, v34
	v_cvt_i32_f32_e32 v34, v36
	s_delay_alu instid0(VALU_DEP_4) | instskip(NEXT) | instid1(VALU_DEP_3)
	v_exp_f32_e32 v32, v32
	v_exp_f32_e32 v31, v31
	s_waitcnt_depctr 0xfff
	v_ldexp_f32 v32, v32, v34
	v_ldexp_f32 v31, v31, v33
	s_delay_alu instid0(VALU_DEP_1) | instskip(SKIP_1) | instid1(VALU_DEP_4)
	v_cndmask_b32_e32 v31, 0, v31, vcc_lo
	v_cmp_nlt_f32_e32 vcc_lo, 0x42ce8ed0, v26
	v_cndmask_b32_e32 v32, 0, v32, vcc_lo
	v_cmp_ngt_f32_e32 vcc_lo, 0xc2b17218, v23
	s_delay_alu instid0(VALU_DEP_4) | instskip(SKIP_1) | instid1(VALU_DEP_4)
	v_cndmask_b32_e32 v23, 0x7f800000, v31, vcc_lo
	v_cmp_ngt_f32_e32 vcc_lo, 0xc2b17218, v26
	v_cndmask_b32_e32 v26, 0x7f800000, v32, vcc_lo
	s_delay_alu instid0(VALU_DEP_1) | instskip(NEXT) | instid1(VALU_DEP_1)
	v_add_f32_e32 v26, 1.0, v26
	v_div_scale_f32 v32, null, v26, v26, 1.0
	s_delay_alu instid0(VALU_DEP_1) | instskip(SKIP_2) | instid1(VALU_DEP_1)
	v_rcp_f32_e32 v34, v32
	s_waitcnt_depctr 0xfff
	v_fma_f32 v36, -v32, v34, 1.0
	v_dual_fmac_f32 v34, v36, v34 :: v_dual_add_f32 v23, 1.0, v23
	s_delay_alu instid0(VALU_DEP_1) | instskip(SKIP_1) | instid1(VALU_DEP_2)
	v_div_scale_f32 v31, null, v23, v23, 1.0
	v_div_scale_f32 v37, vcc_lo, 1.0, v23, 1.0
	v_rcp_f32_e32 v33, v31
	s_waitcnt_depctr 0xfff
	v_fma_f32 v35, -v31, v33, 1.0
	s_delay_alu instid0(VALU_DEP_1) | instskip(SKIP_1) | instid1(VALU_DEP_1)
	v_fmac_f32_e32 v33, v35, v33
	v_div_scale_f32 v35, s0, 1.0, v26, 1.0
	v_mul_f32_e32 v38, v35, v34
	s_delay_alu instid0(VALU_DEP_1) | instskip(NEXT) | instid1(VALU_DEP_1)
	v_fma_f32 v40, -v32, v38, v35
	v_fmac_f32_e32 v38, v40, v34
	v_mul_f32_e32 v36, v37, v33
	s_delay_alu instid0(VALU_DEP_2) | instskip(NEXT) | instid1(VALU_DEP_2)
	v_fma_f32 v32, -v32, v38, v35
	v_fma_f32 v39, -v31, v36, v37
	s_delay_alu instid0(VALU_DEP_1) | instskip(NEXT) | instid1(VALU_DEP_1)
	v_fmac_f32_e32 v36, v39, v33
	v_fma_f32 v31, -v31, v36, v37
	s_delay_alu instid0(VALU_DEP_1) | instskip(SKIP_2) | instid1(VALU_DEP_2)
	v_div_fmas_f32 v31, v31, v33, v36
	s_mov_b32 vcc_lo, s0
	v_div_fmas_f32 v32, v32, v34, v38
	v_div_fixup_f32 v23, v31, v23, 1.0
	s_delay_alu instid0(VALU_DEP_2) | instskip(NEXT) | instid1(VALU_DEP_2)
	v_div_fixup_f32 v24, v32, v26, 1.0
	v_mul_f32_e32 v26, v23, v22
	s_waitcnt vmcnt(0)
	s_delay_alu instid0(VALU_DEP_1) | instskip(NEXT) | instid1(VALU_DEP_1)
	v_fmac_f32_e32 v26, v28, v24
                                        ; implicit-def: $vgpr28
	v_cmp_ngt_f32_e64 s0, 0x3f200000, |v26|
	s_delay_alu instid0(VALU_DEP_1) | instskip(NEXT) | instid1(SALU_CYCLE_1)
	s_and_saveexec_b32 s1, s0
	s_xor_b32 s0, exec_lo, s1
	s_cbranch_execz .LBB5_11
; %bb.10:                               ;   in Loop: Header=BB5_3 Depth=1
	v_add_f32_e64 v28, |v26|, |v26|
	s_delay_alu instid0(VALU_DEP_1) | instskip(SKIP_1) | instid1(VALU_DEP_2)
	v_mul_f32_e32 v31, 0x3fb8aa3b, v28
	v_cmp_ngt_f32_e32 vcc_lo, 0xc2ce8ed0, v28
	v_rndne_f32_e32 v32, v31
	v_fma_f32 v33, 0x3fb8aa3b, v28, -v31
	s_delay_alu instid0(VALU_DEP_2) | instskip(NEXT) | instid1(VALU_DEP_2)
	v_sub_f32_e32 v31, v31, v32
	v_fmac_f32_e32 v33, 0x32a5705f, v28
	v_cvt_i32_f32_e32 v32, v32
	s_delay_alu instid0(VALU_DEP_2) | instskip(NEXT) | instid1(VALU_DEP_1)
	v_add_f32_e32 v31, v31, v33
	v_exp_f32_e32 v31, v31
	s_waitcnt_depctr 0xfff
	v_ldexp_f32 v31, v31, v32
	s_delay_alu instid0(VALU_DEP_1) | instskip(SKIP_1) | instid1(VALU_DEP_2)
	v_cndmask_b32_e32 v31, 0, v31, vcc_lo
	v_cmp_nlt_f32_e32 vcc_lo, 0x42b17218, v28
	v_cndmask_b32_e32 v28, 0x7f800000, v31, vcc_lo
	s_delay_alu instid0(VALU_DEP_1) | instskip(NEXT) | instid1(VALU_DEP_1)
	v_add_f32_e32 v28, 1.0, v28
	v_rcp_f32_e32 v28, v28
	s_waitcnt_depctr 0xfff
	v_fma_f32 v28, v28, -2.0, 1.0
.LBB5_11:                               ;   in Loop: Header=BB5_3 Depth=1
	s_and_not1_saveexec_b32 s0, s0
	s_cbranch_execz .LBB5_2
; %bb.12:                               ;   in Loop: Header=BB5_3 Depth=1
	v_mul_f32_e32 v28, v26, v26
	s_delay_alu instid0(VALU_DEP_1) | instskip(NEXT) | instid1(VALU_DEP_1)
	v_fmaak_f32 v31, s61, v28, 0x3ca908c9
	v_fmaak_f32 v31, v28, v31, 0xbd5c1c4e
	s_delay_alu instid0(VALU_DEP_1) | instskip(NEXT) | instid1(VALU_DEP_1)
	v_fmaak_f32 v31, v28, v31, 0x3e088382
	v_fmaak_f32 v31, v28, v31, 0xbeaaaa99
	s_delay_alu instid0(VALU_DEP_1) | instskip(NEXT) | instid1(VALU_DEP_1)
	v_mul_f32_e64 v31, |v26|, v31
	v_fma_f32 v28, v28, v31, |v26|
	s_branch .LBB5_2
.LBB5_13:
	s_nop 0
	s_sendmsg sendmsg(MSG_DEALLOC_VGPRS)
	s_endpgm
	.section	.rodata,"a",@progbits
	.p2align	6, 0x0
	.amdhsa_kernel _ZN2at6native12_GLOBAL__N_16kernel17lstm_cell_forwardIffiLi2EEEvNS_4cuda6detail10TensorInfoIT_T1_EES9_S9_S9_S9_S9_S9_S9_S8_S8_
		.amdhsa_group_segment_fixed_size 0
		.amdhsa_private_segment_fixed_size 0
		.amdhsa_kernarg_size 1992
		.amdhsa_user_sgpr_count 15
		.amdhsa_user_sgpr_dispatch_ptr 0
		.amdhsa_user_sgpr_queue_ptr 0
		.amdhsa_user_sgpr_kernarg_segment_ptr 1
		.amdhsa_user_sgpr_dispatch_id 0
		.amdhsa_user_sgpr_private_segment_size 0
		.amdhsa_wavefront_size32 1
		.amdhsa_uses_dynamic_stack 0
		.amdhsa_enable_private_segment 0
		.amdhsa_system_sgpr_workgroup_id_x 1
		.amdhsa_system_sgpr_workgroup_id_y 0
		.amdhsa_system_sgpr_workgroup_id_z 0
		.amdhsa_system_sgpr_workgroup_info 0
		.amdhsa_system_vgpr_workitem_id 0
		.amdhsa_next_free_vgpr 57
		.amdhsa_next_free_sgpr 62
		.amdhsa_reserve_vcc 1
		.amdhsa_float_round_mode_32 0
		.amdhsa_float_round_mode_16_64 0
		.amdhsa_float_denorm_mode_32 3
		.amdhsa_float_denorm_mode_16_64 3
		.amdhsa_dx10_clamp 1
		.amdhsa_ieee_mode 1
		.amdhsa_fp16_overflow 0
		.amdhsa_workgroup_processor_mode 1
		.amdhsa_memory_ordered 1
		.amdhsa_forward_progress 0
		.amdhsa_shared_vgpr_count 0
		.amdhsa_exception_fp_ieee_invalid_op 0
		.amdhsa_exception_fp_denorm_src 0
		.amdhsa_exception_fp_ieee_div_zero 0
		.amdhsa_exception_fp_ieee_overflow 0
		.amdhsa_exception_fp_ieee_underflow 0
		.amdhsa_exception_fp_ieee_inexact 0
		.amdhsa_exception_int_div_zero 0
	.end_amdhsa_kernel
	.section	.text._ZN2at6native12_GLOBAL__N_16kernel17lstm_cell_forwardIffiLi2EEEvNS_4cuda6detail10TensorInfoIT_T1_EES9_S9_S9_S9_S9_S9_S9_S8_S8_,"axG",@progbits,_ZN2at6native12_GLOBAL__N_16kernel17lstm_cell_forwardIffiLi2EEEvNS_4cuda6detail10TensorInfoIT_T1_EES9_S9_S9_S9_S9_S9_S9_S8_S8_,comdat
.Lfunc_end5:
	.size	_ZN2at6native12_GLOBAL__N_16kernel17lstm_cell_forwardIffiLi2EEEvNS_4cuda6detail10TensorInfoIT_T1_EES9_S9_S9_S9_S9_S9_S9_S8_S8_, .Lfunc_end5-_ZN2at6native12_GLOBAL__N_16kernel17lstm_cell_forwardIffiLi2EEEvNS_4cuda6detail10TensorInfoIT_T1_EES9_S9_S9_S9_S9_S9_S9_S8_S8_
                                        ; -- End function
	.section	.AMDGPU.csdata,"",@progbits
; Kernel info:
; codeLenInByte = 4860
; NumSgprs: 64
; NumVgprs: 57
; ScratchSize: 0
; MemoryBound: 0
; FloatMode: 240
; IeeeMode: 1
; LDSByteSize: 0 bytes/workgroup (compile time only)
; SGPRBlocks: 7
; VGPRBlocks: 7
; NumSGPRsForWavesPerEU: 64
; NumVGPRsForWavesPerEU: 57
; Occupancy: 16
; WaveLimiterHint : 1
; COMPUTE_PGM_RSRC2:SCRATCH_EN: 0
; COMPUTE_PGM_RSRC2:USER_SGPR: 15
; COMPUTE_PGM_RSRC2:TRAP_HANDLER: 0
; COMPUTE_PGM_RSRC2:TGID_X_EN: 1
; COMPUTE_PGM_RSRC2:TGID_Y_EN: 0
; COMPUTE_PGM_RSRC2:TGID_Z_EN: 0
; COMPUTE_PGM_RSRC2:TIDIG_COMP_CNT: 0
	.section	.text._ZN2at6native12_GLOBAL__N_16kernel17lstm_cell_forwardIfflLi1EEEvNS_4cuda6detail10TensorInfoIT_T1_EES9_S9_S9_S9_S9_S9_S9_S8_S8_,"axG",@progbits,_ZN2at6native12_GLOBAL__N_16kernel17lstm_cell_forwardIfflLi1EEEvNS_4cuda6detail10TensorInfoIT_T1_EES9_S9_S9_S9_S9_S9_S9_S8_S8_,comdat
	.globl	_ZN2at6native12_GLOBAL__N_16kernel17lstm_cell_forwardIfflLi1EEEvNS_4cuda6detail10TensorInfoIT_T1_EES9_S9_S9_S9_S9_S9_S9_S8_S8_ ; -- Begin function _ZN2at6native12_GLOBAL__N_16kernel17lstm_cell_forwardIfflLi1EEEvNS_4cuda6detail10TensorInfoIT_T1_EES9_S9_S9_S9_S9_S9_S9_S8_S8_
	.p2align	8
	.type	_ZN2at6native12_GLOBAL__N_16kernel17lstm_cell_forwardIfflLi1EEEvNS_4cuda6detail10TensorInfoIT_T1_EES9_S9_S9_S9_S9_S9_S9_S8_S8_,@function
_ZN2at6native12_GLOBAL__N_16kernel17lstm_cell_forwardIfflLi1EEEvNS_4cuda6detail10TensorInfoIT_T1_EES9_S9_S9_S9_S9_S9_S9_S8_S8_: ; @_ZN2at6native12_GLOBAL__N_16kernel17lstm_cell_forwardIfflLi1EEEvNS_4cuda6detail10TensorInfoIT_T1_EES9_S9_S9_S9_S9_S9_S9_S8_S8_
; %bb.0:
	s_clause 0x1
	s_load_b32 s2, s[0:1], 0xd1c
	s_load_b128 s[4:7], s[0:1], 0xd00
	v_mov_b32_e32 v1, 0
	s_add_u32 s8, s0, 0xd10
	s_addc_u32 s9, s1, 0
	s_waitcnt lgkmcnt(0)
	s_and_b32 s26, s2, 0xffff
	s_mov_b32 s2, exec_lo
	v_mad_u64_u32 v[3:4], null, s15, s26, v[0:1]
	v_mov_b32_e32 v4, v1
	s_delay_alu instid0(VALU_DEP_1)
	v_cmpx_gt_i64_e64 s[6:7], v[3:4]
	s_cbranch_execz .LBB6_17
; %bb.1:
	s_clause 0x2
	s_load_b64 s[2:3], s[0:1], 0x340
	s_load_b64 s[28:29], s[0:1], 0x750
	;; [unrolled: 1-line block ×3, first 2 shown]
	s_load_b32 s27, s[8:9], 0x0
	s_clause 0xc
	s_load_b64 s[8:9], s[0:1], 0x0
	s_load_b64 s[10:11], s[0:1], 0xd0
	;; [unrolled: 1-line block ×13, first 2 shown]
	v_cvt_f32_u32_e32 v11, s4
	s_mul_i32 s0, s5, 3
	s_mul_hi_u32 s1, s4, 3
	s_waitcnt lgkmcnt(0)
	s_cmp_lg_u64 s[2:3], 0
	v_mul_lo_u32 v0, 0, s28
	v_mul_lo_u32 v2, v3, s29
	v_mad_u64_u32 v[5:6], null, v3, s28, 0
	s_mul_i32 s38, s27, s26
	s_cselect_b32 s33, -1, 0
	s_add_i32 s40, s1, s0
	s_mul_i32 s0, s38, s29
	v_mad_u64_u32 v[7:8], null, v3, s46, 0
	s_delay_alu instid0(VALU_DEP_2) | instskip(SKIP_3) | instid1(VALU_DEP_4)
	v_add3_u32 v6, v6, v2, v0
	v_mul_lo_u32 v0, 0, s46
	v_mul_lo_u32 v2, v3, s47
	v_mad_u64_u32 v[9:10], null, v3, s30, 0
	v_lshlrev_b64 v[5:6], 2, v[5:6]
	s_mul_hi_u32 s1, s38, s28
	s_sub_u32 s42, 0, s4
	s_subb_u32 s43, 0, s5
	s_add_i32 s1, s1, s0
	s_delay_alu instid0(VALU_DEP_3) | instskip(SKIP_3) | instid1(VALU_DEP_4)
	v_add3_u32 v8, v8, v2, v0
	v_mul_lo_u32 v0, 0, s30
	v_mul_lo_u32 v2, v3, s31
	v_add_co_u32 v5, vcc_lo, s36, v5
	v_lshlrev_b64 v[7:8], 2, v[7:8]
	s_mul_i32 s0, s38, s28
	v_add_co_ci_u32_e32 v6, vcc_lo, s37, v6, vcc_lo
	s_lshl_b64 s[26:27], s[0:1], 2
	s_delay_alu instid0(VALU_DEP_4)
	v_add3_u32 v10, v10, v2, v0
	v_rcp_iflag_f32_e32 v0, v11
	s_mul_i32 s0, s38, s47
	s_mul_hi_u32 s1, s38, s46
	v_add_co_u32 v7, vcc_lo, s44, v7
	v_lshlrev_b64 v[9:10], 2, v[9:10]
	v_add_co_ci_u32_e32 v8, vcc_lo, s45, v8, vcc_lo
	s_add_i32 s1, s1, s0
	s_mul_i32 s0, s38, s46
	s_waitcnt_depctr 0xfff
	v_mul_f32_e32 v0, 0x4f7ffffe, v0
	v_add_co_u32 v9, vcc_lo, s34, v9
	s_lshl_b64 s[28:29], s[0:1], 2
	s_mul_i32 s0, s38, s31
	s_mul_hi_u32 s1, s38, s30
	v_add_co_ci_u32_e32 v10, vcc_lo, s35, v10, vcc_lo
	v_cvt_u32_f32_e32 v0, v0
	s_add_i32 s1, s1, s0
	s_mul_i32 s0, s38, s30
	s_mov_b32 s39, 0
	s_mul_i32 s41, s4, 3
	s_lshl_b64 s[30:31], s[0:1], 2
	s_ashr_i32 s34, s5, 31
	s_mov_b32 s44, 0xbbbac73d
	s_branch .LBB6_3
.LBB6_2:                                ;   in Loop: Header=BB6_3 Depth=1
	s_or_b32 exec_lo, exec_lo, s0
	v_add_f32_e32 v20, v20, v21
	v_mul_lo_u32 v29, v11, s25
	v_mul_lo_u32 v31, v12, s25
	;; [unrolled: 1-line block ×4, first 2 shown]
	v_add_f32_e32 v20, v20, v27
	v_mul_lo_u32 v34, v13, s25
	v_mul_lo_u32 v2, v2, s24
	v_mul_lo_u32 v19, v19, s24
	v_mul_lo_u32 v16, v16, s24
	v_add_f32_e32 v20, v28, v20
	v_bfi_b32 v36, 0x7fffffff, v22, v24
	v_add_co_u32 v3, s0, v3, s38
	s_delay_alu instid0(VALU_DEP_1) | instskip(NEXT) | instid1(VALU_DEP_4)
	v_add_co_ci_u32_e64 v4, s0, 0, v4, s0
	v_mul_f32_e32 v21, 0xbfb8aa3b, v20
	v_cmp_nlt_f32_e32 vcc_lo, 0x42ce8ed0, v20
	v_add_co_u32 v5, s0, v5, s26
	s_delay_alu instid0(VALU_DEP_1) | instskip(NEXT) | instid1(VALU_DEP_4)
	v_add_co_ci_u32_e64 v6, s0, s27, v6, s0
	v_fma_f32 v25, 0xbfb8aa3b, v20, -v21
	v_rndne_f32_e32 v26, v21
	v_cmp_le_i64_e64 s0, s[6:7], v[3:4]
	s_delay_alu instid0(VALU_DEP_3) | instskip(NEXT) | instid1(VALU_DEP_3)
	v_fmac_f32_e32 v25, 0xb2a5705f, v20
	v_sub_f32_e32 v21, v21, v26
	s_delay_alu instid0(VALU_DEP_3) | instskip(NEXT) | instid1(VALU_DEP_1)
	s_or_b32 s39, s0, s39
	v_add_f32_e32 v21, v21, v25
	v_cvt_i32_f32_e32 v25, v26
	s_delay_alu instid0(VALU_DEP_2) | instskip(SKIP_3) | instid1(VALU_DEP_2)
	v_exp_f32_e32 v21, v21
	s_waitcnt_depctr 0xfff
	v_ldexp_f32 v21, v21, v25
	v_mad_u64_u32 v[25:26], null, v12, s24, 0
	v_cndmask_b32_e32 v21, 0, v21, vcc_lo
	v_cmp_ngt_f32_e32 vcc_lo, 0xc2b17218, v20
	s_delay_alu instid0(VALU_DEP_3) | instskip(NEXT) | instid1(VALU_DEP_3)
	v_add3_u32 v26, v26, v31, v19
	v_cndmask_b32_e32 v20, 0x7f800000, v21, vcc_lo
	s_delay_alu instid0(VALU_DEP_1) | instskip(SKIP_2) | instid1(VALU_DEP_3)
	v_add_f32_e32 v27, 1.0, v20
	v_mad_u64_u32 v[20:21], null, v11, s24, 0
	v_mad_u64_u32 v[11:12], null, v15, s24, 0
	v_div_scale_f32 v28, null, v27, v27, 1.0
	v_div_scale_f32 v37, vcc_lo, 1.0, v27, 1.0
	v_mad_u64_u32 v[14:15], null, v13, s24, 0
	s_delay_alu instid0(VALU_DEP_3) | instskip(SKIP_2) | instid1(VALU_DEP_2)
	v_rcp_f32_e32 v30, v28
	v_add3_u32 v21, v21, v29, v2
	v_add3_u32 v12, v12, v32, v16
	v_lshlrev_b64 v[19:20], 2, v[20:21]
	v_lshlrev_b64 v[21:22], 2, v[25:26]
	v_add3_u32 v15, v15, v34, v33
	s_delay_alu instid0(VALU_DEP_4) | instskip(NEXT) | instid1(TRANS32_DEP_1)
	v_lshlrev_b64 v[11:12], 2, v[11:12]
	v_fma_f32 v35, -v28, v30, 1.0
	s_delay_alu instid0(VALU_DEP_1) | instskip(NEXT) | instid1(VALU_DEP_1)
	v_fmac_f32_e32 v30, v35, v30
	v_mul_f32_e32 v35, v37, v30
	s_delay_alu instid0(VALU_DEP_1) | instskip(NEXT) | instid1(VALU_DEP_1)
	v_fma_f32 v13, -v28, v35, v37
	v_fmac_f32_e32 v35, v13, v30
	v_lshlrev_b64 v[13:14], 2, v[14:15]
	v_add_co_u32 v15, s1, s22, v19
	s_delay_alu instid0(VALU_DEP_1) | instskip(NEXT) | instid1(VALU_DEP_4)
	v_add_co_ci_u32_e64 v16, s1, s23, v20, s1
	v_fma_f32 v2, -v28, v35, v37
	s_delay_alu instid0(VALU_DEP_1) | instskip(SKIP_2) | instid1(VALU_DEP_3)
	v_div_fmas_f32 v2, v2, v30, v35
	v_add_co_u32 v19, vcc_lo, s22, v21
	v_add_co_ci_u32_e32 v20, vcc_lo, s23, v22, vcc_lo
	v_div_fixup_f32 v2, v2, v27, 1.0
	v_add_co_u32 v11, vcc_lo, s22, v11
	v_add_co_ci_u32_e32 v12, vcc_lo, s23, v12, vcc_lo
	s_delay_alu instid0(VALU_DEP_3)
	v_mul_f32_e32 v21, v2, v36
	v_add_co_u32 v13, vcc_lo, s22, v13
	v_add_co_ci_u32_e32 v14, vcc_lo, s23, v14, vcc_lo
	global_store_b32 v[7:8], v21, off
	global_store_b32 v[9:10], v24, off
	global_store_b32 v[15:16], v23, off
	v_add_co_u32 v7, vcc_lo, v7, s28
	v_add_co_ci_u32_e32 v8, vcc_lo, s29, v8, vcc_lo
	v_add_co_u32 v9, vcc_lo, v9, s30
	v_add_co_ci_u32_e32 v10, vcc_lo, s31, v10, vcc_lo
	s_clause 0x2
	global_store_b32 v[19:20], v18, off
	global_store_b32 v[11:12], v17, off
	;; [unrolled: 1-line block ×3, first 2 shown]
	s_and_not1_b32 exec_lo, exec_lo, s39
	s_cbranch_execz .LBB6_17
.LBB6_3:                                ; =>This Inner Loop Header: Depth=1
	v_or_b32_e32 v2, s5, v4
                                        ; implicit-def: $vgpr17_vgpr18
	s_mov_b32 s0, exec_lo
	s_delay_alu instid0(VALU_DEP_1)
	v_cmpx_ne_u64_e32 0, v[1:2]
	s_xor_b32 s1, exec_lo, s0
	s_cbranch_execz .LBB6_5
; %bb.4:                                ;   in Loop: Header=BB6_3 Depth=1
	s_add_u32 s36, s4, s34
	s_mov_b32 s35, s34
	s_addc_u32 s37, s5, s34
	s_delay_alu instid0(SALU_CYCLE_1) | instskip(NEXT) | instid1(SALU_CYCLE_1)
	s_xor_b64 s[36:37], s[36:37], s[34:35]
	v_cvt_f32_u32_e32 v2, s36
	v_cvt_f32_u32_e32 v11, s37
	s_sub_u32 s0, 0, s36
	s_subb_u32 s35, 0, s37
	s_delay_alu instid0(VALU_DEP_1) | instskip(NEXT) | instid1(VALU_DEP_1)
	v_fmac_f32_e32 v2, 0x4f800000, v11
	v_rcp_f32_e32 v2, v2
	s_waitcnt_depctr 0xfff
	v_mul_f32_e32 v2, 0x5f7ffffc, v2
	s_delay_alu instid0(VALU_DEP_1) | instskip(NEXT) | instid1(VALU_DEP_1)
	v_mul_f32_e32 v11, 0x2f800000, v2
	v_trunc_f32_e32 v11, v11
	s_delay_alu instid0(VALU_DEP_1) | instskip(SKIP_1) | instid1(VALU_DEP_2)
	v_fmac_f32_e32 v2, 0xcf800000, v11
	v_cvt_u32_f32_e32 v11, v11
	v_cvt_u32_f32_e32 v2, v2
	s_delay_alu instid0(VALU_DEP_2) | instskip(NEXT) | instid1(VALU_DEP_2)
	v_mul_lo_u32 v12, s0, v11
	v_mul_hi_u32 v13, s0, v2
	v_mul_lo_u32 v14, s35, v2
	s_delay_alu instid0(VALU_DEP_2) | instskip(SKIP_1) | instid1(VALU_DEP_2)
	v_add_nc_u32_e32 v12, v13, v12
	v_mul_lo_u32 v13, s0, v2
	v_add_nc_u32_e32 v12, v12, v14
	s_delay_alu instid0(VALU_DEP_2) | instskip(NEXT) | instid1(VALU_DEP_2)
	v_mul_hi_u32 v14, v2, v13
	v_mul_lo_u32 v15, v2, v12
	v_mul_hi_u32 v16, v2, v12
	v_mul_hi_u32 v17, v11, v13
	v_mul_lo_u32 v13, v11, v13
	v_mul_hi_u32 v18, v11, v12
	v_mul_lo_u32 v12, v11, v12
	v_add_co_u32 v14, vcc_lo, v14, v15
	v_add_co_ci_u32_e32 v15, vcc_lo, 0, v16, vcc_lo
	s_delay_alu instid0(VALU_DEP_2) | instskip(NEXT) | instid1(VALU_DEP_2)
	v_add_co_u32 v13, vcc_lo, v14, v13
	v_add_co_ci_u32_e32 v13, vcc_lo, v15, v17, vcc_lo
	v_add_co_ci_u32_e32 v14, vcc_lo, 0, v18, vcc_lo
	v_ashrrev_i32_e32 v17, 31, v4
	s_delay_alu instid0(VALU_DEP_3) | instskip(NEXT) | instid1(VALU_DEP_3)
	v_add_co_u32 v12, vcc_lo, v13, v12
	v_add_co_ci_u32_e32 v13, vcc_lo, 0, v14, vcc_lo
	s_delay_alu instid0(VALU_DEP_2) | instskip(NEXT) | instid1(VALU_DEP_2)
	v_add_co_u32 v2, vcc_lo, v2, v12
	v_add_co_ci_u32_e32 v11, vcc_lo, v11, v13, vcc_lo
	s_delay_alu instid0(VALU_DEP_2) | instskip(SKIP_1) | instid1(VALU_DEP_3)
	v_mul_hi_u32 v12, s0, v2
	v_mul_lo_u32 v14, s35, v2
	v_mul_lo_u32 v13, s0, v11
	s_delay_alu instid0(VALU_DEP_1) | instskip(SKIP_1) | instid1(VALU_DEP_2)
	v_add_nc_u32_e32 v12, v12, v13
	v_mul_lo_u32 v13, s0, v2
	v_add_nc_u32_e32 v12, v12, v14
	s_delay_alu instid0(VALU_DEP_2) | instskip(NEXT) | instid1(VALU_DEP_2)
	v_mul_hi_u32 v14, v2, v13
	v_mul_lo_u32 v15, v2, v12
	v_mul_hi_u32 v16, v2, v12
	v_mul_hi_u32 v18, v11, v13
	v_mul_lo_u32 v13, v11, v13
	v_mul_hi_u32 v19, v11, v12
	v_mul_lo_u32 v12, v11, v12
	v_add_co_u32 v14, vcc_lo, v14, v15
	v_add_co_ci_u32_e32 v15, vcc_lo, 0, v16, vcc_lo
	s_delay_alu instid0(VALU_DEP_2) | instskip(NEXT) | instid1(VALU_DEP_2)
	v_add_co_u32 v13, vcc_lo, v14, v13
	v_add_co_ci_u32_e32 v13, vcc_lo, v15, v18, vcc_lo
	v_add_co_ci_u32_e32 v14, vcc_lo, 0, v19, vcc_lo
	v_add_co_u32 v15, vcc_lo, v3, v17
	v_add_co_ci_u32_e32 v16, vcc_lo, v4, v17, vcc_lo
	s_delay_alu instid0(VALU_DEP_4) | instskip(NEXT) | instid1(VALU_DEP_4)
	v_add_co_u32 v12, vcc_lo, v13, v12
	v_add_co_ci_u32_e32 v13, vcc_lo, 0, v14, vcc_lo
	s_delay_alu instid0(VALU_DEP_4) | instskip(NEXT) | instid1(VALU_DEP_3)
	v_xor_b32_e32 v18, v15, v17
	v_add_co_u32 v2, vcc_lo, v2, v12
	s_delay_alu instid0(VALU_DEP_3) | instskip(SKIP_1) | instid1(VALU_DEP_3)
	v_add_co_ci_u32_e32 v19, vcc_lo, v11, v13, vcc_lo
	v_xor_b32_e32 v20, v16, v17
	v_mul_hi_u32 v21, v18, v2
	s_delay_alu instid0(VALU_DEP_3) | instskip(NEXT) | instid1(VALU_DEP_3)
	v_mad_u64_u32 v[11:12], null, v18, v19, 0
	v_mad_u64_u32 v[13:14], null, v20, v2, 0
	;; [unrolled: 1-line block ×3, first 2 shown]
	s_delay_alu instid0(VALU_DEP_3) | instskip(NEXT) | instid1(VALU_DEP_4)
	v_add_co_u32 v2, vcc_lo, v21, v11
	v_add_co_ci_u32_e32 v11, vcc_lo, 0, v12, vcc_lo
	s_delay_alu instid0(VALU_DEP_2) | instskip(NEXT) | instid1(VALU_DEP_2)
	v_add_co_u32 v2, vcc_lo, v2, v13
	v_add_co_ci_u32_e32 v2, vcc_lo, v11, v14, vcc_lo
	v_add_co_ci_u32_e32 v11, vcc_lo, 0, v16, vcc_lo
	s_delay_alu instid0(VALU_DEP_2) | instskip(NEXT) | instid1(VALU_DEP_2)
	v_add_co_u32 v2, vcc_lo, v2, v15
	v_add_co_ci_u32_e32 v13, vcc_lo, 0, v11, vcc_lo
	s_delay_alu instid0(VALU_DEP_2) | instskip(SKIP_1) | instid1(VALU_DEP_3)
	v_mul_lo_u32 v14, s37, v2
	v_mad_u64_u32 v[11:12], null, s36, v2, 0
	v_mul_lo_u32 v15, s36, v13
	s_delay_alu instid0(VALU_DEP_2) | instskip(NEXT) | instid1(VALU_DEP_2)
	v_sub_co_u32 v11, vcc_lo, v18, v11
	v_add3_u32 v12, v12, v15, v14
	s_delay_alu instid0(VALU_DEP_1) | instskip(NEXT) | instid1(VALU_DEP_1)
	v_sub_nc_u32_e32 v14, v20, v12
	v_subrev_co_ci_u32_e64 v14, s0, s37, v14, vcc_lo
	v_add_co_u32 v15, s0, v2, 2
	s_delay_alu instid0(VALU_DEP_1) | instskip(SKIP_3) | instid1(VALU_DEP_3)
	v_add_co_ci_u32_e64 v16, s0, 0, v13, s0
	v_sub_co_u32 v18, s0, v11, s36
	v_sub_co_ci_u32_e32 v12, vcc_lo, v20, v12, vcc_lo
	v_subrev_co_ci_u32_e64 v14, s0, 0, v14, s0
	v_cmp_le_u32_e32 vcc_lo, s36, v18
	s_delay_alu instid0(VALU_DEP_3) | instskip(SKIP_1) | instid1(VALU_DEP_4)
	v_cmp_eq_u32_e64 s0, s37, v12
	v_cndmask_b32_e64 v18, 0, -1, vcc_lo
	v_cmp_le_u32_e32 vcc_lo, s37, v14
	v_cndmask_b32_e64 v19, 0, -1, vcc_lo
	v_cmp_le_u32_e32 vcc_lo, s36, v11
	;; [unrolled: 2-line block ×3, first 2 shown]
	v_cndmask_b32_e64 v20, 0, -1, vcc_lo
	v_cmp_eq_u32_e32 vcc_lo, s37, v14
	s_delay_alu instid0(VALU_DEP_2) | instskip(SKIP_3) | instid1(VALU_DEP_3)
	v_cndmask_b32_e64 v11, v20, v11, s0
	v_cndmask_b32_e32 v14, v19, v18, vcc_lo
	v_add_co_u32 v18, vcc_lo, v2, 1
	v_add_co_ci_u32_e32 v19, vcc_lo, 0, v13, vcc_lo
	v_cmp_ne_u32_e32 vcc_lo, 0, v14
	s_delay_alu instid0(VALU_DEP_2) | instskip(NEXT) | instid1(VALU_DEP_4)
	v_cndmask_b32_e32 v12, v19, v16, vcc_lo
	v_cndmask_b32_e32 v14, v18, v15, vcc_lo
	v_cmp_ne_u32_e32 vcc_lo, 0, v11
	v_xor_b32_e32 v11, s34, v17
	s_delay_alu instid0(VALU_DEP_3) | instskip(SKIP_1) | instid1(VALU_DEP_2)
	v_cndmask_b32_e32 v2, v2, v14, vcc_lo
	v_cndmask_b32_e32 v12, v13, v12, vcc_lo
	v_xor_b32_e32 v2, v2, v11
	s_delay_alu instid0(VALU_DEP_2) | instskip(NEXT) | instid1(VALU_DEP_2)
	v_xor_b32_e32 v12, v12, v11
	v_sub_co_u32 v17, vcc_lo, v2, v11
	s_delay_alu instid0(VALU_DEP_2)
	v_sub_co_ci_u32_e32 v18, vcc_lo, v12, v11, vcc_lo
.LBB6_5:                                ;   in Loop: Header=BB6_3 Depth=1
	s_and_not1_saveexec_b32 s0, s1
	s_cbranch_execz .LBB6_7
; %bb.6:                                ;   in Loop: Header=BB6_3 Depth=1
	s_sub_i32 s1, 0, s4
	v_mov_b32_e32 v18, v1
	v_mul_lo_u32 v2, s1, v0
	s_delay_alu instid0(VALU_DEP_1) | instskip(NEXT) | instid1(VALU_DEP_1)
	v_mul_hi_u32 v2, v0, v2
	v_add_nc_u32_e32 v2, v0, v2
	s_delay_alu instid0(VALU_DEP_1) | instskip(NEXT) | instid1(VALU_DEP_1)
	v_mul_hi_u32 v2, v3, v2
	v_mul_lo_u32 v11, v2, s4
	v_add_nc_u32_e32 v12, 1, v2
	s_delay_alu instid0(VALU_DEP_2) | instskip(NEXT) | instid1(VALU_DEP_1)
	v_sub_nc_u32_e32 v11, v3, v11
	v_subrev_nc_u32_e32 v13, s4, v11
	v_cmp_le_u32_e32 vcc_lo, s4, v11
	s_delay_alu instid0(VALU_DEP_2) | instskip(NEXT) | instid1(VALU_DEP_1)
	v_dual_cndmask_b32 v11, v11, v13 :: v_dual_cndmask_b32 v2, v2, v12
	v_cmp_le_u32_e32 vcc_lo, s4, v11
	s_delay_alu instid0(VALU_DEP_2) | instskip(NEXT) | instid1(VALU_DEP_1)
	v_add_nc_u32_e32 v12, 1, v2
	v_cndmask_b32_e32 v17, v2, v12, vcc_lo
.LBB6_7:                                ;   in Loop: Header=BB6_3 Depth=1
	s_or_b32 exec_lo, exec_lo, s0
	s_delay_alu instid0(VALU_DEP_1) | instskip(SKIP_3) | instid1(VALU_DEP_4)
	v_mad_u64_u32 v[14:15], null, v17, 3, 0
	v_mad_u64_u32 v[11:12], null, s41, v17, v[3:4]
	v_mul_lo_u32 v2, s41, v18
	v_mul_lo_u32 v16, s40, v17
	v_mov_b32_e32 v13, v15
	s_delay_alu instid0(VALU_DEP_4) | instskip(SKIP_1) | instid1(VALU_DEP_4)
	v_mad_u64_u32 v[20:21], null, v11, s10, 0
	v_mul_lo_u32 v34, v11, s15
	v_add3_u32 v2, v16, v12, v2
	s_delay_alu instid0(VALU_DEP_4) | instskip(SKIP_1) | instid1(VALU_DEP_3)
	v_mad_u64_u32 v[15:16], null, v18, 3, v[13:14]
	v_mul_lo_u32 v12, v11, s11
	v_mul_lo_u32 v13, v2, s10
	;; [unrolled: 1-line block ×3, first 2 shown]
	s_delay_alu instid0(VALU_DEP_4) | instskip(SKIP_1) | instid1(VALU_DEP_4)
	v_mov_b32_e32 v19, v15
	v_add_co_u32 v15, vcc_lo, v14, 1
	v_add3_u32 v21, v21, v12, v13
	s_delay_alu instid0(VALU_DEP_3)
	v_add_co_ci_u32_e32 v16, vcc_lo, 0, v19, vcc_lo
	v_add_co_u32 v23, vcc_lo, v14, 2
	v_add_co_ci_u32_e32 v24, vcc_lo, 0, v19, vcc_lo
	v_mul_lo_u32 v22, s5, v15
	v_mad_u64_u32 v[12:13], null, s4, v15, v[3:4]
	v_mul_lo_u32 v26, s4, v16
	v_mul_lo_u32 v25, s5, v23
	v_mad_u64_u32 v[15:16], null, s4, v23, v[3:4]
	v_mul_lo_u32 v23, s4, v24
	v_add_co_u32 v27, vcc_lo, v14, 3
	v_add_co_ci_u32_e32 v24, vcc_lo, 0, v19, vcc_lo
	v_add3_u32 v19, v22, v13, v26
	s_delay_alu instid0(VALU_DEP_3) | instskip(SKIP_1) | instid1(VALU_DEP_4)
	v_mul_lo_u32 v28, s5, v27
	v_mad_u64_u32 v[13:14], null, s4, v27, v[3:4]
	v_mul_lo_u32 v26, s4, v24
	v_add3_u32 v16, v25, v16, v23
	v_mul_lo_u32 v27, v12, s11
	v_mul_lo_u32 v29, v19, s10
	v_mad_u64_u32 v[22:23], null, v12, s10, 0
	v_mul_lo_u32 v30, v15, s11
	v_mad_u64_u32 v[24:25], null, v15, s10, 0
	v_mul_lo_u32 v31, v16, s10
	v_add3_u32 v14, v28, v14, v26
	v_lshlrev_b64 v[20:21], 2, v[20:21]
	v_add3_u32 v23, v23, v27, v29
	v_mul_lo_u32 v28, v13, s11
	v_mad_u64_u32 v[26:27], null, v13, s10, 0
	v_mul_lo_u32 v29, v14, s10
	v_add3_u32 v25, v25, v30, v31
	v_lshlrev_b64 v[22:23], 2, v[22:23]
	v_add_co_u32 v20, vcc_lo, s8, v20
	v_add_co_ci_u32_e32 v21, vcc_lo, s9, v21, vcc_lo
	s_delay_alu instid0(VALU_DEP_4) | instskip(NEXT) | instid1(VALU_DEP_4)
	v_lshlrev_b64 v[24:25], 2, v[24:25]
	v_add_co_u32 v22, vcc_lo, s8, v22
	v_add3_u32 v27, v27, v28, v29
	v_add_co_ci_u32_e32 v23, vcc_lo, s9, v23, vcc_lo
	s_delay_alu instid0(VALU_DEP_4) | instskip(SKIP_1) | instid1(VALU_DEP_4)
	v_add_co_u32 v28, vcc_lo, s8, v24
	v_add_co_ci_u32_e32 v29, vcc_lo, s9, v25, vcc_lo
	v_lshlrev_b64 v[24:25], 2, v[26:27]
	v_mad_u64_u32 v[26:27], null, v11, s14, 0
	v_mul_lo_u32 v36, v19, s14
	v_mul_lo_u32 v37, v12, s15
	v_mad_u64_u32 v[30:31], null, v12, s14, 0
	v_add_co_u32 v32, vcc_lo, s8, v24
	v_add_co_ci_u32_e32 v33, vcc_lo, s9, v25, vcc_lo
	v_mul_lo_u32 v38, v16, s14
	v_mul_lo_u32 v39, v15, s15
	v_mad_u64_u32 v[24:25], null, v15, s14, 0
	v_add3_u32 v27, v27, v34, v35
	v_add3_u32 v31, v31, v37, v36
	v_mul_lo_u32 v36, v14, s14
	v_mul_lo_u32 v37, v13, s15
	v_mad_u64_u32 v[34:35], null, v13, s14, 0
	v_lshlrev_b64 v[26:27], 2, v[26:27]
	v_add3_u32 v25, v25, v39, v38
	v_lshlrev_b64 v[30:31], 2, v[30:31]
	s_delay_alu instid0(VALU_DEP_4) | instskip(NEXT) | instid1(VALU_DEP_4)
	v_add3_u32 v35, v35, v37, v36
	v_add_co_u32 v26, vcc_lo, s12, v26
	s_delay_alu instid0(VALU_DEP_4)
	v_lshlrev_b64 v[24:25], 2, v[24:25]
	v_add_co_ci_u32_e32 v27, vcc_lo, s13, v27, vcc_lo
	v_add_co_u32 v30, vcc_lo, s12, v30
	v_lshlrev_b64 v[34:35], 2, v[34:35]
	v_add_co_ci_u32_e32 v31, vcc_lo, s13, v31, vcc_lo
	v_add_co_u32 v36, vcc_lo, s12, v24
	v_add_co_ci_u32_e32 v37, vcc_lo, s13, v25, vcc_lo
	s_delay_alu instid0(VALU_DEP_4)
	v_add_co_u32 v34, vcc_lo, s12, v34
	v_add_co_ci_u32_e32 v35, vcc_lo, s13, v35, vcc_lo
	s_clause 0x3
	global_load_b32 v25, v[20:21], off
	global_load_b32 v23, v[22:23], off
	;; [unrolled: 1-line block ×4, first 2 shown]
	s_clause 0x3
	global_load_b32 v26, v[26:27], off
	global_load_b32 v24, v[30:31], off
	;; [unrolled: 1-line block ×5, first 2 shown]
	v_dual_mov_b32 v32, 0 :: v_dual_mov_b32 v31, 0
	v_dual_mov_b32 v36, 0 :: v_dual_mov_b32 v35, 0
	v_mov_b32_e32 v34, 0
	v_dual_mov_b32 v28, 0 :: v_dual_mov_b32 v27, 0
	v_mov_b32_e32 v33, 0
	s_and_not1_b32 vcc_lo, exec_lo, s33
	s_cbranch_vccnz .LBB6_9
; %bb.8:                                ;   in Loop: Header=BB6_3 Depth=1
	v_sub_co_u32 v33, vcc_lo, 1, v17
	v_sub_co_ci_u32_e32 v31, vcc_lo, 0, v18, vcc_lo
	v_mad_u64_u32 v[27:28], null, s42, v17, v[3:4]
	s_delay_alu instid0(VALU_DEP_3) | instskip(NEXT) | instid1(VALU_DEP_3)
	v_mul_lo_u32 v37, s5, v33
	v_mul_lo_u32 v36, s4, v31
	v_mad_u64_u32 v[31:32], null, s4, v33, v[3:4]
	v_mul_lo_u32 v34, s42, v18
	v_mul_lo_u32 v35, s43, v17
	;; [unrolled: 1-line block ×3, first 2 shown]
	s_delay_alu instid0(VALU_DEP_4) | instskip(SKIP_1) | instid1(VALU_DEP_4)
	v_add3_u32 v42, v37, v32, v36
	v_sub_co_u32 v36, vcc_lo, 2, v17
	v_add3_u32 v28, v35, v28, v34
	v_sub_co_ci_u32_e32 v34, vcc_lo, 0, v18, vcc_lo
	s_delay_alu instid0(VALU_DEP_3) | instskip(SKIP_1) | instid1(VALU_DEP_3)
	v_mul_lo_u32 v38, s5, v36
	v_sub_co_u32 v43, vcc_lo, 3, v17
	v_mul_lo_u32 v37, s4, v34
	v_mad_u64_u32 v[34:35], null, s4, v36, v[3:4]
	v_sub_co_ci_u32_e32 v36, vcc_lo, 0, v18, vcc_lo
	v_mul_lo_u32 v41, v42, s16
	v_mul_lo_u32 v44, v31, s17
	v_mad_u64_u32 v[17:18], null, v31, s16, 0
	v_add3_u32 v45, v38, v35, v37
	v_mul_lo_u32 v46, s4, v36
	v_mul_lo_u32 v47, s5, v43
	v_mad_u64_u32 v[35:36], null, s4, v43, v[3:4]
	v_mul_lo_u32 v40, v28, s16
	v_mad_u64_u32 v[32:33], null, v27, s16, 0
	v_mul_lo_u32 v43, v45, s16
	v_mul_lo_u32 v48, v34, s17
	v_mad_u64_u32 v[37:38], null, v34, s16, 0
	v_add3_u32 v18, v18, v44, v41
	v_add3_u32 v44, v47, v36, v46
	;; [unrolled: 1-line block ×3, first 2 shown]
	v_mad_u64_u32 v[39:40], null, v35, s16, 0
	v_mul_lo_u32 v46, v28, s20
	v_add3_u32 v38, v38, v48, v43
	v_mul_lo_u32 v41, v44, s16
	v_mul_lo_u32 v43, v35, s17
	v_lshlrev_b64 v[32:33], 2, v[32:33]
	v_mul_lo_u32 v47, v42, s20
	v_lshlrev_b64 v[36:37], 2, v[37:38]
	;; [unrolled: 2-line block ×3, first 2 shown]
	v_add_co_u32 v32, vcc_lo, s2, v32
	v_add3_u32 v40, v40, v43, v41
	v_mul_lo_u32 v43, v27, s21
	v_add_co_ci_u32_e32 v33, vcc_lo, s3, v33, vcc_lo
	v_add_co_u32 v17, vcc_lo, s2, v17
	s_delay_alu instid0(VALU_DEP_4)
	v_lshlrev_b64 v[38:39], 2, v[39:40]
	v_mad_u64_u32 v[40:41], null, v27, s20, 0
	v_mad_u64_u32 v[27:28], null, v31, s20, 0
	v_mul_lo_u32 v31, v45, s20
	v_add_co_ci_u32_e32 v18, vcc_lo, s3, v18, vcc_lo
	v_add_co_u32 v36, vcc_lo, s2, v36
	v_add3_u32 v41, v41, v43, v46
	v_mul_lo_u32 v46, v34, s21
	v_mad_u64_u32 v[42:43], null, v34, s20, 0
	v_add3_u32 v28, v28, v48, v47
	v_mul_lo_u32 v47, v44, s20
	v_mul_lo_u32 v48, v35, s21
	v_mad_u64_u32 v[44:45], null, v35, s20, 0
	v_lshlrev_b64 v[40:41], 2, v[40:41]
	v_add_co_ci_u32_e32 v37, vcc_lo, s3, v37, vcc_lo
	v_add_co_u32 v38, vcc_lo, s2, v38
	v_lshlrev_b64 v[27:28], 2, v[27:28]
	v_add3_u32 v43, v43, v46, v31
	v_add_co_ci_u32_e32 v39, vcc_lo, s3, v39, vcc_lo
	v_add_co_u32 v40, vcc_lo, s18, v40
	v_add3_u32 v45, v45, v48, v47
	v_add_co_ci_u32_e32 v41, vcc_lo, s19, v41, vcc_lo
	v_lshlrev_b64 v[34:35], 2, v[42:43]
	v_add_co_u32 v42, vcc_lo, s18, v27
	v_add_co_ci_u32_e32 v43, vcc_lo, s19, v28, vcc_lo
	v_lshlrev_b64 v[27:28], 2, v[44:45]
	s_delay_alu instid0(VALU_DEP_4) | instskip(SKIP_1) | instid1(VALU_DEP_3)
	v_add_co_u32 v44, vcc_lo, s18, v34
	v_add_co_ci_u32_e32 v45, vcc_lo, s19, v35, vcc_lo
	v_add_co_u32 v46, vcc_lo, s18, v27
	s_delay_alu instid0(VALU_DEP_4)
	v_add_co_ci_u32_e32 v47, vcc_lo, s19, v28, vcc_lo
	s_clause 0x3
	global_load_b32 v34, v[32:33], off
	global_load_b32 v33, v[17:18], off
	;; [unrolled: 1-line block ×4, first 2 shown]
	s_clause 0x3
	global_load_b32 v32, v[40:41], off
	global_load_b32 v31, v[42:43], off
	;; [unrolled: 1-line block ×4, first 2 shown]
.LBB6_9:                                ;   in Loop: Header=BB6_3 Depth=1
	s_waitcnt vmcnt(2)
	v_add_f32_e32 v17, v29, v30
                                        ; implicit-def: $vgpr18
	s_delay_alu instid0(VALU_DEP_1) | instskip(SKIP_1) | instid1(VALU_DEP_1)
	v_add_f32_e32 v17, v17, v36
	s_waitcnt vmcnt(1)
	v_add_f32_e32 v17, v35, v17
	s_delay_alu instid0(VALU_DEP_1) | instskip(NEXT) | instid1(VALU_DEP_1)
	v_cmp_ngt_f32_e64 s0, 0x3f200000, |v17|
	s_and_saveexec_b32 s1, s0
	s_delay_alu instid0(SALU_CYCLE_1)
	s_xor_b32 s0, exec_lo, s1
	s_cbranch_execz .LBB6_11
; %bb.10:                               ;   in Loop: Header=BB6_3 Depth=1
	v_add_f32_e64 v18, |v17|, |v17|
	s_delay_alu instid0(VALU_DEP_1) | instskip(SKIP_1) | instid1(VALU_DEP_2)
	v_mul_f32_e32 v29, 0x3fb8aa3b, v18
	v_cmp_ngt_f32_e32 vcc_lo, 0xc2ce8ed0, v18
	v_rndne_f32_e32 v30, v29
	v_fma_f32 v35, 0x3fb8aa3b, v18, -v29
	s_delay_alu instid0(VALU_DEP_2) | instskip(NEXT) | instid1(VALU_DEP_2)
	v_sub_f32_e32 v29, v29, v30
	v_fmac_f32_e32 v35, 0x32a5705f, v18
	v_cvt_i32_f32_e32 v30, v30
	s_delay_alu instid0(VALU_DEP_2) | instskip(NEXT) | instid1(VALU_DEP_1)
	v_add_f32_e32 v29, v29, v35
	v_exp_f32_e32 v29, v29
	s_waitcnt_depctr 0xfff
	v_ldexp_f32 v29, v29, v30
	s_delay_alu instid0(VALU_DEP_1) | instskip(SKIP_1) | instid1(VALU_DEP_2)
	v_cndmask_b32_e32 v29, 0, v29, vcc_lo
	v_cmp_nlt_f32_e32 vcc_lo, 0x42b17218, v18
	v_cndmask_b32_e32 v18, 0x7f800000, v29, vcc_lo
	s_delay_alu instid0(VALU_DEP_1) | instskip(NEXT) | instid1(VALU_DEP_1)
	v_add_f32_e32 v18, 1.0, v18
	v_rcp_f32_e32 v18, v18
	s_waitcnt_depctr 0xfff
	v_fma_f32 v18, v18, -2.0, 1.0
.LBB6_11:                               ;   in Loop: Header=BB6_3 Depth=1
	s_and_not1_saveexec_b32 s0, s0
; %bb.12:                               ;   in Loop: Header=BB6_3 Depth=1
	v_mul_f32_e32 v18, v17, v17
	s_delay_alu instid0(VALU_DEP_1) | instskip(NEXT) | instid1(VALU_DEP_1)
	v_fmaak_f32 v29, s44, v18, 0x3ca908c9
	v_fmaak_f32 v29, v18, v29, 0xbd5c1c4e
	s_delay_alu instid0(VALU_DEP_1) | instskip(NEXT) | instid1(VALU_DEP_1)
	v_fmaak_f32 v29, v18, v29, 0x3e088382
	v_fmaak_f32 v29, v18, v29, 0xbeaaaa99
	s_delay_alu instid0(VALU_DEP_1) | instskip(NEXT) | instid1(VALU_DEP_1)
	v_mul_f32_e64 v29, |v17|, v29
	v_fma_f32 v18, v18, v29, |v17|
; %bb.13:                               ;   in Loop: Header=BB6_3 Depth=1
	s_or_b32 exec_lo, exec_lo, s0
	v_add_f32_e32 v25, v25, v26
	v_add_f32_e32 v23, v23, v24
	s_delay_alu instid0(VALU_DEP_3) | instskip(NEXT) | instid1(VALU_DEP_2)
	v_bfi_b32 v17, 0x7fffffff, v18, v17
	v_dual_add_f32 v24, v25, v34 :: v_dual_add_f32 v23, v23, v33
	s_delay_alu instid0(VALU_DEP_1) | instskip(NEXT) | instid1(VALU_DEP_1)
	v_dual_add_f32 v24, v32, v24 :: v_dual_add_f32 v23, v31, v23
	v_dual_mul_f32 v25, 0xbfb8aa3b, v24 :: v_dual_mul_f32 v26, 0xbfb8aa3b, v23
	v_cmp_nlt_f32_e32 vcc_lo, 0x42ce8ed0, v24
	s_delay_alu instid0(VALU_DEP_2) | instskip(SKIP_1) | instid1(VALU_DEP_4)
	v_fma_f32 v29, 0xbfb8aa3b, v24, -v25
	v_rndne_f32_e32 v30, v25
	v_fma_f32 v31, 0xbfb8aa3b, v23, -v26
	v_rndne_f32_e32 v32, v26
	s_delay_alu instid0(VALU_DEP_3) | instskip(NEXT) | instid1(VALU_DEP_2)
	v_sub_f32_e32 v25, v25, v30
	v_dual_fmac_f32 v31, 0xb2a5705f, v23 :: v_dual_sub_f32 v26, v26, v32
	s_delay_alu instid0(VALU_DEP_1) | instskip(NEXT) | instid1(VALU_DEP_1)
	v_dual_fmac_f32 v29, 0xb2a5705f, v24 :: v_dual_add_f32 v26, v26, v31
	v_add_f32_e32 v25, v25, v29
	v_cvt_i32_f32_e32 v29, v30
	v_cvt_i32_f32_e32 v30, v32
	s_delay_alu instid0(VALU_DEP_4) | instskip(NEXT) | instid1(VALU_DEP_3)
	v_exp_f32_e32 v26, v26
	v_exp_f32_e32 v25, v25
	s_waitcnt_depctr 0xfff
	v_ldexp_f32 v26, v26, v30
	v_ldexp_f32 v25, v25, v29
	s_delay_alu instid0(VALU_DEP_1) | instskip(SKIP_1) | instid1(VALU_DEP_4)
	v_cndmask_b32_e32 v25, 0, v25, vcc_lo
	v_cmp_nlt_f32_e32 vcc_lo, 0x42ce8ed0, v23
	v_cndmask_b32_e32 v26, 0, v26, vcc_lo
	v_cmp_ngt_f32_e32 vcc_lo, 0xc2b17218, v24
	s_delay_alu instid0(VALU_DEP_4) | instskip(SKIP_1) | instid1(VALU_DEP_4)
	v_cndmask_b32_e32 v24, 0x7f800000, v25, vcc_lo
	v_cmp_ngt_f32_e32 vcc_lo, 0xc2b17218, v23
	v_cndmask_b32_e32 v23, 0x7f800000, v26, vcc_lo
	s_delay_alu instid0(VALU_DEP_1) | instskip(NEXT) | instid1(VALU_DEP_1)
	v_dual_add_f32 v25, 1.0, v23 :: v_dual_add_f32 v24, 1.0, v24
	v_div_scale_f32 v26, null, v25, v25, 1.0
	s_delay_alu instid0(VALU_DEP_2) | instskip(SKIP_1) | instid1(VALU_DEP_3)
	v_div_scale_f32 v23, null, v24, v24, 1.0
	v_div_scale_f32 v33, vcc_lo, 1.0, v24, 1.0
	v_rcp_f32_e32 v30, v26
	s_delay_alu instid0(VALU_DEP_2) | instskip(SKIP_3) | instid1(VALU_DEP_1)
	v_rcp_f32_e32 v29, v23
	s_waitcnt_depctr 0xfff
	v_fma_f32 v32, -v26, v30, 1.0
	v_fma_f32 v31, -v23, v29, 1.0
	v_dual_fmac_f32 v30, v32, v30 :: v_dual_fmac_f32 v29, v31, v29
	v_div_scale_f32 v31, s0, 1.0, v25, 1.0
	s_delay_alu instid0(VALU_DEP_2) | instskip(NEXT) | instid1(VALU_DEP_2)
	v_mul_f32_e32 v32, v33, v29
	v_mul_f32_e32 v34, v31, v30
	s_delay_alu instid0(VALU_DEP_2) | instskip(NEXT) | instid1(VALU_DEP_2)
	v_fma_f32 v35, -v23, v32, v33
	v_fma_f32 v36, -v26, v34, v31
	s_delay_alu instid0(VALU_DEP_2) | instskip(NEXT) | instid1(VALU_DEP_2)
	v_fmac_f32_e32 v32, v35, v29
	v_fmac_f32_e32 v34, v36, v30
	s_delay_alu instid0(VALU_DEP_2) | instskip(NEXT) | instid1(VALU_DEP_2)
	v_fma_f32 v23, -v23, v32, v33
	v_fma_f32 v26, -v26, v34, v31
	s_delay_alu instid0(VALU_DEP_2) | instskip(SKIP_1) | instid1(VALU_DEP_2)
	v_div_fmas_f32 v23, v23, v29, v32
	s_mov_b32 vcc_lo, s0
	v_div_fmas_f32 v26, v26, v30, v34
	s_delay_alu instid0(VALU_DEP_2) | instskip(NEXT) | instid1(VALU_DEP_2)
	v_div_fixup_f32 v23, v23, v24, 1.0
	v_div_fixup_f32 v18, v26, v25, 1.0
	s_delay_alu instid0(VALU_DEP_2) | instskip(SKIP_1) | instid1(VALU_DEP_1)
	v_mul_f32_e32 v24, v23, v17
	s_waitcnt vmcnt(0)
	v_fmac_f32_e32 v24, v22, v18
                                        ; implicit-def: $vgpr22
	s_delay_alu instid0(VALU_DEP_1) | instskip(NEXT) | instid1(VALU_DEP_1)
	v_cmp_ngt_f32_e64 s0, 0x3f200000, |v24|
	s_and_saveexec_b32 s1, s0
	s_delay_alu instid0(SALU_CYCLE_1)
	s_xor_b32 s0, exec_lo, s1
	s_cbranch_execz .LBB6_15
; %bb.14:                               ;   in Loop: Header=BB6_3 Depth=1
	v_add_f32_e64 v22, |v24|, |v24|
	s_delay_alu instid0(VALU_DEP_1) | instskip(SKIP_1) | instid1(VALU_DEP_2)
	v_mul_f32_e32 v25, 0x3fb8aa3b, v22
	v_cmp_ngt_f32_e32 vcc_lo, 0xc2ce8ed0, v22
	v_rndne_f32_e32 v26, v25
	v_fma_f32 v29, 0x3fb8aa3b, v22, -v25
	s_delay_alu instid0(VALU_DEP_2) | instskip(NEXT) | instid1(VALU_DEP_2)
	v_sub_f32_e32 v25, v25, v26
	v_fmac_f32_e32 v29, 0x32a5705f, v22
	v_cvt_i32_f32_e32 v26, v26
	s_delay_alu instid0(VALU_DEP_2) | instskip(NEXT) | instid1(VALU_DEP_1)
	v_add_f32_e32 v25, v25, v29
	v_exp_f32_e32 v25, v25
	s_waitcnt_depctr 0xfff
	v_ldexp_f32 v25, v25, v26
	s_delay_alu instid0(VALU_DEP_1) | instskip(SKIP_1) | instid1(VALU_DEP_2)
	v_cndmask_b32_e32 v25, 0, v25, vcc_lo
	v_cmp_nlt_f32_e32 vcc_lo, 0x42b17218, v22
	v_cndmask_b32_e32 v22, 0x7f800000, v25, vcc_lo
	s_delay_alu instid0(VALU_DEP_1) | instskip(NEXT) | instid1(VALU_DEP_1)
	v_add_f32_e32 v22, 1.0, v22
	v_rcp_f32_e32 v22, v22
	s_waitcnt_depctr 0xfff
	v_fma_f32 v22, v22, -2.0, 1.0
.LBB6_15:                               ;   in Loop: Header=BB6_3 Depth=1
	s_and_not1_saveexec_b32 s0, s0
	s_cbranch_execz .LBB6_2
; %bb.16:                               ;   in Loop: Header=BB6_3 Depth=1
	v_mul_f32_e32 v22, v24, v24
	s_delay_alu instid0(VALU_DEP_1) | instskip(NEXT) | instid1(VALU_DEP_1)
	v_fmaak_f32 v25, s44, v22, 0x3ca908c9
	v_fmaak_f32 v25, v22, v25, 0xbd5c1c4e
	s_delay_alu instid0(VALU_DEP_1) | instskip(NEXT) | instid1(VALU_DEP_1)
	v_fmaak_f32 v25, v22, v25, 0x3e088382
	v_fmaak_f32 v25, v22, v25, 0xbeaaaa99
	s_delay_alu instid0(VALU_DEP_1) | instskip(NEXT) | instid1(VALU_DEP_1)
	v_mul_f32_e64 v25, |v24|, v25
	v_fma_f32 v22, v22, v25, |v24|
	s_branch .LBB6_2
.LBB6_17:
	s_nop 0
	s_sendmsg sendmsg(MSG_DEALLOC_VGPRS)
	s_endpgm
	.section	.rodata,"a",@progbits
	.p2align	6, 0x0
	.amdhsa_kernel _ZN2at6native12_GLOBAL__N_16kernel17lstm_cell_forwardIfflLi1EEEvNS_4cuda6detail10TensorInfoIT_T1_EES9_S9_S9_S9_S9_S9_S9_S8_S8_
		.amdhsa_group_segment_fixed_size 0
		.amdhsa_private_segment_fixed_size 0
		.amdhsa_kernarg_size 3600
		.amdhsa_user_sgpr_count 15
		.amdhsa_user_sgpr_dispatch_ptr 0
		.amdhsa_user_sgpr_queue_ptr 0
		.amdhsa_user_sgpr_kernarg_segment_ptr 1
		.amdhsa_user_sgpr_dispatch_id 0
		.amdhsa_user_sgpr_private_segment_size 0
		.amdhsa_wavefront_size32 1
		.amdhsa_uses_dynamic_stack 0
		.amdhsa_enable_private_segment 0
		.amdhsa_system_sgpr_workgroup_id_x 1
		.amdhsa_system_sgpr_workgroup_id_y 0
		.amdhsa_system_sgpr_workgroup_id_z 0
		.amdhsa_system_sgpr_workgroup_info 0
		.amdhsa_system_vgpr_workitem_id 0
		.amdhsa_next_free_vgpr 49
		.amdhsa_next_free_sgpr 48
		.amdhsa_reserve_vcc 1
		.amdhsa_float_round_mode_32 0
		.amdhsa_float_round_mode_16_64 0
		.amdhsa_float_denorm_mode_32 3
		.amdhsa_float_denorm_mode_16_64 3
		.amdhsa_dx10_clamp 1
		.amdhsa_ieee_mode 1
		.amdhsa_fp16_overflow 0
		.amdhsa_workgroup_processor_mode 1
		.amdhsa_memory_ordered 1
		.amdhsa_forward_progress 0
		.amdhsa_shared_vgpr_count 0
		.amdhsa_exception_fp_ieee_invalid_op 0
		.amdhsa_exception_fp_denorm_src 0
		.amdhsa_exception_fp_ieee_div_zero 0
		.amdhsa_exception_fp_ieee_overflow 0
		.amdhsa_exception_fp_ieee_underflow 0
		.amdhsa_exception_fp_ieee_inexact 0
		.amdhsa_exception_int_div_zero 0
	.end_amdhsa_kernel
	.section	.text._ZN2at6native12_GLOBAL__N_16kernel17lstm_cell_forwardIfflLi1EEEvNS_4cuda6detail10TensorInfoIT_T1_EES9_S9_S9_S9_S9_S9_S9_S8_S8_,"axG",@progbits,_ZN2at6native12_GLOBAL__N_16kernel17lstm_cell_forwardIfflLi1EEEvNS_4cuda6detail10TensorInfoIT_T1_EES9_S9_S9_S9_S9_S9_S9_S8_S8_,comdat
.Lfunc_end6:
	.size	_ZN2at6native12_GLOBAL__N_16kernel17lstm_cell_forwardIfflLi1EEEvNS_4cuda6detail10TensorInfoIT_T1_EES9_S9_S9_S9_S9_S9_S9_S8_S8_, .Lfunc_end6-_ZN2at6native12_GLOBAL__N_16kernel17lstm_cell_forwardIfflLi1EEEvNS_4cuda6detail10TensorInfoIT_T1_EES9_S9_S9_S9_S9_S9_S9_S8_S8_
                                        ; -- End function
	.section	.AMDGPU.csdata,"",@progbits
; Kernel info:
; codeLenInByte = 4496
; NumSgprs: 50
; NumVgprs: 49
; ScratchSize: 0
; MemoryBound: 0
; FloatMode: 240
; IeeeMode: 1
; LDSByteSize: 0 bytes/workgroup (compile time only)
; SGPRBlocks: 6
; VGPRBlocks: 6
; NumSGPRsForWavesPerEU: 50
; NumVGPRsForWavesPerEU: 49
; Occupancy: 16
; WaveLimiterHint : 1
; COMPUTE_PGM_RSRC2:SCRATCH_EN: 0
; COMPUTE_PGM_RSRC2:USER_SGPR: 15
; COMPUTE_PGM_RSRC2:TRAP_HANDLER: 0
; COMPUTE_PGM_RSRC2:TGID_X_EN: 1
; COMPUTE_PGM_RSRC2:TGID_Y_EN: 0
; COMPUTE_PGM_RSRC2:TGID_Z_EN: 0
; COMPUTE_PGM_RSRC2:TIDIG_COMP_CNT: 0
	.section	.text._ZN2at6native12_GLOBAL__N_16kernel17lstm_cell_forwardIfflLi2EEEvNS_4cuda6detail10TensorInfoIT_T1_EES9_S9_S9_S9_S9_S9_S9_S8_S8_,"axG",@progbits,_ZN2at6native12_GLOBAL__N_16kernel17lstm_cell_forwardIfflLi2EEEvNS_4cuda6detail10TensorInfoIT_T1_EES9_S9_S9_S9_S9_S9_S9_S8_S8_,comdat
	.globl	_ZN2at6native12_GLOBAL__N_16kernel17lstm_cell_forwardIfflLi2EEEvNS_4cuda6detail10TensorInfoIT_T1_EES9_S9_S9_S9_S9_S9_S9_S8_S8_ ; -- Begin function _ZN2at6native12_GLOBAL__N_16kernel17lstm_cell_forwardIfflLi2EEEvNS_4cuda6detail10TensorInfoIT_T1_EES9_S9_S9_S9_S9_S9_S9_S8_S8_
	.p2align	8
	.type	_ZN2at6native12_GLOBAL__N_16kernel17lstm_cell_forwardIfflLi2EEEvNS_4cuda6detail10TensorInfoIT_T1_EES9_S9_S9_S9_S9_S9_S9_S8_S8_,@function
_ZN2at6native12_GLOBAL__N_16kernel17lstm_cell_forwardIfflLi2EEEvNS_4cuda6detail10TensorInfoIT_T1_EES9_S9_S9_S9_S9_S9_S9_S8_S8_: ; @_ZN2at6native12_GLOBAL__N_16kernel17lstm_cell_forwardIfflLi2EEEvNS_4cuda6detail10TensorInfoIT_T1_EES9_S9_S9_S9_S9_S9_S9_S8_S8_
; %bb.0:
	s_clause 0x1
	s_load_b32 s2, s[0:1], 0xd1c
	s_load_b128 s[4:7], s[0:1], 0xd00
	v_mov_b32_e32 v1, 0
	s_add_u32 s16, s0, 0xd10
	s_addc_u32 s17, s1, 0
	s_waitcnt lgkmcnt(0)
	s_and_b32 s64, s2, 0xffff
	s_mov_b32 s2, exec_lo
	v_mad_u64_u32 v[3:4], null, s15, s64, v[0:1]
	v_mov_b32_e32 v4, v1
	s_delay_alu instid0(VALU_DEP_1)
	v_cmpx_gt_i64_e64 s[6:7], v[3:4]
	s_cbranch_execz .LBB7_77
; %bb.1:
	v_cvt_f32_u32_e32 v0, s4
	s_clause 0x6
	s_load_b64 s[2:3], s[0:1], 0x0
	s_load_b64 s[34:35], s[0:1], 0x10
	s_load_b128 s[8:11], s[0:1], 0xd0
	s_load_b64 s[36:37], s[0:1], 0x1a0
	s_load_b64 s[38:39], s[0:1], 0x340
	;; [unrolled: 1-line block ×3, first 2 shown]
	s_load_b128 s[12:15], s[0:1], 0x270
	s_load_b32 s65, s[16:17], 0x0
	s_clause 0xe
	s_load_b64 s[42:43], s[0:1], 0x410
	s_load_b64 s[44:45], s[0:1], 0x4e0
	;; [unrolled: 1-line block ×5, first 2 shown]
	s_load_b128 s[16:19], s[0:1], 0x750
	s_load_b64 s[52:53], s[0:1], 0x820
	s_load_b64 s[54:55], s[0:1], 0x830
	s_load_b128 s[20:23], s[0:1], 0x8f0
	s_load_b64 s[56:57], s[0:1], 0x9c0
	s_load_b64 s[58:59], s[0:1], 0x9d0
	;; [unrolled: 3-line block ×3, first 2 shown]
	s_load_b128 s[28:31], s[0:1], 0xc30
	s_mul_i32 s0, s5, 3
	s_mul_hi_u32 s1, s4, 3
	v_rcp_iflag_f32_e32 v0, v0
	s_mov_b32 s69, 0
	s_waitcnt lgkmcnt(0)
	s_cmp_lg_u64 s[38:39], 0
	s_mul_i32 s71, s4, 3
	s_cselect_b32 s33, -1, 0
	s_add_i32 s70, s1, s0
	s_sub_u32 s72, 0, s4
	s_subb_u32 s73, 0, s5
	s_mul_i32 s68, s65, s64
	s_mov_b32 s80, 0xbbbac73d
	s_waitcnt_depctr 0xfff
	v_mul_f32_e32 v0, 0x4f7ffffe, v0
	s_sub_u32 s74, 0, s50
	s_subb_u32 s75, 0, s51
	s_sub_u32 s76, 0, s54
	s_subb_u32 s77, 0, s55
	v_cvt_u32_f32_e32 v0, v0
	s_sub_u32 s78, 0, s58
	s_subb_u32 s79, 0, s59
	s_branch .LBB7_3
.LBB7_2:                                ;   in Loop: Header=BB7_3 Depth=1
	s_or_b32 exec_lo, exec_lo, s0
	v_add_f32_e32 v29, v31, v37
	v_mul_lo_u32 v46, v22, s62
	v_mul_lo_u32 v48, v22, s28
	v_mul_lo_u32 v40, v26, s24
	v_mul_lo_u32 v41, v25, s25
	v_add_f32_e32 v29, v29, v35
	v_mul_lo_u32 v39, s79, v25
	v_mul_lo_u32 v42, s76, v24
	;; [unrolled: 1-line block ×4, first 2 shown]
	v_add_f32_e32 v37, v38, v29
	v_mad_u64_u32 v[29:30], null, s78, v25, v[3:4]
	v_mul_lo_u32 v38, s78, v26
	v_mul_lo_u32 v45, v23, s21
	s_delay_alu instid0(VALU_DEP_4)
	v_mul_f32_e32 v31, 0xbfb8aa3b, v37
	v_mul_lo_u32 v47, v21, s63
	v_mul_lo_u32 v49, v21, s29
	;; [unrolled: 1-line block ×4, first 2 shown]
	v_rndne_f32_e32 v35, v31
	v_add3_u32 v39, v39, v30, v38
	v_mul_lo_u32 v52, v19, s63
	s_delay_alu instid0(VALU_DEP_3) | instskip(SKIP_4) | instid1(VALU_DEP_4)
	v_sub_f32_e32 v34, v31, v35
	v_fma_f32 v33, 0xbfb8aa3b, v37, -v31
	v_cvt_i32_f32_e32 v35, v35
	v_cmp_nlt_f32_e32 vcc_lo, 0x42ce8ed0, v37
	v_mad_u64_u32 v[31:32], null, v25, s24, 0
	v_fmac_f32_e32 v33, 0xb2a5705f, v37
	v_mad_u64_u32 v[25:26], null, s76, v23, v[3:4]
	v_mul_lo_u32 v39, v39, s26
	s_delay_alu instid0(VALU_DEP_3) | instskip(SKIP_1) | instid1(VALU_DEP_4)
	v_add_f32_e32 v33, v34, v33
	v_add3_u32 v32, v32, v41, v40
	v_add3_u32 v26, v43, v26, v42
	s_delay_alu instid0(VALU_DEP_3) | instskip(SKIP_4) | instid1(VALU_DEP_4)
	v_exp_f32_e32 v36, v33
	v_mad_u64_u32 v[33:34], null, v23, s20, 0
	v_mad_u64_u32 v[23:24], null, v21, s62, 0
	v_mul_lo_u32 v40, v25, s23
	v_mul_lo_u32 v26, v26, s22
	v_add3_u32 v34, v34, v45, v44
	s_waitcnt_depctr 0xfff
	v_ldexp_f32 v22, v36, v35
	v_mad_u64_u32 v[35:36], null, v21, s28, 0
	v_add3_u32 v42, v24, v47, v46
	s_delay_alu instid0(VALU_DEP_3) | instskip(SKIP_3) | instid1(VALU_DEP_4)
	v_cndmask_b32_e32 v51, 0, v22, vcc_lo
	v_cmp_ngt_f32_e32 vcc_lo, 0xc2b17218, v37
	v_mad_u64_u32 v[37:38], null, v29, s26, 0
	v_mad_u64_u32 v[29:30], null, v25, s22, 0
	v_cndmask_b32_e32 v51, 0x7f800000, v51, vcc_lo
	v_add3_u32 v36, v36, v49, v48
	v_lshlrev_b64 v[24:25], 2, v[31:32]
	v_lshlrev_b64 v[31:32], 2, v[33:34]
	v_sub_co_u32 v13, vcc_lo, v13, v23
	v_add_f32_e32 v51, 1.0, v51
	v_mad_u64_u32 v[21:22], null, v19, s62, 0
	v_sub_co_ci_u32_e32 v23, vcc_lo, v14, v42, vcc_lo
	s_delay_alu instid0(VALU_DEP_3) | instskip(SKIP_2) | instid1(VALU_DEP_3)
	v_div_scale_f32 v41, null, v51, v51, 1.0
	v_add_co_u32 v34, vcc_lo, v3, v13
	v_lshlrev_b64 v[13:14], 2, v[35:36]
	v_rcp_f32_e32 v43, v41
	v_div_scale_f32 v35, s0, 1.0, v51, 1.0
	v_add3_u32 v22, v22, v52, v50
	v_add3_u32 v38, v38, v53, v39
	v_mul_lo_u32 v44, v34, s31
	v_add3_u32 v30, v30, v40, v26
	s_waitcnt_depctr 0xfff
	v_fma_f32 v33, -v41, v43, 1.0
	s_delay_alu instid0(VALU_DEP_1) | instskip(SKIP_2) | instid1(VALU_DEP_3)
	v_fmac_f32_e32 v43, v33, v43
	v_sub_co_u32 v33, s1, v11, v21
	v_add_co_ci_u32_e32 v21, vcc_lo, v4, v23, vcc_lo
	v_mul_f32_e32 v42, v35, v43
	v_sub_co_ci_u32_e64 v36, s1, v12, v22, s1
	v_mad_u64_u32 v[11:12], null, v34, s30, 0
	s_delay_alu instid0(VALU_DEP_3) | instskip(SKIP_3) | instid1(VALU_DEP_4)
	v_fma_f32 v23, -v41, v42, v35
	v_mul_lo_u32 v26, v21, s30
	v_add_co_u32 v34, vcc_lo, s56, v24
	v_lshlrev_b64 v[21:22], 2, v[37:38]
	v_fmac_f32_e32 v42, v23, v43
	v_add_co_ci_u32_e32 v25, vcc_lo, s57, v25, vcc_lo
	v_add_co_u32 v31, vcc_lo, s52, v31
	v_add_co_ci_u32_e32 v32, vcc_lo, s53, v32, vcc_lo
	v_lshlrev_b64 v[23:24], 2, v[29:30]
	v_add3_u32 v12, v12, v44, v26
	v_fma_f32 v26, -v41, v42, v35
	v_add_co_u32 v21, vcc_lo, v34, v21
	v_add_co_ci_u32_e32 v22, vcc_lo, v25, v22, vcc_lo
	s_mov_b32 vcc_lo, s0
	v_mul_lo_u32 v34, v17, s63
	v_div_fmas_f32 v25, v26, v43, v42
	v_add_co_u32 v23, vcc_lo, v31, v23
	v_add_co_ci_u32_e32 v24, vcc_lo, v32, v24, vcc_lo
	v_add_co_u32 v29, vcc_lo, s60, v13
	v_add_co_ci_u32_e32 v30, vcc_lo, s61, v14, vcc_lo
	v_add_co_u32 v32, vcc_lo, v3, v33
	v_mul_lo_u32 v33, v18, s62
	v_mad_u64_u32 v[13:14], null, v17, s62, 0
	v_div_fixup_f32 v31, v25, v51, 1.0
	v_add_co_ci_u32_e32 v25, vcc_lo, v4, v36, vcc_lo
	v_mul_lo_u32 v37, v20, s28
	v_mul_lo_u32 v38, v19, s29
	v_lshlrev_b64 v[11:12], 2, v[11:12]
	v_add3_u32 v14, v14, v34, v33
	v_mul_lo_u32 v35, v25, s30
	v_mad_u64_u32 v[25:26], null, v19, s28, 0
	v_sub_co_u32 v7, vcc_lo, v7, v13
	s_delay_alu instid0(VALU_DEP_4) | instskip(SKIP_2) | instid1(VALU_DEP_4)
	v_sub_co_ci_u32_e32 v8, vcc_lo, v8, v14, vcc_lo
	v_mul_lo_u32 v36, v32, s31
	v_mad_u64_u32 v[19:20], null, v32, s30, 0
	v_add_co_u32 v32, vcc_lo, v3, v7
	v_add3_u32 v26, v26, v38, v37
	v_add_co_ci_u32_e32 v13, vcc_lo, v4, v8, vcc_lo
	v_add_co_u32 v7, vcc_lo, v29, v11
	v_add_co_ci_u32_e32 v8, vcc_lo, v30, v12, vcc_lo
	v_add3_u32 v20, v20, v36, v35
	v_lshlrev_b64 v[11:12], 2, v[25:26]
	v_mul_lo_u32 v33, v13, s30
	v_mul_lo_u32 v34, v32, s31
	v_mad_u64_u32 v[13:14], null, v32, s30, 0
	v_mul_lo_u32 v32, v16, s62
	v_mul_lo_u32 v35, v15, s63
	v_mad_u64_u32 v[25:26], null, v15, s62, 0
	v_add_co_u32 v37, vcc_lo, s60, v11
	v_mul_lo_u32 v18, v18, s28
	v_mul_lo_u32 v36, v17, s29
	v_mad_u64_u32 v[29:30], null, v17, s28, 0
	v_add3_u32 v11, v26, v35, v32
	v_add_co_ci_u32_e32 v38, vcc_lo, s61, v12, vcc_lo
	v_sub_co_u32 v5, vcc_lo, v5, v25
	s_delay_alu instid0(VALU_DEP_3) | instskip(SKIP_1) | instid1(VALU_DEP_3)
	v_sub_co_ci_u32_e32 v6, vcc_lo, v6, v11, vcc_lo
	v_add3_u32 v30, v30, v36, v18
	v_add_co_u32 v25, vcc_lo, v3, v5
	s_delay_alu instid0(VALU_DEP_3)
	v_add_co_ci_u32_e32 v17, vcc_lo, v4, v6, vcc_lo
	v_mul_lo_u32 v26, v16, s28
	v_mul_lo_u32 v32, v15, s29
	v_mad_u64_u32 v[5:6], null, v15, s28, 0
	v_add3_u32 v14, v14, v34, v33
	v_lshlrev_b64 v[15:16], 2, v[29:30]
	v_lshlrev_b64 v[11:12], 2, v[19:20]
	v_mul_lo_u32 v19, v17, s30
	v_mul_lo_u32 v20, v25, s31
	v_mad_u64_u32 v[17:18], null, v25, s30, 0
	v_add3_u32 v6, v6, v32, v26
	v_lshlrev_b64 v[13:14], 2, v[13:14]
	v_add_co_u32 v15, vcc_lo, s60, v15
	v_add_co_ci_u32_e32 v16, vcc_lo, s61, v16, vcc_lo
	s_delay_alu instid0(VALU_DEP_4) | instskip(NEXT) | instid1(VALU_DEP_3)
	v_lshlrev_b64 v[5:6], 2, v[5:6]
	v_add_co_u32 v13, vcc_lo, v15, v13
	v_add3_u32 v18, v18, v20, v19
	s_delay_alu instid0(VALU_DEP_4) | instskip(NEXT) | instid1(VALU_DEP_4)
	v_add_co_ci_u32_e32 v14, vcc_lo, v16, v14, vcc_lo
	v_add_co_u32 v15, vcc_lo, s60, v5
	v_add_co_ci_u32_e32 v16, vcc_lo, s61, v6, vcc_lo
	s_delay_alu instid0(VALU_DEP_4) | instskip(SKIP_3) | instid1(VALU_DEP_4)
	v_lshlrev_b64 v[5:6], 2, v[17:18]
	v_add_co_u32 v3, vcc_lo, v3, s68
	v_add_co_ci_u32_e32 v4, vcc_lo, 0, v4, vcc_lo
	v_bfi_b32 v17, 0x7fffffff, v28, v27
	v_add_co_u32 v5, vcc_lo, v15, v5
	v_add_co_ci_u32_e32 v6, vcc_lo, v16, v6, vcc_lo
	s_delay_alu instid0(VALU_DEP_4)
	v_cmp_le_i64_e32 vcc_lo, s[6:7], v[3:4]
	v_add_co_u32 v11, s0, v37, v11
	v_mul_f32_e32 v15, v31, v17
	v_add_co_ci_u32_e64 v12, s0, v38, v12, s0
	s_or_b32 s69, vcc_lo, s69
	global_store_b32 v[23:24], v15, off
	global_store_b32 v[21:22], v27, off
	s_clause 0x3
	global_store_b32 v[5:6], v9, off
	global_store_b32 v[13:14], v10, off
	;; [unrolled: 1-line block ×4, first 2 shown]
	s_and_not1_b32 exec_lo, exec_lo, s69
	s_cbranch_execz .LBB7_77
.LBB7_3:                                ; =>This Inner Loop Header: Depth=1
	v_or_b32_e32 v2, s5, v4
	v_ashrrev_i32_e32 v27, 31, v4
                                        ; implicit-def: $vgpr9_vgpr10
	s_mov_b32 s0, exec_lo
	s_delay_alu instid0(VALU_DEP_2)
	v_cmpx_ne_u64_e32 0, v[1:2]
	s_xor_b32 s1, exec_lo, s0
	s_cbranch_execz .LBB7_5
; %bb.4:                                ;   in Loop: Header=BB7_3 Depth=1
	s_ashr_i32 s64, s5, 31
	s_delay_alu instid0(SALU_CYCLE_1) | instskip(SKIP_2) | instid1(SALU_CYCLE_1)
	s_add_u32 s66, s4, s64
	s_mov_b32 s65, s64
	s_addc_u32 s67, s5, s64
	s_xor_b64 s[66:67], s[66:67], s[64:65]
	s_delay_alu instid0(SALU_CYCLE_1) | instskip(SKIP_3) | instid1(VALU_DEP_1)
	v_cvt_f32_u32_e32 v2, s66
	v_cvt_f32_u32_e32 v5, s67
	s_sub_u32 s0, 0, s66
	s_subb_u32 s65, 0, s67
	v_fmac_f32_e32 v2, 0x4f800000, v5
	s_delay_alu instid0(VALU_DEP_1) | instskip(SKIP_2) | instid1(VALU_DEP_1)
	v_rcp_f32_e32 v2, v2
	s_waitcnt_depctr 0xfff
	v_mul_f32_e32 v2, 0x5f7ffffc, v2
	v_mul_f32_e32 v5, 0x2f800000, v2
	s_delay_alu instid0(VALU_DEP_1) | instskip(NEXT) | instid1(VALU_DEP_1)
	v_trunc_f32_e32 v5, v5
	v_fmac_f32_e32 v2, 0xcf800000, v5
	v_cvt_u32_f32_e32 v5, v5
	s_delay_alu instid0(VALU_DEP_2) | instskip(NEXT) | instid1(VALU_DEP_2)
	v_cvt_u32_f32_e32 v2, v2
	v_mul_lo_u32 v6, s0, v5
	s_delay_alu instid0(VALU_DEP_2) | instskip(SKIP_1) | instid1(VALU_DEP_2)
	v_mul_hi_u32 v7, s0, v2
	v_mul_lo_u32 v8, s65, v2
	v_add_nc_u32_e32 v6, v7, v6
	v_mul_lo_u32 v7, s0, v2
	s_delay_alu instid0(VALU_DEP_2) | instskip(NEXT) | instid1(VALU_DEP_2)
	v_add_nc_u32_e32 v6, v6, v8
	v_mul_hi_u32 v8, v2, v7
	s_delay_alu instid0(VALU_DEP_2)
	v_mul_lo_u32 v9, v2, v6
	v_mul_hi_u32 v10, v2, v6
	v_mul_hi_u32 v11, v5, v7
	v_mul_lo_u32 v7, v5, v7
	v_mul_hi_u32 v12, v5, v6
	v_mul_lo_u32 v6, v5, v6
	v_add_co_u32 v8, vcc_lo, v8, v9
	v_add_co_ci_u32_e32 v9, vcc_lo, 0, v10, vcc_lo
	s_delay_alu instid0(VALU_DEP_2) | instskip(NEXT) | instid1(VALU_DEP_2)
	v_add_co_u32 v7, vcc_lo, v8, v7
	v_add_co_ci_u32_e32 v7, vcc_lo, v9, v11, vcc_lo
	v_add_co_ci_u32_e32 v8, vcc_lo, 0, v12, vcc_lo
	s_delay_alu instid0(VALU_DEP_2) | instskip(NEXT) | instid1(VALU_DEP_2)
	v_add_co_u32 v6, vcc_lo, v7, v6
	v_add_co_ci_u32_e32 v7, vcc_lo, 0, v8, vcc_lo
	s_delay_alu instid0(VALU_DEP_2) | instskip(NEXT) | instid1(VALU_DEP_2)
	v_add_co_u32 v2, vcc_lo, v2, v6
	v_add_co_ci_u32_e32 v5, vcc_lo, v5, v7, vcc_lo
	s_delay_alu instid0(VALU_DEP_2) | instskip(SKIP_1) | instid1(VALU_DEP_3)
	v_mul_hi_u32 v6, s0, v2
	v_mul_lo_u32 v8, s65, v2
	v_mul_lo_u32 v7, s0, v5
	s_delay_alu instid0(VALU_DEP_1) | instskip(SKIP_1) | instid1(VALU_DEP_2)
	v_add_nc_u32_e32 v6, v6, v7
	v_mul_lo_u32 v7, s0, v2
	v_add_nc_u32_e32 v6, v6, v8
	s_delay_alu instid0(VALU_DEP_2) | instskip(NEXT) | instid1(VALU_DEP_2)
	v_mul_hi_u32 v8, v2, v7
	v_mul_lo_u32 v9, v2, v6
	v_mul_hi_u32 v10, v2, v6
	v_mul_hi_u32 v11, v5, v7
	v_mul_lo_u32 v7, v5, v7
	v_mul_hi_u32 v12, v5, v6
	v_mul_lo_u32 v6, v5, v6
	v_add_co_u32 v8, vcc_lo, v8, v9
	v_add_co_ci_u32_e32 v9, vcc_lo, 0, v10, vcc_lo
	s_delay_alu instid0(VALU_DEP_2) | instskip(NEXT) | instid1(VALU_DEP_2)
	v_add_co_u32 v7, vcc_lo, v8, v7
	v_add_co_ci_u32_e32 v7, vcc_lo, v9, v11, vcc_lo
	v_add_co_ci_u32_e32 v8, vcc_lo, 0, v12, vcc_lo
	v_add_co_u32 v9, vcc_lo, v3, v27
	v_add_co_ci_u32_e32 v10, vcc_lo, v4, v27, vcc_lo
	s_delay_alu instid0(VALU_DEP_4) | instskip(NEXT) | instid1(VALU_DEP_4)
	v_add_co_u32 v6, vcc_lo, v7, v6
	v_add_co_ci_u32_e32 v7, vcc_lo, 0, v8, vcc_lo
	s_delay_alu instid0(VALU_DEP_4) | instskip(NEXT) | instid1(VALU_DEP_3)
	v_xor_b32_e32 v11, v9, v27
	v_add_co_u32 v2, vcc_lo, v2, v6
	s_delay_alu instid0(VALU_DEP_3) | instskip(SKIP_1) | instid1(VALU_DEP_3)
	v_add_co_ci_u32_e32 v12, vcc_lo, v5, v7, vcc_lo
	v_xor_b32_e32 v13, v10, v27
	v_mul_hi_u32 v14, v11, v2
	s_delay_alu instid0(VALU_DEP_3) | instskip(NEXT) | instid1(VALU_DEP_3)
	v_mad_u64_u32 v[5:6], null, v11, v12, 0
	v_mad_u64_u32 v[7:8], null, v13, v2, 0
	;; [unrolled: 1-line block ×3, first 2 shown]
	s_delay_alu instid0(VALU_DEP_3) | instskip(NEXT) | instid1(VALU_DEP_4)
	v_add_co_u32 v2, vcc_lo, v14, v5
	v_add_co_ci_u32_e32 v5, vcc_lo, 0, v6, vcc_lo
	s_delay_alu instid0(VALU_DEP_2) | instskip(NEXT) | instid1(VALU_DEP_2)
	v_add_co_u32 v2, vcc_lo, v2, v7
	v_add_co_ci_u32_e32 v2, vcc_lo, v5, v8, vcc_lo
	v_add_co_ci_u32_e32 v5, vcc_lo, 0, v10, vcc_lo
	s_delay_alu instid0(VALU_DEP_2) | instskip(NEXT) | instid1(VALU_DEP_2)
	v_add_co_u32 v2, vcc_lo, v2, v9
	v_add_co_ci_u32_e32 v7, vcc_lo, 0, v5, vcc_lo
	s_delay_alu instid0(VALU_DEP_2) | instskip(SKIP_1) | instid1(VALU_DEP_3)
	v_mul_lo_u32 v8, s67, v2
	v_mad_u64_u32 v[5:6], null, s66, v2, 0
	v_mul_lo_u32 v9, s66, v7
	s_delay_alu instid0(VALU_DEP_2) | instskip(NEXT) | instid1(VALU_DEP_2)
	v_sub_co_u32 v5, vcc_lo, v11, v5
	v_add3_u32 v6, v6, v9, v8
	s_delay_alu instid0(VALU_DEP_1) | instskip(NEXT) | instid1(VALU_DEP_1)
	v_sub_nc_u32_e32 v8, v13, v6
	v_subrev_co_ci_u32_e64 v8, s0, s67, v8, vcc_lo
	v_add_co_u32 v9, s0, v2, 2
	s_delay_alu instid0(VALU_DEP_1) | instskip(SKIP_3) | instid1(VALU_DEP_3)
	v_add_co_ci_u32_e64 v10, s0, 0, v7, s0
	v_sub_co_u32 v11, s0, v5, s66
	v_sub_co_ci_u32_e32 v6, vcc_lo, v13, v6, vcc_lo
	v_subrev_co_ci_u32_e64 v8, s0, 0, v8, s0
	v_cmp_le_u32_e32 vcc_lo, s66, v11
	s_delay_alu instid0(VALU_DEP_3) | instskip(SKIP_1) | instid1(VALU_DEP_4)
	v_cmp_eq_u32_e64 s0, s67, v6
	v_cndmask_b32_e64 v11, 0, -1, vcc_lo
	v_cmp_le_u32_e32 vcc_lo, s67, v8
	v_cndmask_b32_e64 v12, 0, -1, vcc_lo
	v_cmp_le_u32_e32 vcc_lo, s66, v5
	;; [unrolled: 2-line block ×3, first 2 shown]
	v_cndmask_b32_e64 v13, 0, -1, vcc_lo
	v_cmp_eq_u32_e32 vcc_lo, s67, v8
	s_delay_alu instid0(VALU_DEP_2) | instskip(SKIP_3) | instid1(VALU_DEP_3)
	v_cndmask_b32_e64 v5, v13, v5, s0
	v_cndmask_b32_e32 v8, v12, v11, vcc_lo
	v_add_co_u32 v11, vcc_lo, v2, 1
	v_add_co_ci_u32_e32 v12, vcc_lo, 0, v7, vcc_lo
	v_cmp_ne_u32_e32 vcc_lo, 0, v8
	s_delay_alu instid0(VALU_DEP_2) | instskip(NEXT) | instid1(VALU_DEP_4)
	v_cndmask_b32_e32 v6, v12, v10, vcc_lo
	v_cndmask_b32_e32 v8, v11, v9, vcc_lo
	v_cmp_ne_u32_e32 vcc_lo, 0, v5
	v_xor_b32_e32 v5, s64, v27
	s_delay_alu instid0(VALU_DEP_3) | instskip(SKIP_1) | instid1(VALU_DEP_2)
	v_cndmask_b32_e32 v2, v2, v8, vcc_lo
	v_cndmask_b32_e32 v6, v7, v6, vcc_lo
	v_xor_b32_e32 v2, v2, v5
	s_delay_alu instid0(VALU_DEP_2) | instskip(NEXT) | instid1(VALU_DEP_2)
	v_xor_b32_e32 v6, v6, v5
	v_sub_co_u32 v9, vcc_lo, v2, v5
	s_delay_alu instid0(VALU_DEP_2)
	v_sub_co_ci_u32_e32 v10, vcc_lo, v6, v5, vcc_lo
.LBB7_5:                                ;   in Loop: Header=BB7_3 Depth=1
	s_and_not1_saveexec_b32 s0, s1
	s_cbranch_execz .LBB7_7
; %bb.6:                                ;   in Loop: Header=BB7_3 Depth=1
	s_sub_i32 s1, 0, s4
	v_mov_b32_e32 v10, v1
	v_mul_lo_u32 v2, s1, v0
	s_delay_alu instid0(VALU_DEP_1) | instskip(NEXT) | instid1(VALU_DEP_1)
	v_mul_hi_u32 v2, v0, v2
	v_add_nc_u32_e32 v2, v0, v2
	s_delay_alu instid0(VALU_DEP_1) | instskip(NEXT) | instid1(VALU_DEP_1)
	v_mul_hi_u32 v2, v3, v2
	v_mul_lo_u32 v5, v2, s4
	v_add_nc_u32_e32 v6, 1, v2
	s_delay_alu instid0(VALU_DEP_2) | instskip(NEXT) | instid1(VALU_DEP_1)
	v_sub_nc_u32_e32 v5, v3, v5
	v_subrev_nc_u32_e32 v7, s4, v5
	v_cmp_le_u32_e32 vcc_lo, s4, v5
	s_delay_alu instid0(VALU_DEP_2) | instskip(NEXT) | instid1(VALU_DEP_1)
	v_dual_cndmask_b32 v5, v5, v7 :: v_dual_cndmask_b32 v2, v2, v6
	v_cmp_le_u32_e32 vcc_lo, s4, v5
	s_delay_alu instid0(VALU_DEP_2) | instskip(NEXT) | instid1(VALU_DEP_1)
	v_add_nc_u32_e32 v6, 1, v2
	v_cndmask_b32_e32 v9, v2, v6, vcc_lo
.LBB7_7:                                ;   in Loop: Header=BB7_3 Depth=1
	s_or_b32 exec_lo, exec_lo, s0
	s_delay_alu instid0(VALU_DEP_1) | instskip(SKIP_3) | instid1(VALU_DEP_1)
	v_mul_lo_u32 v2, s70, v9
	v_mul_lo_u32 v7, s71, v10
	v_mad_u64_u32 v[5:6], null, s71, v9, 0
	s_mov_b32 s0, exec_lo
	v_add3_u32 v6, v6, v7, v2
	s_delay_alu instid0(VALU_DEP_2) | instskip(NEXT) | instid1(VALU_DEP_2)
	v_add_co_u32 v18, vcc_lo, v3, v5
                                        ; implicit-def: $vgpr7_vgpr8
	v_add_co_ci_u32_e32 v20, vcc_lo, v4, v6, vcc_lo
	s_delay_alu instid0(VALU_DEP_1) | instskip(SKIP_1) | instid1(VALU_DEP_2)
	v_or_b32_e32 v2, s35, v20
	v_ashrrev_i32_e32 v17, 31, v20
	v_cmpx_ne_u64_e32 0, v[1:2]
	s_xor_b32 s1, exec_lo, s0
	s_cbranch_execz .LBB7_9
; %bb.8:                                ;   in Loop: Header=BB7_3 Depth=1
	s_ashr_i32 s64, s35, 31
	s_delay_alu instid0(SALU_CYCLE_1) | instskip(SKIP_2) | instid1(SALU_CYCLE_1)
	s_add_u32 s66, s34, s64
	s_mov_b32 s65, s64
	s_addc_u32 s67, s35, s64
	s_xor_b64 s[66:67], s[66:67], s[64:65]
	s_delay_alu instid0(SALU_CYCLE_1) | instskip(SKIP_3) | instid1(VALU_DEP_1)
	v_cvt_f32_u32_e32 v2, s66
	v_cvt_f32_u32_e32 v7, s67
	s_sub_u32 s0, 0, s66
	s_subb_u32 s65, 0, s67
	v_fmac_f32_e32 v2, 0x4f800000, v7
	s_delay_alu instid0(VALU_DEP_1) | instskip(SKIP_2) | instid1(VALU_DEP_1)
	v_rcp_f32_e32 v2, v2
	s_waitcnt_depctr 0xfff
	v_mul_f32_e32 v2, 0x5f7ffffc, v2
	v_mul_f32_e32 v7, 0x2f800000, v2
	s_delay_alu instid0(VALU_DEP_1) | instskip(NEXT) | instid1(VALU_DEP_1)
	v_trunc_f32_e32 v7, v7
	v_fmac_f32_e32 v2, 0xcf800000, v7
	v_cvt_u32_f32_e32 v7, v7
	s_delay_alu instid0(VALU_DEP_2) | instskip(NEXT) | instid1(VALU_DEP_2)
	v_cvt_u32_f32_e32 v2, v2
	v_mul_lo_u32 v8, s0, v7
	s_delay_alu instid0(VALU_DEP_2) | instskip(SKIP_1) | instid1(VALU_DEP_2)
	v_mul_hi_u32 v11, s0, v2
	v_mul_lo_u32 v12, s65, v2
	v_add_nc_u32_e32 v8, v11, v8
	v_mul_lo_u32 v11, s0, v2
	s_delay_alu instid0(VALU_DEP_2) | instskip(NEXT) | instid1(VALU_DEP_2)
	v_add_nc_u32_e32 v8, v8, v12
	v_mul_hi_u32 v12, v2, v11
	s_delay_alu instid0(VALU_DEP_2)
	v_mul_lo_u32 v13, v2, v8
	v_mul_hi_u32 v14, v2, v8
	v_mul_hi_u32 v15, v7, v11
	v_mul_lo_u32 v11, v7, v11
	v_mul_hi_u32 v16, v7, v8
	v_mul_lo_u32 v8, v7, v8
	v_add_co_u32 v12, vcc_lo, v12, v13
	v_add_co_ci_u32_e32 v13, vcc_lo, 0, v14, vcc_lo
	s_delay_alu instid0(VALU_DEP_2) | instskip(NEXT) | instid1(VALU_DEP_2)
	v_add_co_u32 v11, vcc_lo, v12, v11
	v_add_co_ci_u32_e32 v11, vcc_lo, v13, v15, vcc_lo
	v_add_co_ci_u32_e32 v12, vcc_lo, 0, v16, vcc_lo
	s_delay_alu instid0(VALU_DEP_2) | instskip(NEXT) | instid1(VALU_DEP_2)
	v_add_co_u32 v8, vcc_lo, v11, v8
	v_add_co_ci_u32_e32 v11, vcc_lo, 0, v12, vcc_lo
	s_delay_alu instid0(VALU_DEP_2) | instskip(NEXT) | instid1(VALU_DEP_2)
	v_add_co_u32 v2, vcc_lo, v2, v8
	v_add_co_ci_u32_e32 v7, vcc_lo, v7, v11, vcc_lo
	s_delay_alu instid0(VALU_DEP_2) | instskip(SKIP_1) | instid1(VALU_DEP_3)
	v_mul_hi_u32 v8, s0, v2
	v_mul_lo_u32 v12, s65, v2
	v_mul_lo_u32 v11, s0, v7
	s_delay_alu instid0(VALU_DEP_1) | instskip(SKIP_1) | instid1(VALU_DEP_2)
	v_add_nc_u32_e32 v8, v8, v11
	v_mul_lo_u32 v11, s0, v2
	v_add_nc_u32_e32 v8, v8, v12
	s_delay_alu instid0(VALU_DEP_2) | instskip(NEXT) | instid1(VALU_DEP_2)
	v_mul_hi_u32 v12, v2, v11
	v_mul_lo_u32 v13, v2, v8
	v_mul_hi_u32 v14, v2, v8
	v_mul_hi_u32 v15, v7, v11
	v_mul_lo_u32 v11, v7, v11
	v_mul_hi_u32 v16, v7, v8
	v_mul_lo_u32 v8, v7, v8
	v_add_co_u32 v12, vcc_lo, v12, v13
	v_add_co_ci_u32_e32 v13, vcc_lo, 0, v14, vcc_lo
	s_delay_alu instid0(VALU_DEP_2) | instskip(NEXT) | instid1(VALU_DEP_2)
	v_add_co_u32 v11, vcc_lo, v12, v11
	v_add_co_ci_u32_e32 v11, vcc_lo, v13, v15, vcc_lo
	v_add_co_ci_u32_e32 v12, vcc_lo, 0, v16, vcc_lo
	v_add_co_u32 v13, vcc_lo, v18, v17
	v_add_co_ci_u32_e32 v14, vcc_lo, v20, v17, vcc_lo
	s_delay_alu instid0(VALU_DEP_4) | instskip(NEXT) | instid1(VALU_DEP_4)
	v_add_co_u32 v8, vcc_lo, v11, v8
	v_add_co_ci_u32_e32 v11, vcc_lo, 0, v12, vcc_lo
	s_delay_alu instid0(VALU_DEP_4) | instskip(NEXT) | instid1(VALU_DEP_3)
	v_xor_b32_e32 v15, v13, v17
	v_add_co_u32 v2, vcc_lo, v2, v8
	s_delay_alu instid0(VALU_DEP_3) | instskip(SKIP_1) | instid1(VALU_DEP_3)
	v_add_co_ci_u32_e32 v16, vcc_lo, v7, v11, vcc_lo
	v_xor_b32_e32 v19, v14, v17
	v_mul_hi_u32 v21, v15, v2
	s_delay_alu instid0(VALU_DEP_3) | instskip(NEXT) | instid1(VALU_DEP_3)
	v_mad_u64_u32 v[7:8], null, v15, v16, 0
	v_mad_u64_u32 v[11:12], null, v19, v2, 0
	;; [unrolled: 1-line block ×3, first 2 shown]
	s_delay_alu instid0(VALU_DEP_3) | instskip(NEXT) | instid1(VALU_DEP_4)
	v_add_co_u32 v2, vcc_lo, v21, v7
	v_add_co_ci_u32_e32 v7, vcc_lo, 0, v8, vcc_lo
	s_delay_alu instid0(VALU_DEP_2) | instskip(NEXT) | instid1(VALU_DEP_2)
	v_add_co_u32 v2, vcc_lo, v2, v11
	v_add_co_ci_u32_e32 v2, vcc_lo, v7, v12, vcc_lo
	v_add_co_ci_u32_e32 v7, vcc_lo, 0, v14, vcc_lo
	s_delay_alu instid0(VALU_DEP_2) | instskip(NEXT) | instid1(VALU_DEP_2)
	v_add_co_u32 v2, vcc_lo, v2, v13
	v_add_co_ci_u32_e32 v11, vcc_lo, 0, v7, vcc_lo
	s_delay_alu instid0(VALU_DEP_2) | instskip(SKIP_1) | instid1(VALU_DEP_3)
	v_mul_lo_u32 v12, s67, v2
	v_mad_u64_u32 v[7:8], null, s66, v2, 0
	v_mul_lo_u32 v13, s66, v11
	s_delay_alu instid0(VALU_DEP_2) | instskip(NEXT) | instid1(VALU_DEP_2)
	v_sub_co_u32 v7, vcc_lo, v15, v7
	v_add3_u32 v8, v8, v13, v12
	s_delay_alu instid0(VALU_DEP_1) | instskip(NEXT) | instid1(VALU_DEP_1)
	v_sub_nc_u32_e32 v12, v19, v8
	v_subrev_co_ci_u32_e64 v12, s0, s67, v12, vcc_lo
	v_add_co_u32 v13, s0, v2, 2
	s_delay_alu instid0(VALU_DEP_1) | instskip(SKIP_3) | instid1(VALU_DEP_3)
	v_add_co_ci_u32_e64 v14, s0, 0, v11, s0
	v_sub_co_u32 v15, s0, v7, s66
	v_sub_co_ci_u32_e32 v8, vcc_lo, v19, v8, vcc_lo
	v_subrev_co_ci_u32_e64 v12, s0, 0, v12, s0
	v_cmp_le_u32_e32 vcc_lo, s66, v15
	s_delay_alu instid0(VALU_DEP_3) | instskip(SKIP_1) | instid1(VALU_DEP_4)
	v_cmp_eq_u32_e64 s0, s67, v8
	v_cndmask_b32_e64 v15, 0, -1, vcc_lo
	v_cmp_le_u32_e32 vcc_lo, s67, v12
	v_cndmask_b32_e64 v16, 0, -1, vcc_lo
	v_cmp_le_u32_e32 vcc_lo, s66, v7
	;; [unrolled: 2-line block ×3, first 2 shown]
	v_cndmask_b32_e64 v19, 0, -1, vcc_lo
	v_cmp_eq_u32_e32 vcc_lo, s67, v12
	s_delay_alu instid0(VALU_DEP_2) | instskip(SKIP_3) | instid1(VALU_DEP_3)
	v_cndmask_b32_e64 v7, v19, v7, s0
	v_cndmask_b32_e32 v12, v16, v15, vcc_lo
	v_add_co_u32 v15, vcc_lo, v2, 1
	v_add_co_ci_u32_e32 v16, vcc_lo, 0, v11, vcc_lo
	v_cmp_ne_u32_e32 vcc_lo, 0, v12
	s_delay_alu instid0(VALU_DEP_2) | instskip(NEXT) | instid1(VALU_DEP_4)
	v_cndmask_b32_e32 v8, v16, v14, vcc_lo
	v_cndmask_b32_e32 v12, v15, v13, vcc_lo
	v_cmp_ne_u32_e32 vcc_lo, 0, v7
	v_xor_b32_e32 v13, s64, v17
	s_delay_alu instid0(VALU_DEP_3) | instskip(SKIP_1) | instid1(VALU_DEP_2)
	v_cndmask_b32_e32 v2, v2, v12, vcc_lo
	v_cndmask_b32_e32 v7, v11, v8, vcc_lo
	v_xor_b32_e32 v2, v2, v13
	s_delay_alu instid0(VALU_DEP_2) | instskip(NEXT) | instid1(VALU_DEP_2)
	v_xor_b32_e32 v8, v7, v13
	v_sub_co_u32 v7, vcc_lo, v2, v13
	s_delay_alu instid0(VALU_DEP_2)
	v_sub_co_ci_u32_e32 v8, vcc_lo, v8, v13, vcc_lo
.LBB7_9:                                ;   in Loop: Header=BB7_3 Depth=1
	s_or_saveexec_b32 s0, s1
	v_cvt_f32_u32_e32 v31, s34
	s_xor_b32 exec_lo, exec_lo, s0
	s_cbranch_execz .LBB7_11
; %bb.10:                               ;   in Loop: Header=BB7_3 Depth=1
	s_delay_alu instid0(VALU_DEP_1) | instskip(SKIP_3) | instid1(VALU_DEP_1)
	v_rcp_iflag_f32_e32 v2, v31
	s_sub_i32 s1, 0, s34
	s_waitcnt_depctr 0xfff
	v_mul_f32_e32 v2, 0x4f7ffffe, v2
	v_cvt_u32_f32_e32 v2, v2
	s_delay_alu instid0(VALU_DEP_1) | instskip(NEXT) | instid1(VALU_DEP_1)
	v_mul_lo_u32 v7, s1, v2
	v_mul_hi_u32 v7, v2, v7
	s_delay_alu instid0(VALU_DEP_1) | instskip(NEXT) | instid1(VALU_DEP_1)
	v_add_nc_u32_e32 v2, v2, v7
	v_mul_hi_u32 v2, v18, v2
	s_delay_alu instid0(VALU_DEP_1) | instskip(SKIP_1) | instid1(VALU_DEP_2)
	v_mul_lo_u32 v7, v2, s34
	v_add_nc_u32_e32 v8, 1, v2
	v_sub_nc_u32_e32 v7, v18, v7
	s_delay_alu instid0(VALU_DEP_1) | instskip(SKIP_1) | instid1(VALU_DEP_2)
	v_subrev_nc_u32_e32 v11, s34, v7
	v_cmp_le_u32_e32 vcc_lo, s34, v7
	v_dual_cndmask_b32 v7, v7, v11 :: v_dual_cndmask_b32 v2, v2, v8
	s_delay_alu instid0(VALU_DEP_1) | instskip(NEXT) | instid1(VALU_DEP_2)
	v_cmp_le_u32_e32 vcc_lo, s34, v7
	v_add_nc_u32_e32 v8, 1, v2
	s_delay_alu instid0(VALU_DEP_1)
	v_dual_cndmask_b32 v7, v2, v8 :: v_dual_mov_b32 v8, v1
.LBB7_11:                               ;   in Loop: Header=BB7_3 Depth=1
	s_or_b32 exec_lo, exec_lo, s0
	s_delay_alu instid0(VALU_DEP_1) | instskip(NEXT) | instid1(VALU_DEP_2)
	v_mul_lo_u32 v2, v8, s34
	v_mul_lo_u32 v13, v7, s35
	v_mad_u64_u32 v[11:12], null, v7, s34, 0
	v_mul_lo_u32 v14, v7, s9
	s_mov_b32 s0, exec_lo
	s_delay_alu instid0(VALU_DEP_2) | instskip(SKIP_1) | instid1(VALU_DEP_4)
	v_add3_u32 v2, v12, v13, v2
	v_mul_lo_u32 v13, v8, s8
	v_sub_co_u32 v8, vcc_lo, v5, v11
	v_mad_u64_u32 v[11:12], null, v7, s8, 0
	s_delay_alu instid0(VALU_DEP_4) | instskip(NEXT) | instid1(VALU_DEP_3)
	v_sub_co_ci_u32_e32 v2, vcc_lo, v6, v2, vcc_lo
	v_add_co_u32 v15, vcc_lo, v3, v8
	s_delay_alu instid0(VALU_DEP_2) | instskip(NEXT) | instid1(VALU_DEP_2)
	v_add_co_ci_u32_e32 v2, vcc_lo, v4, v2, vcc_lo
	v_mul_lo_u32 v16, v15, s11
	v_mad_u64_u32 v[7:8], null, v15, s10, 0
	s_delay_alu instid0(VALU_DEP_3) | instskip(SKIP_2) | instid1(VALU_DEP_2)
	v_mul_lo_u32 v2, v2, s10
	v_add3_u32 v12, v12, v14, v13
	v_mad_u64_u32 v[13:14], null, v9, 3, 0
	v_lshlrev_b64 v[11:12], 2, v[11:12]
	s_delay_alu instid0(VALU_DEP_4) | instskip(NEXT) | instid1(VALU_DEP_2)
	v_add3_u32 v8, v8, v16, v2
	v_add_co_u32 v2, vcc_lo, s2, v11
	s_delay_alu instid0(VALU_DEP_2) | instskip(NEXT) | instid1(VALU_DEP_4)
	v_lshlrev_b64 v[7:8], 2, v[7:8]
	v_add_co_ci_u32_e32 v11, vcc_lo, s3, v12, vcc_lo
	s_delay_alu instid0(VALU_DEP_2) | instskip(NEXT) | instid1(VALU_DEP_2)
	v_add_co_u32 v7, vcc_lo, v2, v7
	v_add_co_ci_u32_e32 v8, vcc_lo, v11, v8, vcc_lo
	v_mov_b32_e32 v2, v14
                                        ; implicit-def: $vgpr14_vgpr15
	global_load_b32 v28, v[7:8], off
	v_mad_u64_u32 v[7:8], null, s4, v13, s[4:5]
	v_mad_u64_u32 v[11:12], null, v10, 3, v[2:3]
	v_mul_lo_u32 v2, s5, v13
	s_delay_alu instid0(VALU_DEP_3) | instskip(NEXT) | instid1(VALU_DEP_3)
	v_add_co_u32 v21, vcc_lo, v3, v7
	v_mul_lo_u32 v12, s4, v11
	s_delay_alu instid0(VALU_DEP_1) | instskip(NEXT) | instid1(VALU_DEP_1)
	v_add3_u32 v8, v2, v8, v12
	v_add_co_ci_u32_e32 v23, vcc_lo, v4, v8, vcc_lo
	s_delay_alu instid0(VALU_DEP_1) | instskip(SKIP_1) | instid1(VALU_DEP_2)
	v_or_b32_e32 v2, s35, v23
	v_ashrrev_i32_e32 v19, 31, v23
	v_cmpx_ne_u64_e32 0, v[1:2]
	s_xor_b32 s1, exec_lo, s0
	s_cbranch_execz .LBB7_13
; %bb.12:                               ;   in Loop: Header=BB7_3 Depth=1
	s_ashr_i32 s64, s35, 31
	s_delay_alu instid0(SALU_CYCLE_1) | instskip(SKIP_2) | instid1(SALU_CYCLE_1)
	s_add_u32 s66, s34, s64
	s_mov_b32 s65, s64
	s_addc_u32 s67, s35, s64
	s_xor_b64 s[66:67], s[66:67], s[64:65]
	s_delay_alu instid0(SALU_CYCLE_1) | instskip(SKIP_3) | instid1(VALU_DEP_1)
	v_cvt_f32_u32_e32 v2, s66
	v_cvt_f32_u32_e32 v12, s67
	s_sub_u32 s0, 0, s66
	s_subb_u32 s65, 0, s67
	v_fmac_f32_e32 v2, 0x4f800000, v12
	s_delay_alu instid0(VALU_DEP_1) | instskip(SKIP_2) | instid1(VALU_DEP_1)
	v_rcp_f32_e32 v2, v2
	s_waitcnt_depctr 0xfff
	v_mul_f32_e32 v2, 0x5f7ffffc, v2
	v_mul_f32_e32 v12, 0x2f800000, v2
	s_delay_alu instid0(VALU_DEP_1) | instskip(NEXT) | instid1(VALU_DEP_1)
	v_trunc_f32_e32 v12, v12
	v_fmac_f32_e32 v2, 0xcf800000, v12
	v_cvt_u32_f32_e32 v12, v12
	s_delay_alu instid0(VALU_DEP_2) | instskip(NEXT) | instid1(VALU_DEP_2)
	v_cvt_u32_f32_e32 v2, v2
	v_mul_lo_u32 v14, s0, v12
	s_delay_alu instid0(VALU_DEP_2) | instskip(SKIP_1) | instid1(VALU_DEP_2)
	v_mul_hi_u32 v15, s0, v2
	v_mul_lo_u32 v16, s65, v2
	v_add_nc_u32_e32 v14, v15, v14
	v_mul_lo_u32 v15, s0, v2
	s_delay_alu instid0(VALU_DEP_2) | instskip(NEXT) | instid1(VALU_DEP_2)
	v_add_nc_u32_e32 v14, v14, v16
	v_mul_hi_u32 v16, v2, v15
	s_delay_alu instid0(VALU_DEP_2)
	v_mul_lo_u32 v22, v2, v14
	v_mul_hi_u32 v24, v2, v14
	v_mul_hi_u32 v25, v12, v15
	v_mul_lo_u32 v15, v12, v15
	v_mul_hi_u32 v26, v12, v14
	v_mul_lo_u32 v14, v12, v14
	v_add_co_u32 v16, vcc_lo, v16, v22
	v_add_co_ci_u32_e32 v22, vcc_lo, 0, v24, vcc_lo
	s_delay_alu instid0(VALU_DEP_2) | instskip(NEXT) | instid1(VALU_DEP_2)
	v_add_co_u32 v15, vcc_lo, v16, v15
	v_add_co_ci_u32_e32 v15, vcc_lo, v22, v25, vcc_lo
	v_add_co_ci_u32_e32 v16, vcc_lo, 0, v26, vcc_lo
	s_delay_alu instid0(VALU_DEP_2) | instskip(NEXT) | instid1(VALU_DEP_2)
	v_add_co_u32 v14, vcc_lo, v15, v14
	v_add_co_ci_u32_e32 v15, vcc_lo, 0, v16, vcc_lo
	s_delay_alu instid0(VALU_DEP_2) | instskip(NEXT) | instid1(VALU_DEP_2)
	v_add_co_u32 v2, vcc_lo, v2, v14
	v_add_co_ci_u32_e32 v12, vcc_lo, v12, v15, vcc_lo
	s_delay_alu instid0(VALU_DEP_2) | instskip(SKIP_1) | instid1(VALU_DEP_3)
	v_mul_hi_u32 v14, s0, v2
	v_mul_lo_u32 v16, s65, v2
	v_mul_lo_u32 v15, s0, v12
	s_delay_alu instid0(VALU_DEP_1) | instskip(SKIP_1) | instid1(VALU_DEP_2)
	v_add_nc_u32_e32 v14, v14, v15
	v_mul_lo_u32 v15, s0, v2
	v_add_nc_u32_e32 v14, v14, v16
	s_delay_alu instid0(VALU_DEP_2) | instskip(NEXT) | instid1(VALU_DEP_2)
	v_mul_hi_u32 v16, v2, v15
	v_mul_lo_u32 v22, v2, v14
	v_mul_hi_u32 v24, v2, v14
	v_mul_hi_u32 v25, v12, v15
	v_mul_lo_u32 v15, v12, v15
	v_mul_hi_u32 v26, v12, v14
	v_mul_lo_u32 v14, v12, v14
	v_add_co_u32 v16, vcc_lo, v16, v22
	v_add_co_ci_u32_e32 v22, vcc_lo, 0, v24, vcc_lo
	s_delay_alu instid0(VALU_DEP_2) | instskip(NEXT) | instid1(VALU_DEP_2)
	v_add_co_u32 v15, vcc_lo, v16, v15
	v_add_co_ci_u32_e32 v15, vcc_lo, v22, v25, vcc_lo
	v_add_co_ci_u32_e32 v16, vcc_lo, 0, v26, vcc_lo
	v_add_co_u32 v22, vcc_lo, v21, v19
	v_add_co_ci_u32_e32 v24, vcc_lo, v23, v19, vcc_lo
	s_delay_alu instid0(VALU_DEP_4) | instskip(NEXT) | instid1(VALU_DEP_4)
	v_add_co_u32 v14, vcc_lo, v15, v14
	v_add_co_ci_u32_e32 v15, vcc_lo, 0, v16, vcc_lo
	s_delay_alu instid0(VALU_DEP_4) | instskip(NEXT) | instid1(VALU_DEP_3)
	v_xor_b32_e32 v16, v22, v19
	v_add_co_u32 v2, vcc_lo, v2, v14
	s_delay_alu instid0(VALU_DEP_3) | instskip(SKIP_1) | instid1(VALU_DEP_3)
	v_add_co_ci_u32_e32 v12, vcc_lo, v12, v15, vcc_lo
	v_xor_b32_e32 v22, v24, v19
	v_mul_hi_u32 v26, v16, v2
	s_delay_alu instid0(VALU_DEP_3) | instskip(NEXT) | instid1(VALU_DEP_3)
	v_mad_u64_u32 v[14:15], null, v16, v12, 0
	v_mad_u64_u32 v[24:25], null, v22, v2, 0
	;; [unrolled: 1-line block ×3, first 2 shown]
	s_delay_alu instid0(VALU_DEP_3) | instskip(NEXT) | instid1(VALU_DEP_4)
	v_add_co_u32 v2, vcc_lo, v26, v14
	v_add_co_ci_u32_e32 v12, vcc_lo, 0, v15, vcc_lo
	s_delay_alu instid0(VALU_DEP_2) | instskip(NEXT) | instid1(VALU_DEP_2)
	v_add_co_u32 v2, vcc_lo, v2, v24
	v_add_co_ci_u32_e32 v2, vcc_lo, v12, v25, vcc_lo
	v_add_co_ci_u32_e32 v12, vcc_lo, 0, v30, vcc_lo
	s_delay_alu instid0(VALU_DEP_2) | instskip(NEXT) | instid1(VALU_DEP_2)
	v_add_co_u32 v2, vcc_lo, v2, v29
	v_add_co_ci_u32_e32 v12, vcc_lo, 0, v12, vcc_lo
	s_delay_alu instid0(VALU_DEP_2) | instskip(SKIP_1) | instid1(VALU_DEP_3)
	v_mul_lo_u32 v24, s67, v2
	v_mad_u64_u32 v[14:15], null, s66, v2, 0
	v_mul_lo_u32 v25, s66, v12
	s_delay_alu instid0(VALU_DEP_2) | instskip(NEXT) | instid1(VALU_DEP_2)
	v_sub_co_u32 v14, vcc_lo, v16, v14
	v_add3_u32 v15, v15, v25, v24
	s_delay_alu instid0(VALU_DEP_1) | instskip(NEXT) | instid1(VALU_DEP_1)
	v_sub_nc_u32_e32 v24, v22, v15
	v_subrev_co_ci_u32_e64 v16, s0, s67, v24, vcc_lo
	v_add_co_u32 v24, s0, v2, 2
	s_delay_alu instid0(VALU_DEP_1) | instskip(SKIP_3) | instid1(VALU_DEP_3)
	v_add_co_ci_u32_e64 v25, s0, 0, v12, s0
	v_sub_co_u32 v26, s0, v14, s66
	v_sub_co_ci_u32_e32 v15, vcc_lo, v22, v15, vcc_lo
	v_subrev_co_ci_u32_e64 v16, s0, 0, v16, s0
	v_cmp_le_u32_e32 vcc_lo, s66, v26
	s_delay_alu instid0(VALU_DEP_3) | instskip(SKIP_1) | instid1(VALU_DEP_4)
	v_cmp_eq_u32_e64 s0, s67, v15
	v_cndmask_b32_e64 v22, 0, -1, vcc_lo
	v_cmp_le_u32_e32 vcc_lo, s67, v16
	v_cndmask_b32_e64 v26, 0, -1, vcc_lo
	v_cmp_le_u32_e32 vcc_lo, s66, v14
	;; [unrolled: 2-line block ×3, first 2 shown]
	v_cndmask_b32_e64 v29, 0, -1, vcc_lo
	v_cmp_eq_u32_e32 vcc_lo, s67, v16
	s_delay_alu instid0(VALU_DEP_2) | instskip(SKIP_3) | instid1(VALU_DEP_3)
	v_cndmask_b32_e64 v14, v29, v14, s0
	v_cndmask_b32_e32 v16, v26, v22, vcc_lo
	v_add_co_u32 v22, vcc_lo, v2, 1
	v_add_co_ci_u32_e32 v26, vcc_lo, 0, v12, vcc_lo
	v_cmp_ne_u32_e32 vcc_lo, 0, v16
	s_delay_alu instid0(VALU_DEP_2) | instskip(NEXT) | instid1(VALU_DEP_4)
	v_cndmask_b32_e32 v15, v26, v25, vcc_lo
	v_cndmask_b32_e32 v16, v22, v24, vcc_lo
	v_cmp_ne_u32_e32 vcc_lo, 0, v14
	v_xor_b32_e32 v22, s64, v19
	s_delay_alu instid0(VALU_DEP_3) | instskip(SKIP_1) | instid1(VALU_DEP_2)
	v_cndmask_b32_e32 v2, v2, v16, vcc_lo
	v_cndmask_b32_e32 v12, v12, v15, vcc_lo
	v_xor_b32_e32 v2, v2, v22
	s_delay_alu instid0(VALU_DEP_2) | instskip(NEXT) | instid1(VALU_DEP_2)
	v_xor_b32_e32 v12, v12, v22
	v_sub_co_u32 v14, vcc_lo, v2, v22
	s_delay_alu instid0(VALU_DEP_2)
	v_sub_co_ci_u32_e32 v15, vcc_lo, v12, v22, vcc_lo
.LBB7_13:                               ;   in Loop: Header=BB7_3 Depth=1
	s_and_not1_saveexec_b32 s0, s1
	s_cbranch_execz .LBB7_15
; %bb.14:                               ;   in Loop: Header=BB7_3 Depth=1
	v_rcp_iflag_f32_e32 v2, v31
	s_sub_i32 s1, 0, s34
	s_waitcnt_depctr 0xfff
	v_mul_f32_e32 v2, 0x4f7ffffe, v2
	s_delay_alu instid0(VALU_DEP_1) | instskip(NEXT) | instid1(VALU_DEP_1)
	v_cvt_u32_f32_e32 v2, v2
	v_mul_lo_u32 v12, s1, v2
	s_delay_alu instid0(VALU_DEP_1) | instskip(NEXT) | instid1(VALU_DEP_1)
	v_mul_hi_u32 v12, v2, v12
	v_add_nc_u32_e32 v2, v2, v12
	s_delay_alu instid0(VALU_DEP_1) | instskip(NEXT) | instid1(VALU_DEP_1)
	v_mul_hi_u32 v2, v21, v2
	v_mul_lo_u32 v12, v2, s34
	v_add_nc_u32_e32 v14, 1, v2
	s_delay_alu instid0(VALU_DEP_2) | instskip(NEXT) | instid1(VALU_DEP_1)
	v_sub_nc_u32_e32 v12, v21, v12
	v_subrev_nc_u32_e32 v15, s34, v12
	v_cmp_le_u32_e32 vcc_lo, s34, v12
	s_delay_alu instid0(VALU_DEP_2) | instskip(SKIP_1) | instid1(VALU_DEP_2)
	v_dual_cndmask_b32 v12, v12, v15 :: v_dual_mov_b32 v15, v1
	v_cndmask_b32_e32 v2, v2, v14, vcc_lo
	v_cmp_le_u32_e32 vcc_lo, s34, v12
	s_delay_alu instid0(VALU_DEP_2) | instskip(NEXT) | instid1(VALU_DEP_1)
	v_add_nc_u32_e32 v14, 1, v2
	v_cndmask_b32_e32 v14, v2, v14, vcc_lo
.LBB7_15:                               ;   in Loop: Header=BB7_3 Depth=1
	s_or_b32 exec_lo, exec_lo, s0
	s_delay_alu instid0(VALU_DEP_1) | instskip(NEXT) | instid1(VALU_DEP_2)
	v_mul_lo_u32 v2, v15, s34
	v_mul_lo_u32 v12, v14, s35
	v_mad_u64_u32 v[24:25], null, v14, s34, 0
	v_mul_lo_u32 v22, v14, s9
	s_mov_b32 s0, exec_lo
	s_delay_alu instid0(VALU_DEP_2) | instskip(SKIP_1) | instid1(VALU_DEP_4)
	v_add3_u32 v2, v25, v12, v2
	v_mul_lo_u32 v12, v15, s8
	v_sub_co_u32 v15, vcc_lo, v7, v24
	s_delay_alu instid0(VALU_DEP_3) | instskip(NEXT) | instid1(VALU_DEP_2)
	v_sub_co_ci_u32_e32 v2, vcc_lo, v8, v2, vcc_lo
	v_add_co_u32 v26, vcc_lo, v3, v15
	v_mad_u64_u32 v[15:16], null, v14, s8, 0
	s_delay_alu instid0(VALU_DEP_3) | instskip(NEXT) | instid1(VALU_DEP_3)
	v_add_co_ci_u32_e32 v2, vcc_lo, v4, v2, vcc_lo
	v_mul_lo_u32 v14, v26, s11
	v_mad_u64_u32 v[24:25], null, v26, s10, 0
	s_delay_alu instid0(VALU_DEP_3) | instskip(SKIP_1) | instid1(VALU_DEP_2)
	v_mul_lo_u32 v2, v2, s10
	v_add3_u32 v16, v16, v22, v12
	v_add3_u32 v25, v25, v14, v2
	s_delay_alu instid0(VALU_DEP_2) | instskip(SKIP_1) | instid1(VALU_DEP_3)
	v_lshlrev_b64 v[14:15], 2, v[15:16]
	v_mov_b32_e32 v16, v11
	v_lshlrev_b64 v[24:25], 2, v[24:25]
	s_delay_alu instid0(VALU_DEP_3) | instskip(NEXT) | instid1(VALU_DEP_4)
	v_add_co_u32 v2, vcc_lo, s2, v14
	v_add_co_ci_u32_e32 v12, vcc_lo, s3, v15, vcc_lo
	s_delay_alu instid0(VALU_DEP_2) | instskip(NEXT) | instid1(VALU_DEP_2)
	v_add_co_u32 v14, vcc_lo, v2, v24
	v_add_co_ci_u32_e32 v15, vcc_lo, v12, v25, vcc_lo
	v_add_co_u32 v2, vcc_lo, v13, 2
	v_add_co_ci_u32_e32 v11, vcc_lo, 0, v16, vcc_lo
	global_load_b32 v29, v[14:15], off
	v_mul_lo_u32 v14, s5, v2
	v_mul_lo_u32 v15, s4, v11
	v_mad_u64_u32 v[11:12], null, s4, v2, 0
	s_delay_alu instid0(VALU_DEP_1) | instskip(NEXT) | instid1(VALU_DEP_2)
	v_add3_u32 v12, v12, v15, v14
	v_add_co_u32 v25, vcc_lo, v3, v11
                                        ; implicit-def: $vgpr14_vgpr15
	s_delay_alu instid0(VALU_DEP_2) | instskip(NEXT) | instid1(VALU_DEP_1)
	v_add_co_ci_u32_e32 v26, vcc_lo, v4, v12, vcc_lo
	v_or_b32_e32 v2, s35, v26
	v_ashrrev_i32_e32 v22, 31, v26
	s_delay_alu instid0(VALU_DEP_2)
	v_cmpx_ne_u64_e32 0, v[1:2]
	s_xor_b32 s1, exec_lo, s0
	s_cbranch_execz .LBB7_17
; %bb.16:                               ;   in Loop: Header=BB7_3 Depth=1
	s_ashr_i32 s64, s35, 31
	s_delay_alu instid0(SALU_CYCLE_1) | instskip(SKIP_2) | instid1(SALU_CYCLE_1)
	s_add_u32 s66, s34, s64
	s_mov_b32 s65, s64
	s_addc_u32 s67, s35, s64
	s_xor_b64 s[66:67], s[66:67], s[64:65]
	s_delay_alu instid0(SALU_CYCLE_1) | instskip(SKIP_3) | instid1(VALU_DEP_1)
	v_cvt_f32_u32_e32 v2, s66
	v_cvt_f32_u32_e32 v14, s67
	s_sub_u32 s0, 0, s66
	s_subb_u32 s65, 0, s67
	v_fmac_f32_e32 v2, 0x4f800000, v14
	s_delay_alu instid0(VALU_DEP_1) | instskip(SKIP_2) | instid1(VALU_DEP_1)
	v_rcp_f32_e32 v2, v2
	s_waitcnt_depctr 0xfff
	v_mul_f32_e32 v2, 0x5f7ffffc, v2
	v_mul_f32_e32 v14, 0x2f800000, v2
	s_delay_alu instid0(VALU_DEP_1) | instskip(NEXT) | instid1(VALU_DEP_1)
	v_trunc_f32_e32 v14, v14
	v_fmac_f32_e32 v2, 0xcf800000, v14
	v_cvt_u32_f32_e32 v14, v14
	s_delay_alu instid0(VALU_DEP_2) | instskip(NEXT) | instid1(VALU_DEP_2)
	v_cvt_u32_f32_e32 v2, v2
	v_mul_lo_u32 v15, s0, v14
	s_delay_alu instid0(VALU_DEP_2) | instskip(SKIP_1) | instid1(VALU_DEP_2)
	v_mul_hi_u32 v24, s0, v2
	v_mul_lo_u32 v30, s65, v2
	v_add_nc_u32_e32 v15, v24, v15
	v_mul_lo_u32 v24, s0, v2
	s_delay_alu instid0(VALU_DEP_2) | instskip(NEXT) | instid1(VALU_DEP_2)
	v_add_nc_u32_e32 v15, v15, v30
	v_mul_hi_u32 v30, v2, v24
	s_delay_alu instid0(VALU_DEP_2)
	v_mul_lo_u32 v32, v2, v15
	v_mul_hi_u32 v33, v2, v15
	v_mul_hi_u32 v34, v14, v24
	v_mul_lo_u32 v24, v14, v24
	v_mul_hi_u32 v35, v14, v15
	v_mul_lo_u32 v15, v14, v15
	v_add_co_u32 v30, vcc_lo, v30, v32
	v_add_co_ci_u32_e32 v32, vcc_lo, 0, v33, vcc_lo
	s_delay_alu instid0(VALU_DEP_2) | instskip(NEXT) | instid1(VALU_DEP_2)
	v_add_co_u32 v24, vcc_lo, v30, v24
	v_add_co_ci_u32_e32 v24, vcc_lo, v32, v34, vcc_lo
	v_add_co_ci_u32_e32 v30, vcc_lo, 0, v35, vcc_lo
	s_delay_alu instid0(VALU_DEP_2) | instskip(NEXT) | instid1(VALU_DEP_2)
	v_add_co_u32 v15, vcc_lo, v24, v15
	v_add_co_ci_u32_e32 v24, vcc_lo, 0, v30, vcc_lo
	s_delay_alu instid0(VALU_DEP_2) | instskip(NEXT) | instid1(VALU_DEP_2)
	v_add_co_u32 v2, vcc_lo, v2, v15
	v_add_co_ci_u32_e32 v14, vcc_lo, v14, v24, vcc_lo
	s_delay_alu instid0(VALU_DEP_2) | instskip(SKIP_1) | instid1(VALU_DEP_3)
	v_mul_hi_u32 v15, s0, v2
	v_mul_lo_u32 v30, s65, v2
	v_mul_lo_u32 v24, s0, v14
	s_delay_alu instid0(VALU_DEP_1) | instskip(SKIP_1) | instid1(VALU_DEP_2)
	v_add_nc_u32_e32 v15, v15, v24
	v_mul_lo_u32 v24, s0, v2
	v_add_nc_u32_e32 v15, v15, v30
	s_delay_alu instid0(VALU_DEP_2) | instskip(NEXT) | instid1(VALU_DEP_2)
	v_mul_hi_u32 v30, v2, v24
	v_mul_lo_u32 v32, v2, v15
	v_mul_hi_u32 v33, v2, v15
	v_mul_hi_u32 v34, v14, v24
	v_mul_lo_u32 v24, v14, v24
	v_mul_hi_u32 v35, v14, v15
	v_mul_lo_u32 v15, v14, v15
	v_add_co_u32 v30, vcc_lo, v30, v32
	v_add_co_ci_u32_e32 v32, vcc_lo, 0, v33, vcc_lo
	s_delay_alu instid0(VALU_DEP_2) | instskip(NEXT) | instid1(VALU_DEP_2)
	v_add_co_u32 v24, vcc_lo, v30, v24
	v_add_co_ci_u32_e32 v24, vcc_lo, v32, v34, vcc_lo
	v_add_co_ci_u32_e32 v30, vcc_lo, 0, v35, vcc_lo
	v_add_co_u32 v32, vcc_lo, v25, v22
	v_add_co_ci_u32_e32 v33, vcc_lo, v26, v22, vcc_lo
	s_delay_alu instid0(VALU_DEP_4) | instskip(NEXT) | instid1(VALU_DEP_4)
	v_add_co_u32 v15, vcc_lo, v24, v15
	v_add_co_ci_u32_e32 v24, vcc_lo, 0, v30, vcc_lo
	s_delay_alu instid0(VALU_DEP_4) | instskip(NEXT) | instid1(VALU_DEP_3)
	v_xor_b32_e32 v30, v32, v22
	v_add_co_u32 v2, vcc_lo, v2, v15
	s_delay_alu instid0(VALU_DEP_3) | instskip(SKIP_1) | instid1(VALU_DEP_3)
	v_add_co_ci_u32_e32 v24, vcc_lo, v14, v24, vcc_lo
	v_xor_b32_e32 v36, v33, v22
	v_mul_hi_u32 v37, v30, v2
	s_delay_alu instid0(VALU_DEP_3) | instskip(NEXT) | instid1(VALU_DEP_3)
	v_mad_u64_u32 v[14:15], null, v30, v24, 0
	v_mad_u64_u32 v[32:33], null, v36, v2, 0
	;; [unrolled: 1-line block ×3, first 2 shown]
	s_delay_alu instid0(VALU_DEP_3) | instskip(NEXT) | instid1(VALU_DEP_4)
	v_add_co_u32 v2, vcc_lo, v37, v14
	v_add_co_ci_u32_e32 v14, vcc_lo, 0, v15, vcc_lo
	s_delay_alu instid0(VALU_DEP_2) | instskip(NEXT) | instid1(VALU_DEP_2)
	v_add_co_u32 v2, vcc_lo, v2, v32
	v_add_co_ci_u32_e32 v2, vcc_lo, v14, v33, vcc_lo
	v_add_co_ci_u32_e32 v14, vcc_lo, 0, v35, vcc_lo
	s_delay_alu instid0(VALU_DEP_2) | instskip(NEXT) | instid1(VALU_DEP_2)
	v_add_co_u32 v2, vcc_lo, v2, v34
	v_add_co_ci_u32_e32 v24, vcc_lo, 0, v14, vcc_lo
	s_delay_alu instid0(VALU_DEP_2) | instskip(SKIP_1) | instid1(VALU_DEP_3)
	v_mul_lo_u32 v32, s67, v2
	v_mad_u64_u32 v[14:15], null, s66, v2, 0
	v_mul_lo_u32 v33, s66, v24
	s_delay_alu instid0(VALU_DEP_2) | instskip(NEXT) | instid1(VALU_DEP_2)
	v_sub_co_u32 v14, vcc_lo, v30, v14
	v_add3_u32 v15, v15, v33, v32
	s_delay_alu instid0(VALU_DEP_1) | instskip(NEXT) | instid1(VALU_DEP_1)
	v_sub_nc_u32_e32 v32, v36, v15
	v_subrev_co_ci_u32_e64 v30, s0, s67, v32, vcc_lo
	v_add_co_u32 v32, s0, v2, 2
	s_delay_alu instid0(VALU_DEP_1) | instskip(SKIP_3) | instid1(VALU_DEP_3)
	v_add_co_ci_u32_e64 v33, s0, 0, v24, s0
	v_sub_co_u32 v34, s0, v14, s66
	v_sub_co_ci_u32_e32 v15, vcc_lo, v36, v15, vcc_lo
	v_subrev_co_ci_u32_e64 v30, s0, 0, v30, s0
	v_cmp_le_u32_e32 vcc_lo, s66, v34
	s_delay_alu instid0(VALU_DEP_3) | instskip(SKIP_1) | instid1(VALU_DEP_4)
	v_cmp_eq_u32_e64 s0, s67, v15
	v_cndmask_b32_e64 v34, 0, -1, vcc_lo
	v_cmp_le_u32_e32 vcc_lo, s67, v30
	v_cndmask_b32_e64 v35, 0, -1, vcc_lo
	v_cmp_le_u32_e32 vcc_lo, s66, v14
	;; [unrolled: 2-line block ×3, first 2 shown]
	v_cndmask_b32_e64 v36, 0, -1, vcc_lo
	v_cmp_eq_u32_e32 vcc_lo, s67, v30
	s_delay_alu instid0(VALU_DEP_2) | instskip(SKIP_3) | instid1(VALU_DEP_3)
	v_cndmask_b32_e64 v14, v36, v14, s0
	v_cndmask_b32_e32 v30, v35, v34, vcc_lo
	v_add_co_u32 v34, vcc_lo, v2, 1
	v_add_co_ci_u32_e32 v35, vcc_lo, 0, v24, vcc_lo
	v_cmp_ne_u32_e32 vcc_lo, 0, v30
	s_delay_alu instid0(VALU_DEP_2) | instskip(SKIP_2) | instid1(VALU_DEP_3)
	v_dual_cndmask_b32 v30, v34, v32 :: v_dual_cndmask_b32 v15, v35, v33
	v_cmp_ne_u32_e32 vcc_lo, 0, v14
	v_xor_b32_e32 v32, s64, v22
	v_cndmask_b32_e32 v2, v2, v30, vcc_lo
	s_delay_alu instid0(VALU_DEP_4) | instskip(NEXT) | instid1(VALU_DEP_2)
	v_cndmask_b32_e32 v14, v24, v15, vcc_lo
	v_xor_b32_e32 v2, v2, v32
	s_delay_alu instid0(VALU_DEP_2) | instskip(NEXT) | instid1(VALU_DEP_2)
	v_xor_b32_e32 v15, v14, v32
	v_sub_co_u32 v14, vcc_lo, v2, v32
	s_delay_alu instid0(VALU_DEP_2)
	v_sub_co_ci_u32_e32 v15, vcc_lo, v15, v32, vcc_lo
.LBB7_17:                               ;   in Loop: Header=BB7_3 Depth=1
	s_and_not1_saveexec_b32 s0, s1
	s_cbranch_execz .LBB7_19
; %bb.18:                               ;   in Loop: Header=BB7_3 Depth=1
	v_rcp_iflag_f32_e32 v2, v31
	s_sub_i32 s1, 0, s34
	s_waitcnt_depctr 0xfff
	v_mul_f32_e32 v2, 0x4f7ffffe, v2
	s_delay_alu instid0(VALU_DEP_1) | instskip(NEXT) | instid1(VALU_DEP_1)
	v_cvt_u32_f32_e32 v2, v2
	v_mul_lo_u32 v14, s1, v2
	s_delay_alu instid0(VALU_DEP_1) | instskip(NEXT) | instid1(VALU_DEP_1)
	v_mul_hi_u32 v14, v2, v14
	v_add_nc_u32_e32 v2, v2, v14
	s_delay_alu instid0(VALU_DEP_1) | instskip(NEXT) | instid1(VALU_DEP_1)
	v_mul_hi_u32 v2, v25, v2
	v_mul_lo_u32 v14, v2, s34
	s_delay_alu instid0(VALU_DEP_1) | instskip(NEXT) | instid1(VALU_DEP_1)
	v_sub_nc_u32_e32 v14, v25, v14
	v_subrev_nc_u32_e32 v24, s34, v14
	v_cmp_le_u32_e32 vcc_lo, s34, v14
	s_delay_alu instid0(VALU_DEP_2) | instskip(NEXT) | instid1(VALU_DEP_1)
	v_dual_cndmask_b32 v14, v14, v24 :: v_dual_add_nc_u32 v15, 1, v2
	v_cndmask_b32_e32 v2, v2, v15, vcc_lo
	s_delay_alu instid0(VALU_DEP_2) | instskip(NEXT) | instid1(VALU_DEP_2)
	v_cmp_le_u32_e32 vcc_lo, s34, v14
	v_add_nc_u32_e32 v15, 1, v2
	s_delay_alu instid0(VALU_DEP_1)
	v_dual_cndmask_b32 v14, v2, v15 :: v_dual_mov_b32 v15, v1
.LBB7_19:                               ;   in Loop: Header=BB7_3 Depth=1
	s_or_b32 exec_lo, exec_lo, s0
	s_delay_alu instid0(VALU_DEP_1) | instskip(NEXT) | instid1(VALU_DEP_2)
	v_mul_lo_u32 v2, v15, s34
	v_mul_lo_u32 v24, v14, s35
	v_mad_u64_u32 v[32:33], null, v14, s34, 0
	v_mul_lo_u32 v30, v14, s9
	s_mov_b32 s0, exec_lo
	s_delay_alu instid0(VALU_DEP_2) | instskip(SKIP_1) | instid1(VALU_DEP_4)
	v_add3_u32 v2, v33, v24, v2
	v_mul_lo_u32 v24, v15, s8
	v_sub_co_u32 v15, vcc_lo, v11, v32
	v_mad_u64_u32 v[32:33], null, v14, s8, 0
	s_delay_alu instid0(VALU_DEP_4) | instskip(NEXT) | instid1(VALU_DEP_3)
	v_sub_co_ci_u32_e32 v2, vcc_lo, v12, v2, vcc_lo
	v_add_co_u32 v34, vcc_lo, v3, v15
	s_delay_alu instid0(VALU_DEP_2) | instskip(NEXT) | instid1(VALU_DEP_2)
	v_add_co_ci_u32_e32 v2, vcc_lo, v4, v2, vcc_lo
	v_mul_lo_u32 v35, v34, s11
	v_mad_u64_u32 v[14:15], null, v34, s10, 0
	s_delay_alu instid0(VALU_DEP_3) | instskip(SKIP_1) | instid1(VALU_DEP_1)
	v_mul_lo_u32 v2, v2, s10
	v_add3_u32 v33, v33, v30, v24
	v_lshlrev_b64 v[32:33], 2, v[32:33]
	s_delay_alu instid0(VALU_DEP_3) | instskip(NEXT) | instid1(VALU_DEP_2)
	v_add3_u32 v15, v15, v35, v2
	v_add_co_u32 v2, vcc_lo, s2, v32
	s_delay_alu instid0(VALU_DEP_2) | instskip(NEXT) | instid1(VALU_DEP_4)
	v_lshlrev_b64 v[14:15], 2, v[14:15]
	v_add_co_ci_u32_e32 v24, vcc_lo, s3, v33, vcc_lo
	s_delay_alu instid0(VALU_DEP_2) | instskip(NEXT) | instid1(VALU_DEP_2)
	v_add_co_u32 v14, vcc_lo, v2, v14
	v_add_co_ci_u32_e32 v15, vcc_lo, v24, v15, vcc_lo
	v_add_co_u32 v2, vcc_lo, v13, 3
	v_add_co_ci_u32_e32 v13, vcc_lo, 0, v16, vcc_lo
	global_load_b32 v30, v[14:15], off
	v_mul_lo_u32 v15, s5, v2
	v_mul_lo_u32 v16, s4, v13
	v_mad_u64_u32 v[13:14], null, s4, v2, 0
	s_delay_alu instid0(VALU_DEP_1) | instskip(NEXT) | instid1(VALU_DEP_2)
	v_add3_u32 v14, v14, v16, v15
	v_add_co_u32 v34, vcc_lo, v3, v13
                                        ; implicit-def: $vgpr15_vgpr16
	s_delay_alu instid0(VALU_DEP_2) | instskip(NEXT) | instid1(VALU_DEP_1)
	v_add_co_ci_u32_e32 v35, vcc_lo, v4, v14, vcc_lo
	v_or_b32_e32 v2, s35, v35
	v_ashrrev_i32_e32 v24, 31, v35
	s_delay_alu instid0(VALU_DEP_2)
	v_cmpx_ne_u64_e32 0, v[1:2]
	s_xor_b32 s1, exec_lo, s0
	s_cbranch_execz .LBB7_21
; %bb.20:                               ;   in Loop: Header=BB7_3 Depth=1
	s_ashr_i32 s64, s35, 31
	s_delay_alu instid0(SALU_CYCLE_1) | instskip(SKIP_2) | instid1(SALU_CYCLE_1)
	s_add_u32 s66, s34, s64
	s_mov_b32 s65, s64
	s_addc_u32 s67, s35, s64
	s_xor_b64 s[66:67], s[66:67], s[64:65]
	s_delay_alu instid0(SALU_CYCLE_1) | instskip(SKIP_3) | instid1(VALU_DEP_1)
	v_cvt_f32_u32_e32 v2, s66
	v_cvt_f32_u32_e32 v15, s67
	s_sub_u32 s0, 0, s66
	s_subb_u32 s65, 0, s67
	v_fmac_f32_e32 v2, 0x4f800000, v15
	s_delay_alu instid0(VALU_DEP_1) | instskip(SKIP_2) | instid1(VALU_DEP_1)
	v_rcp_f32_e32 v2, v2
	s_waitcnt_depctr 0xfff
	v_mul_f32_e32 v2, 0x5f7ffffc, v2
	v_mul_f32_e32 v15, 0x2f800000, v2
	s_delay_alu instid0(VALU_DEP_1) | instskip(NEXT) | instid1(VALU_DEP_1)
	v_trunc_f32_e32 v15, v15
	v_fmac_f32_e32 v2, 0xcf800000, v15
	v_cvt_u32_f32_e32 v15, v15
	s_delay_alu instid0(VALU_DEP_2) | instskip(NEXT) | instid1(VALU_DEP_2)
	v_cvt_u32_f32_e32 v2, v2
	v_mul_lo_u32 v16, s0, v15
	s_delay_alu instid0(VALU_DEP_2) | instskip(SKIP_1) | instid1(VALU_DEP_2)
	v_mul_hi_u32 v31, s0, v2
	v_mul_lo_u32 v32, s65, v2
	v_add_nc_u32_e32 v16, v31, v16
	v_mul_lo_u32 v31, s0, v2
	s_delay_alu instid0(VALU_DEP_2) | instskip(NEXT) | instid1(VALU_DEP_2)
	v_add_nc_u32_e32 v16, v16, v32
	v_mul_hi_u32 v32, v2, v31
	s_delay_alu instid0(VALU_DEP_2)
	v_mul_lo_u32 v33, v2, v16
	v_mul_hi_u32 v36, v2, v16
	v_mul_hi_u32 v37, v15, v31
	v_mul_lo_u32 v31, v15, v31
	v_mul_hi_u32 v38, v15, v16
	v_mul_lo_u32 v16, v15, v16
	v_add_co_u32 v32, vcc_lo, v32, v33
	v_add_co_ci_u32_e32 v33, vcc_lo, 0, v36, vcc_lo
	s_delay_alu instid0(VALU_DEP_2) | instskip(NEXT) | instid1(VALU_DEP_2)
	v_add_co_u32 v31, vcc_lo, v32, v31
	v_add_co_ci_u32_e32 v31, vcc_lo, v33, v37, vcc_lo
	v_add_co_ci_u32_e32 v32, vcc_lo, 0, v38, vcc_lo
	s_delay_alu instid0(VALU_DEP_2) | instskip(NEXT) | instid1(VALU_DEP_2)
	v_add_co_u32 v16, vcc_lo, v31, v16
	v_add_co_ci_u32_e32 v31, vcc_lo, 0, v32, vcc_lo
	s_delay_alu instid0(VALU_DEP_2) | instskip(NEXT) | instid1(VALU_DEP_2)
	v_add_co_u32 v2, vcc_lo, v2, v16
	v_add_co_ci_u32_e32 v15, vcc_lo, v15, v31, vcc_lo
	s_delay_alu instid0(VALU_DEP_2) | instskip(SKIP_1) | instid1(VALU_DEP_3)
	v_mul_hi_u32 v16, s0, v2
	v_mul_lo_u32 v32, s65, v2
	v_mul_lo_u32 v31, s0, v15
	s_delay_alu instid0(VALU_DEP_1) | instskip(SKIP_1) | instid1(VALU_DEP_2)
	v_add_nc_u32_e32 v16, v16, v31
	v_mul_lo_u32 v31, s0, v2
	v_add_nc_u32_e32 v16, v16, v32
	s_delay_alu instid0(VALU_DEP_2) | instskip(NEXT) | instid1(VALU_DEP_2)
	v_mul_hi_u32 v32, v2, v31
	v_mul_lo_u32 v33, v2, v16
	v_mul_hi_u32 v36, v2, v16
	v_mul_hi_u32 v37, v15, v31
	v_mul_lo_u32 v31, v15, v31
	v_mul_hi_u32 v38, v15, v16
	v_mul_lo_u32 v16, v15, v16
	v_add_co_u32 v32, vcc_lo, v32, v33
	v_add_co_ci_u32_e32 v33, vcc_lo, 0, v36, vcc_lo
	s_delay_alu instid0(VALU_DEP_2) | instskip(NEXT) | instid1(VALU_DEP_2)
	v_add_co_u32 v31, vcc_lo, v32, v31
	v_add_co_ci_u32_e32 v31, vcc_lo, v33, v37, vcc_lo
	v_add_co_ci_u32_e32 v32, vcc_lo, 0, v38, vcc_lo
	v_add_co_u32 v33, vcc_lo, v34, v24
	v_add_co_ci_u32_e32 v36, vcc_lo, v35, v24, vcc_lo
	s_delay_alu instid0(VALU_DEP_4) | instskip(NEXT) | instid1(VALU_DEP_4)
	v_add_co_u32 v16, vcc_lo, v31, v16
	v_add_co_ci_u32_e32 v31, vcc_lo, 0, v32, vcc_lo
	s_delay_alu instid0(VALU_DEP_4) | instskip(NEXT) | instid1(VALU_DEP_3)
	v_xor_b32_e32 v33, v33, v24
	v_add_co_u32 v2, vcc_lo, v2, v16
	s_delay_alu instid0(VALU_DEP_3) | instskip(SKIP_1) | instid1(VALU_DEP_3)
	v_add_co_ci_u32_e32 v38, vcc_lo, v15, v31, vcc_lo
	v_xor_b32_e32 v39, v36, v24
	v_mul_hi_u32 v40, v33, v2
	s_delay_alu instid0(VALU_DEP_3) | instskip(NEXT) | instid1(VALU_DEP_3)
	v_mad_u64_u32 v[15:16], null, v33, v38, 0
	v_mad_u64_u32 v[31:32], null, v39, v2, 0
	;; [unrolled: 1-line block ×3, first 2 shown]
	s_delay_alu instid0(VALU_DEP_3) | instskip(NEXT) | instid1(VALU_DEP_4)
	v_add_co_u32 v2, vcc_lo, v40, v15
	v_add_co_ci_u32_e32 v15, vcc_lo, 0, v16, vcc_lo
	s_delay_alu instid0(VALU_DEP_2) | instskip(NEXT) | instid1(VALU_DEP_2)
	v_add_co_u32 v2, vcc_lo, v2, v31
	v_add_co_ci_u32_e32 v2, vcc_lo, v15, v32, vcc_lo
	v_add_co_ci_u32_e32 v15, vcc_lo, 0, v37, vcc_lo
	s_delay_alu instid0(VALU_DEP_2) | instskip(NEXT) | instid1(VALU_DEP_2)
	v_add_co_u32 v2, vcc_lo, v2, v36
	v_add_co_ci_u32_e32 v31, vcc_lo, 0, v15, vcc_lo
	s_delay_alu instid0(VALU_DEP_2) | instskip(SKIP_1) | instid1(VALU_DEP_3)
	v_mul_lo_u32 v32, s67, v2
	v_mad_u64_u32 v[15:16], null, s66, v2, 0
	v_mul_lo_u32 v36, s66, v31
	s_delay_alu instid0(VALU_DEP_2) | instskip(NEXT) | instid1(VALU_DEP_2)
	v_sub_co_u32 v15, vcc_lo, v33, v15
	v_add3_u32 v16, v16, v36, v32
	s_delay_alu instid0(VALU_DEP_1) | instskip(NEXT) | instid1(VALU_DEP_1)
	v_sub_nc_u32_e32 v32, v39, v16
	v_subrev_co_ci_u32_e64 v32, s0, s67, v32, vcc_lo
	v_add_co_u32 v33, s0, v2, 2
	s_delay_alu instid0(VALU_DEP_1) | instskip(SKIP_3) | instid1(VALU_DEP_3)
	v_add_co_ci_u32_e64 v36, s0, 0, v31, s0
	v_sub_co_u32 v37, s0, v15, s66
	v_sub_co_ci_u32_e32 v16, vcc_lo, v39, v16, vcc_lo
	v_subrev_co_ci_u32_e64 v32, s0, 0, v32, s0
	v_cmp_le_u32_e32 vcc_lo, s66, v37
	s_delay_alu instid0(VALU_DEP_3) | instskip(SKIP_1) | instid1(VALU_DEP_4)
	v_cmp_eq_u32_e64 s0, s67, v16
	v_cndmask_b32_e64 v37, 0, -1, vcc_lo
	v_cmp_le_u32_e32 vcc_lo, s67, v32
	v_cndmask_b32_e64 v38, 0, -1, vcc_lo
	v_cmp_le_u32_e32 vcc_lo, s66, v15
	;; [unrolled: 2-line block ×3, first 2 shown]
	v_cndmask_b32_e64 v39, 0, -1, vcc_lo
	v_cmp_eq_u32_e32 vcc_lo, s67, v32
	s_delay_alu instid0(VALU_DEP_2) | instskip(SKIP_3) | instid1(VALU_DEP_3)
	v_cndmask_b32_e64 v15, v39, v15, s0
	v_cndmask_b32_e32 v32, v38, v37, vcc_lo
	v_add_co_u32 v37, vcc_lo, v2, 1
	v_add_co_ci_u32_e32 v38, vcc_lo, 0, v31, vcc_lo
	v_cmp_ne_u32_e32 vcc_lo, 0, v32
	s_delay_alu instid0(VALU_DEP_2) | instskip(NEXT) | instid1(VALU_DEP_4)
	v_cndmask_b32_e32 v16, v38, v36, vcc_lo
	v_cndmask_b32_e32 v32, v37, v33, vcc_lo
	v_cmp_ne_u32_e32 vcc_lo, 0, v15
	v_xor_b32_e32 v33, s64, v24
	s_delay_alu instid0(VALU_DEP_3) | instskip(SKIP_1) | instid1(VALU_DEP_2)
	v_cndmask_b32_e32 v2, v2, v32, vcc_lo
	v_cndmask_b32_e32 v15, v31, v16, vcc_lo
                                        ; implicit-def: $vgpr31
	v_xor_b32_e32 v2, v2, v33
	s_delay_alu instid0(VALU_DEP_2) | instskip(NEXT) | instid1(VALU_DEP_2)
	v_xor_b32_e32 v16, v15, v33
	v_sub_co_u32 v15, vcc_lo, v2, v33
	s_delay_alu instid0(VALU_DEP_2)
	v_sub_co_ci_u32_e32 v16, vcc_lo, v16, v33, vcc_lo
.LBB7_21:                               ;   in Loop: Header=BB7_3 Depth=1
	s_and_not1_saveexec_b32 s0, s1
	s_cbranch_execz .LBB7_23
; %bb.22:                               ;   in Loop: Header=BB7_3 Depth=1
	v_rcp_iflag_f32_e32 v2, v31
	s_sub_i32 s1, 0, s34
	s_waitcnt_depctr 0xfff
	v_mul_f32_e32 v2, 0x4f7ffffe, v2
	s_delay_alu instid0(VALU_DEP_1) | instskip(NEXT) | instid1(VALU_DEP_1)
	v_cvt_u32_f32_e32 v2, v2
	v_mul_lo_u32 v15, s1, v2
	s_delay_alu instid0(VALU_DEP_1) | instskip(NEXT) | instid1(VALU_DEP_1)
	v_mul_hi_u32 v15, v2, v15
	v_add_nc_u32_e32 v2, v2, v15
	s_delay_alu instid0(VALU_DEP_1) | instskip(NEXT) | instid1(VALU_DEP_1)
	v_mul_hi_u32 v2, v34, v2
	v_mul_lo_u32 v15, v2, s34
	v_add_nc_u32_e32 v16, 1, v2
	s_delay_alu instid0(VALU_DEP_2) | instskip(NEXT) | instid1(VALU_DEP_1)
	v_sub_nc_u32_e32 v15, v34, v15
	v_subrev_nc_u32_e32 v31, s34, v15
	v_cmp_le_u32_e32 vcc_lo, s34, v15
	s_delay_alu instid0(VALU_DEP_2) | instskip(NEXT) | instid1(VALU_DEP_1)
	v_dual_cndmask_b32 v15, v15, v31 :: v_dual_cndmask_b32 v2, v2, v16
	v_cmp_le_u32_e32 vcc_lo, s34, v15
	s_delay_alu instid0(VALU_DEP_2) | instskip(NEXT) | instid1(VALU_DEP_1)
	v_add_nc_u32_e32 v16, 1, v2
	v_dual_cndmask_b32 v15, v2, v16 :: v_dual_mov_b32 v16, v1
.LBB7_23:                               ;   in Loop: Header=BB7_3 Depth=1
	s_or_b32 exec_lo, exec_lo, s0
	s_delay_alu instid0(VALU_DEP_1) | instskip(NEXT) | instid1(VALU_DEP_2)
	v_mul_lo_u32 v2, v16, s34
	v_mul_lo_u32 v33, v15, s35
	v_mad_u64_u32 v[31:32], null, v15, s34, 0
	v_mul_lo_u32 v36, v15, s9
	s_mov_b32 s0, exec_lo
	s_delay_alu instid0(VALU_DEP_2) | instskip(SKIP_1) | instid1(VALU_DEP_4)
	v_add3_u32 v2, v32, v33, v2
	v_mul_lo_u32 v33, v16, s8
	v_sub_co_u32 v16, vcc_lo, v13, v31
	v_mad_u64_u32 v[31:32], null, v15, s8, 0
	s_delay_alu instid0(VALU_DEP_4) | instskip(NEXT) | instid1(VALU_DEP_3)
	v_sub_co_ci_u32_e32 v2, vcc_lo, v14, v2, vcc_lo
	v_add_co_u32 v37, vcc_lo, v3, v16
	s_delay_alu instid0(VALU_DEP_2) | instskip(NEXT) | instid1(VALU_DEP_2)
	v_add_co_ci_u32_e32 v2, vcc_lo, v4, v2, vcc_lo
	v_mul_lo_u32 v38, v37, s11
	v_mad_u64_u32 v[15:16], null, v37, s10, 0
	s_delay_alu instid0(VALU_DEP_3) | instskip(SKIP_1) | instid1(VALU_DEP_1)
	v_mul_lo_u32 v2, v2, s10
	v_add3_u32 v32, v32, v36, v33
	v_lshlrev_b64 v[31:32], 2, v[31:32]
	s_delay_alu instid0(VALU_DEP_3) | instskip(NEXT) | instid1(VALU_DEP_2)
	v_add3_u32 v16, v16, v38, v2
	v_add_co_u32 v2, vcc_lo, s2, v31
	s_delay_alu instid0(VALU_DEP_2) | instskip(NEXT) | instid1(VALU_DEP_4)
	v_lshlrev_b64 v[15:16], 2, v[15:16]
	v_add_co_ci_u32_e32 v31, vcc_lo, s3, v32, vcc_lo
	s_delay_alu instid0(VALU_DEP_2) | instskip(NEXT) | instid1(VALU_DEP_2)
	v_add_co_u32 v15, vcc_lo, v2, v15
	v_add_co_ci_u32_e32 v16, vcc_lo, v31, v16, vcc_lo
	v_or_b32_e32 v2, s41, v20
	global_load_b32 v31, v[15:16], off
                                        ; implicit-def: $vgpr15_vgpr16
	v_cmpx_ne_u64_e32 0, v[1:2]
	s_xor_b32 s1, exec_lo, s0
	s_cbranch_execz .LBB7_25
; %bb.24:                               ;   in Loop: Header=BB7_3 Depth=1
	s_ashr_i32 s64, s41, 31
	s_delay_alu instid0(SALU_CYCLE_1) | instskip(SKIP_2) | instid1(SALU_CYCLE_1)
	s_add_u32 s66, s40, s64
	s_mov_b32 s65, s64
	s_addc_u32 s67, s41, s64
	s_xor_b64 s[66:67], s[66:67], s[64:65]
	s_delay_alu instid0(SALU_CYCLE_1) | instskip(SKIP_3) | instid1(VALU_DEP_1)
	v_cvt_f32_u32_e32 v2, s66
	v_cvt_f32_u32_e32 v15, s67
	s_sub_u32 s0, 0, s66
	s_subb_u32 s65, 0, s67
	v_fmac_f32_e32 v2, 0x4f800000, v15
	s_delay_alu instid0(VALU_DEP_1) | instskip(SKIP_2) | instid1(VALU_DEP_1)
	v_rcp_f32_e32 v2, v2
	s_waitcnt_depctr 0xfff
	v_mul_f32_e32 v2, 0x5f7ffffc, v2
	v_mul_f32_e32 v15, 0x2f800000, v2
	s_delay_alu instid0(VALU_DEP_1) | instskip(NEXT) | instid1(VALU_DEP_1)
	v_trunc_f32_e32 v15, v15
	v_fmac_f32_e32 v2, 0xcf800000, v15
	v_cvt_u32_f32_e32 v15, v15
	s_delay_alu instid0(VALU_DEP_2) | instskip(NEXT) | instid1(VALU_DEP_2)
	v_cvt_u32_f32_e32 v2, v2
	v_mul_lo_u32 v16, s0, v15
	s_delay_alu instid0(VALU_DEP_2) | instskip(SKIP_1) | instid1(VALU_DEP_2)
	v_mul_hi_u32 v32, s0, v2
	v_mul_lo_u32 v33, s65, v2
	v_add_nc_u32_e32 v16, v32, v16
	v_mul_lo_u32 v32, s0, v2
	s_delay_alu instid0(VALU_DEP_2) | instskip(NEXT) | instid1(VALU_DEP_2)
	v_add_nc_u32_e32 v16, v16, v33
	v_mul_hi_u32 v33, v2, v32
	s_delay_alu instid0(VALU_DEP_2)
	v_mul_lo_u32 v36, v2, v16
	v_mul_hi_u32 v37, v2, v16
	v_mul_hi_u32 v38, v15, v32
	v_mul_lo_u32 v32, v15, v32
	v_mul_hi_u32 v39, v15, v16
	v_mul_lo_u32 v16, v15, v16
	v_add_co_u32 v33, vcc_lo, v33, v36
	v_add_co_ci_u32_e32 v36, vcc_lo, 0, v37, vcc_lo
	s_delay_alu instid0(VALU_DEP_2) | instskip(NEXT) | instid1(VALU_DEP_2)
	v_add_co_u32 v32, vcc_lo, v33, v32
	v_add_co_ci_u32_e32 v32, vcc_lo, v36, v38, vcc_lo
	v_add_co_ci_u32_e32 v33, vcc_lo, 0, v39, vcc_lo
	s_delay_alu instid0(VALU_DEP_2) | instskip(NEXT) | instid1(VALU_DEP_2)
	v_add_co_u32 v16, vcc_lo, v32, v16
	v_add_co_ci_u32_e32 v32, vcc_lo, 0, v33, vcc_lo
	s_delay_alu instid0(VALU_DEP_2) | instskip(NEXT) | instid1(VALU_DEP_2)
	v_add_co_u32 v2, vcc_lo, v2, v16
	v_add_co_ci_u32_e32 v15, vcc_lo, v15, v32, vcc_lo
	s_delay_alu instid0(VALU_DEP_2) | instskip(SKIP_1) | instid1(VALU_DEP_3)
	v_mul_hi_u32 v16, s0, v2
	v_mul_lo_u32 v33, s65, v2
	v_mul_lo_u32 v32, s0, v15
	s_delay_alu instid0(VALU_DEP_1) | instskip(SKIP_1) | instid1(VALU_DEP_2)
	v_add_nc_u32_e32 v16, v16, v32
	v_mul_lo_u32 v32, s0, v2
	v_add_nc_u32_e32 v16, v16, v33
	s_delay_alu instid0(VALU_DEP_2) | instskip(NEXT) | instid1(VALU_DEP_2)
	v_mul_hi_u32 v33, v2, v32
	v_mul_lo_u32 v36, v2, v16
	v_mul_hi_u32 v37, v2, v16
	v_mul_hi_u32 v38, v15, v32
	v_mul_lo_u32 v32, v15, v32
	v_mul_hi_u32 v39, v15, v16
	v_mul_lo_u32 v16, v15, v16
	v_add_co_u32 v33, vcc_lo, v33, v36
	v_add_co_ci_u32_e32 v36, vcc_lo, 0, v37, vcc_lo
	s_delay_alu instid0(VALU_DEP_2) | instskip(NEXT) | instid1(VALU_DEP_2)
	v_add_co_u32 v32, vcc_lo, v33, v32
	v_add_co_ci_u32_e32 v32, vcc_lo, v36, v38, vcc_lo
	v_add_co_ci_u32_e32 v33, vcc_lo, 0, v39, vcc_lo
	v_add_co_u32 v36, vcc_lo, v18, v17
	v_add_co_ci_u32_e32 v37, vcc_lo, v20, v17, vcc_lo
	s_delay_alu instid0(VALU_DEP_4) | instskip(NEXT) | instid1(VALU_DEP_4)
	v_add_co_u32 v16, vcc_lo, v32, v16
	v_add_co_ci_u32_e32 v32, vcc_lo, 0, v33, vcc_lo
	s_delay_alu instid0(VALU_DEP_4) | instskip(NEXT) | instid1(VALU_DEP_3)
	v_xor_b32_e32 v38, v36, v17
	v_add_co_u32 v2, vcc_lo, v2, v16
	s_delay_alu instid0(VALU_DEP_3) | instskip(SKIP_1) | instid1(VALU_DEP_3)
	v_add_co_ci_u32_e32 v39, vcc_lo, v15, v32, vcc_lo
	v_xor_b32_e32 v40, v37, v17
	v_mul_hi_u32 v41, v38, v2
	s_delay_alu instid0(VALU_DEP_3) | instskip(NEXT) | instid1(VALU_DEP_3)
	v_mad_u64_u32 v[15:16], null, v38, v39, 0
	v_mad_u64_u32 v[32:33], null, v40, v2, 0
	;; [unrolled: 1-line block ×3, first 2 shown]
	s_delay_alu instid0(VALU_DEP_3) | instskip(NEXT) | instid1(VALU_DEP_4)
	v_add_co_u32 v2, vcc_lo, v41, v15
	v_add_co_ci_u32_e32 v15, vcc_lo, 0, v16, vcc_lo
	s_delay_alu instid0(VALU_DEP_2) | instskip(NEXT) | instid1(VALU_DEP_2)
	v_add_co_u32 v2, vcc_lo, v2, v32
	v_add_co_ci_u32_e32 v2, vcc_lo, v15, v33, vcc_lo
	v_add_co_ci_u32_e32 v15, vcc_lo, 0, v37, vcc_lo
	s_delay_alu instid0(VALU_DEP_2) | instskip(NEXT) | instid1(VALU_DEP_2)
	v_add_co_u32 v2, vcc_lo, v2, v36
	v_add_co_ci_u32_e32 v32, vcc_lo, 0, v15, vcc_lo
	s_delay_alu instid0(VALU_DEP_2) | instskip(SKIP_1) | instid1(VALU_DEP_3)
	v_mul_lo_u32 v33, s67, v2
	v_mad_u64_u32 v[15:16], null, s66, v2, 0
	v_mul_lo_u32 v36, s66, v32
	s_delay_alu instid0(VALU_DEP_2) | instskip(NEXT) | instid1(VALU_DEP_2)
	v_sub_co_u32 v15, vcc_lo, v38, v15
	v_add3_u32 v16, v16, v36, v33
	s_delay_alu instid0(VALU_DEP_1) | instskip(NEXT) | instid1(VALU_DEP_1)
	v_sub_nc_u32_e32 v33, v40, v16
	v_subrev_co_ci_u32_e64 v33, s0, s67, v33, vcc_lo
	v_add_co_u32 v36, s0, v2, 2
	s_delay_alu instid0(VALU_DEP_1) | instskip(SKIP_3) | instid1(VALU_DEP_3)
	v_add_co_ci_u32_e64 v37, s0, 0, v32, s0
	v_sub_co_u32 v38, s0, v15, s66
	v_sub_co_ci_u32_e32 v16, vcc_lo, v40, v16, vcc_lo
	v_subrev_co_ci_u32_e64 v33, s0, 0, v33, s0
	v_cmp_le_u32_e32 vcc_lo, s66, v38
	s_delay_alu instid0(VALU_DEP_3) | instskip(SKIP_1) | instid1(VALU_DEP_4)
	v_cmp_eq_u32_e64 s0, s67, v16
	v_cndmask_b32_e64 v38, 0, -1, vcc_lo
	v_cmp_le_u32_e32 vcc_lo, s67, v33
	v_cndmask_b32_e64 v39, 0, -1, vcc_lo
	v_cmp_le_u32_e32 vcc_lo, s66, v15
	;; [unrolled: 2-line block ×3, first 2 shown]
	v_cndmask_b32_e64 v40, 0, -1, vcc_lo
	v_cmp_eq_u32_e32 vcc_lo, s67, v33
	s_delay_alu instid0(VALU_DEP_2) | instskip(SKIP_3) | instid1(VALU_DEP_3)
	v_cndmask_b32_e64 v15, v40, v15, s0
	v_cndmask_b32_e32 v33, v39, v38, vcc_lo
	v_add_co_u32 v38, vcc_lo, v2, 1
	v_add_co_ci_u32_e32 v39, vcc_lo, 0, v32, vcc_lo
	v_cmp_ne_u32_e32 vcc_lo, 0, v33
	s_delay_alu instid0(VALU_DEP_2) | instskip(SKIP_2) | instid1(VALU_DEP_3)
	v_dual_cndmask_b32 v16, v39, v37 :: v_dual_cndmask_b32 v33, v38, v36
	v_cmp_ne_u32_e32 vcc_lo, 0, v15
	v_xor_b32_e32 v36, s64, v17
	v_dual_cndmask_b32 v15, v32, v16 :: v_dual_cndmask_b32 v2, v2, v33
	s_delay_alu instid0(VALU_DEP_1) | instskip(NEXT) | instid1(VALU_DEP_2)
	v_xor_b32_e32 v16, v15, v36
	v_xor_b32_e32 v2, v2, v36
	s_delay_alu instid0(VALU_DEP_1) | instskip(NEXT) | instid1(VALU_DEP_3)
	v_sub_co_u32 v15, vcc_lo, v2, v36
	v_sub_co_ci_u32_e32 v16, vcc_lo, v16, v36, vcc_lo
.LBB7_25:                               ;   in Loop: Header=BB7_3 Depth=1
	s_or_saveexec_b32 s0, s1
	v_cvt_f32_u32_e32 v37, s40
	s_xor_b32 exec_lo, exec_lo, s0
	s_cbranch_execz .LBB7_27
; %bb.26:                               ;   in Loop: Header=BB7_3 Depth=1
	s_delay_alu instid0(VALU_DEP_1) | instskip(SKIP_3) | instid1(VALU_DEP_1)
	v_rcp_iflag_f32_e32 v2, v37
	s_sub_i32 s1, 0, s40
	s_waitcnt_depctr 0xfff
	v_mul_f32_e32 v2, 0x4f7ffffe, v2
	v_cvt_u32_f32_e32 v2, v2
	s_delay_alu instid0(VALU_DEP_1) | instskip(NEXT) | instid1(VALU_DEP_1)
	v_mul_lo_u32 v15, s1, v2
	v_mul_hi_u32 v15, v2, v15
	s_delay_alu instid0(VALU_DEP_1) | instskip(NEXT) | instid1(VALU_DEP_1)
	v_add_nc_u32_e32 v2, v2, v15
	v_mul_hi_u32 v2, v18, v2
	s_delay_alu instid0(VALU_DEP_1) | instskip(SKIP_1) | instid1(VALU_DEP_2)
	v_mul_lo_u32 v15, v2, s40
	v_add_nc_u32_e32 v16, 1, v2
	v_sub_nc_u32_e32 v15, v18, v15
	s_delay_alu instid0(VALU_DEP_1) | instskip(SKIP_1) | instid1(VALU_DEP_2)
	v_subrev_nc_u32_e32 v32, s40, v15
	v_cmp_le_u32_e32 vcc_lo, s40, v15
	v_cndmask_b32_e32 v15, v15, v32, vcc_lo
	v_cndmask_b32_e32 v2, v2, v16, vcc_lo
	s_delay_alu instid0(VALU_DEP_2) | instskip(NEXT) | instid1(VALU_DEP_2)
	v_cmp_le_u32_e32 vcc_lo, s40, v15
	v_add_nc_u32_e32 v16, 1, v2
	s_delay_alu instid0(VALU_DEP_1)
	v_dual_cndmask_b32 v15, v2, v16 :: v_dual_mov_b32 v16, v1
.LBB7_27:                               ;   in Loop: Header=BB7_3 Depth=1
	s_or_b32 exec_lo, exec_lo, s0
	s_delay_alu instid0(VALU_DEP_1) | instskip(NEXT) | instid1(VALU_DEP_2)
	v_mul_lo_u32 v2, v16, s40
	v_mul_lo_u32 v36, v15, s41
	v_mad_u64_u32 v[32:33], null, v15, s40, 0
	v_mul_lo_u32 v38, v15, s13
	s_mov_b32 s0, exec_lo
	s_delay_alu instid0(VALU_DEP_2) | instskip(SKIP_1) | instid1(VALU_DEP_4)
	v_add3_u32 v2, v33, v36, v2
	v_mul_lo_u32 v36, v16, s12
	v_sub_co_u32 v16, vcc_lo, v5, v32
	v_mad_u64_u32 v[32:33], null, v15, s12, 0
	s_delay_alu instid0(VALU_DEP_4) | instskip(NEXT) | instid1(VALU_DEP_3)
	v_sub_co_ci_u32_e32 v2, vcc_lo, v6, v2, vcc_lo
	v_add_co_u32 v39, vcc_lo, v3, v16
	s_delay_alu instid0(VALU_DEP_2) | instskip(NEXT) | instid1(VALU_DEP_2)
	v_add_co_ci_u32_e32 v2, vcc_lo, v4, v2, vcc_lo
	v_mul_lo_u32 v40, v39, s15
	v_mad_u64_u32 v[15:16], null, v39, s14, 0
	s_delay_alu instid0(VALU_DEP_3) | instskip(SKIP_1) | instid1(VALU_DEP_1)
	v_mul_lo_u32 v2, v2, s14
	v_add3_u32 v33, v33, v38, v36
	v_lshlrev_b64 v[32:33], 2, v[32:33]
	s_delay_alu instid0(VALU_DEP_3) | instskip(NEXT) | instid1(VALU_DEP_2)
	v_add3_u32 v16, v16, v40, v2
	v_add_co_u32 v2, vcc_lo, s36, v32
	s_delay_alu instid0(VALU_DEP_2) | instskip(NEXT) | instid1(VALU_DEP_4)
	v_lshlrev_b64 v[15:16], 2, v[15:16]
	v_add_co_ci_u32_e32 v32, vcc_lo, s37, v33, vcc_lo
	s_delay_alu instid0(VALU_DEP_2) | instskip(NEXT) | instid1(VALU_DEP_2)
	v_add_co_u32 v15, vcc_lo, v2, v15
	v_add_co_ci_u32_e32 v16, vcc_lo, v32, v16, vcc_lo
	v_or_b32_e32 v2, s41, v23
	global_load_b32 v32, v[15:16], off
                                        ; implicit-def: $vgpr15_vgpr16
	v_cmpx_ne_u64_e32 0, v[1:2]
	s_xor_b32 s1, exec_lo, s0
	s_cbranch_execz .LBB7_29
; %bb.28:                               ;   in Loop: Header=BB7_3 Depth=1
	s_ashr_i32 s64, s41, 31
	s_delay_alu instid0(SALU_CYCLE_1) | instskip(SKIP_2) | instid1(SALU_CYCLE_1)
	s_add_u32 s66, s40, s64
	s_mov_b32 s65, s64
	s_addc_u32 s67, s41, s64
	s_xor_b64 s[66:67], s[66:67], s[64:65]
	s_delay_alu instid0(SALU_CYCLE_1) | instskip(SKIP_3) | instid1(VALU_DEP_1)
	v_cvt_f32_u32_e32 v2, s66
	v_cvt_f32_u32_e32 v15, s67
	s_sub_u32 s0, 0, s66
	s_subb_u32 s65, 0, s67
	v_fmac_f32_e32 v2, 0x4f800000, v15
	s_delay_alu instid0(VALU_DEP_1) | instskip(SKIP_2) | instid1(VALU_DEP_1)
	v_rcp_f32_e32 v2, v2
	s_waitcnt_depctr 0xfff
	v_mul_f32_e32 v2, 0x5f7ffffc, v2
	v_mul_f32_e32 v15, 0x2f800000, v2
	s_delay_alu instid0(VALU_DEP_1) | instskip(NEXT) | instid1(VALU_DEP_1)
	v_trunc_f32_e32 v15, v15
	v_fmac_f32_e32 v2, 0xcf800000, v15
	v_cvt_u32_f32_e32 v15, v15
	s_delay_alu instid0(VALU_DEP_2) | instskip(NEXT) | instid1(VALU_DEP_2)
	v_cvt_u32_f32_e32 v2, v2
	v_mul_lo_u32 v16, s0, v15
	s_delay_alu instid0(VALU_DEP_2) | instskip(SKIP_1) | instid1(VALU_DEP_2)
	v_mul_hi_u32 v33, s0, v2
	v_mul_lo_u32 v36, s65, v2
	v_add_nc_u32_e32 v16, v33, v16
	v_mul_lo_u32 v33, s0, v2
	s_delay_alu instid0(VALU_DEP_2) | instskip(NEXT) | instid1(VALU_DEP_2)
	v_add_nc_u32_e32 v16, v16, v36
	v_mul_hi_u32 v36, v2, v33
	s_delay_alu instid0(VALU_DEP_2)
	v_mul_lo_u32 v38, v2, v16
	v_mul_hi_u32 v39, v2, v16
	v_mul_hi_u32 v40, v15, v33
	v_mul_lo_u32 v33, v15, v33
	v_mul_hi_u32 v41, v15, v16
	v_mul_lo_u32 v16, v15, v16
	v_add_co_u32 v36, vcc_lo, v36, v38
	v_add_co_ci_u32_e32 v38, vcc_lo, 0, v39, vcc_lo
	s_delay_alu instid0(VALU_DEP_2) | instskip(NEXT) | instid1(VALU_DEP_2)
	v_add_co_u32 v33, vcc_lo, v36, v33
	v_add_co_ci_u32_e32 v33, vcc_lo, v38, v40, vcc_lo
	v_add_co_ci_u32_e32 v36, vcc_lo, 0, v41, vcc_lo
	s_delay_alu instid0(VALU_DEP_2) | instskip(NEXT) | instid1(VALU_DEP_2)
	v_add_co_u32 v16, vcc_lo, v33, v16
	v_add_co_ci_u32_e32 v33, vcc_lo, 0, v36, vcc_lo
	s_delay_alu instid0(VALU_DEP_2) | instskip(NEXT) | instid1(VALU_DEP_2)
	v_add_co_u32 v2, vcc_lo, v2, v16
	v_add_co_ci_u32_e32 v15, vcc_lo, v15, v33, vcc_lo
	s_delay_alu instid0(VALU_DEP_2) | instskip(SKIP_1) | instid1(VALU_DEP_3)
	v_mul_hi_u32 v16, s0, v2
	v_mul_lo_u32 v36, s65, v2
	v_mul_lo_u32 v33, s0, v15
	s_delay_alu instid0(VALU_DEP_1) | instskip(SKIP_1) | instid1(VALU_DEP_2)
	v_add_nc_u32_e32 v16, v16, v33
	v_mul_lo_u32 v33, s0, v2
	v_add_nc_u32_e32 v16, v16, v36
	s_delay_alu instid0(VALU_DEP_2) | instskip(NEXT) | instid1(VALU_DEP_2)
	v_mul_hi_u32 v36, v2, v33
	v_mul_lo_u32 v38, v2, v16
	v_mul_hi_u32 v39, v2, v16
	v_mul_hi_u32 v40, v15, v33
	v_mul_lo_u32 v33, v15, v33
	v_mul_hi_u32 v41, v15, v16
	v_mul_lo_u32 v16, v15, v16
	v_add_co_u32 v36, vcc_lo, v36, v38
	v_add_co_ci_u32_e32 v38, vcc_lo, 0, v39, vcc_lo
	s_delay_alu instid0(VALU_DEP_2) | instskip(NEXT) | instid1(VALU_DEP_2)
	v_add_co_u32 v33, vcc_lo, v36, v33
	v_add_co_ci_u32_e32 v33, vcc_lo, v38, v40, vcc_lo
	v_add_co_ci_u32_e32 v36, vcc_lo, 0, v41, vcc_lo
	v_add_co_u32 v38, vcc_lo, v21, v19
	v_add_co_ci_u32_e32 v39, vcc_lo, v23, v19, vcc_lo
	s_delay_alu instid0(VALU_DEP_4) | instskip(NEXT) | instid1(VALU_DEP_4)
	v_add_co_u32 v16, vcc_lo, v33, v16
	v_add_co_ci_u32_e32 v33, vcc_lo, 0, v36, vcc_lo
	s_delay_alu instid0(VALU_DEP_4) | instskip(NEXT) | instid1(VALU_DEP_3)
	v_xor_b32_e32 v36, v38, v19
	v_add_co_u32 v2, vcc_lo, v2, v16
	s_delay_alu instid0(VALU_DEP_3) | instskip(SKIP_1) | instid1(VALU_DEP_3)
	v_add_co_ci_u32_e32 v33, vcc_lo, v15, v33, vcc_lo
	v_xor_b32_e32 v42, v39, v19
	v_mul_hi_u32 v43, v36, v2
	s_delay_alu instid0(VALU_DEP_3) | instskip(NEXT) | instid1(VALU_DEP_3)
	v_mad_u64_u32 v[15:16], null, v36, v33, 0
	v_mad_u64_u32 v[38:39], null, v42, v2, 0
	;; [unrolled: 1-line block ×3, first 2 shown]
	s_delay_alu instid0(VALU_DEP_3) | instskip(NEXT) | instid1(VALU_DEP_4)
	v_add_co_u32 v2, vcc_lo, v43, v15
	v_add_co_ci_u32_e32 v15, vcc_lo, 0, v16, vcc_lo
	s_delay_alu instid0(VALU_DEP_2) | instskip(NEXT) | instid1(VALU_DEP_2)
	v_add_co_u32 v2, vcc_lo, v2, v38
	v_add_co_ci_u32_e32 v2, vcc_lo, v15, v39, vcc_lo
	v_add_co_ci_u32_e32 v15, vcc_lo, 0, v41, vcc_lo
	s_delay_alu instid0(VALU_DEP_2) | instskip(NEXT) | instid1(VALU_DEP_2)
	v_add_co_u32 v2, vcc_lo, v2, v40
	v_add_co_ci_u32_e32 v33, vcc_lo, 0, v15, vcc_lo
	s_delay_alu instid0(VALU_DEP_2) | instskip(SKIP_1) | instid1(VALU_DEP_3)
	v_mul_lo_u32 v38, s67, v2
	v_mad_u64_u32 v[15:16], null, s66, v2, 0
	v_mul_lo_u32 v39, s66, v33
	s_delay_alu instid0(VALU_DEP_2) | instskip(NEXT) | instid1(VALU_DEP_2)
	v_sub_co_u32 v15, vcc_lo, v36, v15
	v_add3_u32 v16, v16, v39, v38
	s_delay_alu instid0(VALU_DEP_1) | instskip(NEXT) | instid1(VALU_DEP_1)
	v_sub_nc_u32_e32 v38, v42, v16
	v_subrev_co_ci_u32_e64 v36, s0, s67, v38, vcc_lo
	v_add_co_u32 v38, s0, v2, 2
	s_delay_alu instid0(VALU_DEP_1) | instskip(SKIP_3) | instid1(VALU_DEP_3)
	v_add_co_ci_u32_e64 v39, s0, 0, v33, s0
	v_sub_co_u32 v40, s0, v15, s66
	v_sub_co_ci_u32_e32 v16, vcc_lo, v42, v16, vcc_lo
	v_subrev_co_ci_u32_e64 v36, s0, 0, v36, s0
	v_cmp_le_u32_e32 vcc_lo, s66, v40
	s_delay_alu instid0(VALU_DEP_3) | instskip(SKIP_1) | instid1(VALU_DEP_4)
	v_cmp_eq_u32_e64 s0, s67, v16
	v_cndmask_b32_e64 v40, 0, -1, vcc_lo
	v_cmp_le_u32_e32 vcc_lo, s67, v36
	v_cndmask_b32_e64 v41, 0, -1, vcc_lo
	v_cmp_le_u32_e32 vcc_lo, s66, v15
	;; [unrolled: 2-line block ×3, first 2 shown]
	v_cndmask_b32_e64 v42, 0, -1, vcc_lo
	v_cmp_eq_u32_e32 vcc_lo, s67, v36
	s_delay_alu instid0(VALU_DEP_2) | instskip(SKIP_3) | instid1(VALU_DEP_3)
	v_cndmask_b32_e64 v15, v42, v15, s0
	v_cndmask_b32_e32 v36, v41, v40, vcc_lo
	v_add_co_u32 v40, vcc_lo, v2, 1
	v_add_co_ci_u32_e32 v41, vcc_lo, 0, v33, vcc_lo
	v_cmp_ne_u32_e32 vcc_lo, 0, v36
	s_delay_alu instid0(VALU_DEP_2) | instskip(NEXT) | instid1(VALU_DEP_4)
	v_cndmask_b32_e32 v16, v41, v39, vcc_lo
	v_cndmask_b32_e32 v36, v40, v38, vcc_lo
	v_cmp_ne_u32_e32 vcc_lo, 0, v15
	v_xor_b32_e32 v38, s64, v19
	s_delay_alu instid0(VALU_DEP_3) | instskip(SKIP_1) | instid1(VALU_DEP_2)
	v_cndmask_b32_e32 v2, v2, v36, vcc_lo
	v_cndmask_b32_e32 v15, v33, v16, vcc_lo
	v_xor_b32_e32 v2, v2, v38
	s_delay_alu instid0(VALU_DEP_2) | instskip(NEXT) | instid1(VALU_DEP_2)
	v_xor_b32_e32 v16, v15, v38
	v_sub_co_u32 v15, vcc_lo, v2, v38
	s_delay_alu instid0(VALU_DEP_2)
	v_sub_co_ci_u32_e32 v16, vcc_lo, v16, v38, vcc_lo
.LBB7_29:                               ;   in Loop: Header=BB7_3 Depth=1
	s_and_not1_saveexec_b32 s0, s1
	s_cbranch_execz .LBB7_31
; %bb.30:                               ;   in Loop: Header=BB7_3 Depth=1
	v_rcp_iflag_f32_e32 v2, v37
	s_sub_i32 s1, 0, s40
	s_waitcnt_depctr 0xfff
	v_mul_f32_e32 v2, 0x4f7ffffe, v2
	s_delay_alu instid0(VALU_DEP_1) | instskip(NEXT) | instid1(VALU_DEP_1)
	v_cvt_u32_f32_e32 v2, v2
	v_mul_lo_u32 v15, s1, v2
	s_delay_alu instid0(VALU_DEP_1) | instskip(NEXT) | instid1(VALU_DEP_1)
	v_mul_hi_u32 v15, v2, v15
	v_add_nc_u32_e32 v2, v2, v15
	s_delay_alu instid0(VALU_DEP_1) | instskip(NEXT) | instid1(VALU_DEP_1)
	v_mul_hi_u32 v2, v21, v2
	v_mul_lo_u32 v15, v2, s40
	v_add_nc_u32_e32 v16, 1, v2
	s_delay_alu instid0(VALU_DEP_2) | instskip(NEXT) | instid1(VALU_DEP_1)
	v_sub_nc_u32_e32 v15, v21, v15
	v_subrev_nc_u32_e32 v33, s40, v15
	v_cmp_le_u32_e32 vcc_lo, s40, v15
	s_delay_alu instid0(VALU_DEP_2) | instskip(NEXT) | instid1(VALU_DEP_1)
	v_dual_cndmask_b32 v15, v15, v33 :: v_dual_cndmask_b32 v2, v2, v16
	v_cmp_le_u32_e32 vcc_lo, s40, v15
	s_delay_alu instid0(VALU_DEP_2) | instskip(NEXT) | instid1(VALU_DEP_1)
	v_add_nc_u32_e32 v16, 1, v2
	v_dual_cndmask_b32 v15, v2, v16 :: v_dual_mov_b32 v16, v1
.LBB7_31:                               ;   in Loop: Header=BB7_3 Depth=1
	s_or_b32 exec_lo, exec_lo, s0
	s_delay_alu instid0(VALU_DEP_1) | instskip(NEXT) | instid1(VALU_DEP_2)
	v_mul_lo_u32 v2, v16, s40
	v_mul_lo_u32 v33, v15, s41
	v_mad_u64_u32 v[38:39], null, v15, s40, 0
	v_mul_lo_u32 v36, v15, s13
	s_mov_b32 s0, exec_lo
	s_delay_alu instid0(VALU_DEP_2) | instskip(SKIP_1) | instid1(VALU_DEP_4)
	v_add3_u32 v2, v39, v33, v2
	v_mul_lo_u32 v33, v16, s12
	v_sub_co_u32 v16, vcc_lo, v7, v38
	v_mad_u64_u32 v[38:39], null, v15, s12, 0
	s_delay_alu instid0(VALU_DEP_4) | instskip(NEXT) | instid1(VALU_DEP_3)
	v_sub_co_ci_u32_e32 v2, vcc_lo, v8, v2, vcc_lo
	v_add_co_u32 v40, vcc_lo, v3, v16
	s_delay_alu instid0(VALU_DEP_2) | instskip(NEXT) | instid1(VALU_DEP_2)
	v_add_co_ci_u32_e32 v2, vcc_lo, v4, v2, vcc_lo
	v_mul_lo_u32 v41, v40, s15
	v_mad_u64_u32 v[15:16], null, v40, s14, 0
	s_delay_alu instid0(VALU_DEP_3) | instskip(SKIP_1) | instid1(VALU_DEP_1)
	v_mul_lo_u32 v2, v2, s14
	v_add3_u32 v39, v39, v36, v33
	v_lshlrev_b64 v[38:39], 2, v[38:39]
	s_delay_alu instid0(VALU_DEP_3) | instskip(NEXT) | instid1(VALU_DEP_2)
	v_add3_u32 v16, v16, v41, v2
	v_add_co_u32 v2, vcc_lo, s36, v38
	s_delay_alu instid0(VALU_DEP_2) | instskip(NEXT) | instid1(VALU_DEP_4)
	v_lshlrev_b64 v[15:16], 2, v[15:16]
	v_add_co_ci_u32_e32 v33, vcc_lo, s37, v39, vcc_lo
	s_delay_alu instid0(VALU_DEP_2) | instskip(NEXT) | instid1(VALU_DEP_2)
	v_add_co_u32 v15, vcc_lo, v2, v15
	v_add_co_ci_u32_e32 v16, vcc_lo, v33, v16, vcc_lo
	v_or_b32_e32 v2, s41, v26
	global_load_b32 v33, v[15:16], off
                                        ; implicit-def: $vgpr15_vgpr16
	v_cmpx_ne_u64_e32 0, v[1:2]
	s_xor_b32 s1, exec_lo, s0
	s_cbranch_execz .LBB7_33
; %bb.32:                               ;   in Loop: Header=BB7_3 Depth=1
	s_ashr_i32 s64, s41, 31
	s_delay_alu instid0(SALU_CYCLE_1) | instskip(SKIP_2) | instid1(SALU_CYCLE_1)
	s_add_u32 s66, s40, s64
	s_mov_b32 s65, s64
	s_addc_u32 s67, s41, s64
	s_xor_b64 s[66:67], s[66:67], s[64:65]
	s_delay_alu instid0(SALU_CYCLE_1) | instskip(SKIP_3) | instid1(VALU_DEP_1)
	v_cvt_f32_u32_e32 v2, s66
	v_cvt_f32_u32_e32 v15, s67
	s_sub_u32 s0, 0, s66
	s_subb_u32 s65, 0, s67
	v_fmac_f32_e32 v2, 0x4f800000, v15
	s_delay_alu instid0(VALU_DEP_1) | instskip(SKIP_2) | instid1(VALU_DEP_1)
	v_rcp_f32_e32 v2, v2
	s_waitcnt_depctr 0xfff
	v_mul_f32_e32 v2, 0x5f7ffffc, v2
	v_mul_f32_e32 v15, 0x2f800000, v2
	s_delay_alu instid0(VALU_DEP_1) | instskip(NEXT) | instid1(VALU_DEP_1)
	v_trunc_f32_e32 v15, v15
	v_fmac_f32_e32 v2, 0xcf800000, v15
	v_cvt_u32_f32_e32 v15, v15
	s_delay_alu instid0(VALU_DEP_2) | instskip(NEXT) | instid1(VALU_DEP_2)
	v_cvt_u32_f32_e32 v2, v2
	v_mul_lo_u32 v16, s0, v15
	s_delay_alu instid0(VALU_DEP_2) | instskip(SKIP_1) | instid1(VALU_DEP_2)
	v_mul_hi_u32 v36, s0, v2
	v_mul_lo_u32 v38, s65, v2
	v_add_nc_u32_e32 v16, v36, v16
	v_mul_lo_u32 v36, s0, v2
	s_delay_alu instid0(VALU_DEP_2) | instskip(NEXT) | instid1(VALU_DEP_2)
	v_add_nc_u32_e32 v16, v16, v38
	v_mul_hi_u32 v38, v2, v36
	s_delay_alu instid0(VALU_DEP_2)
	v_mul_lo_u32 v39, v2, v16
	v_mul_hi_u32 v40, v2, v16
	v_mul_hi_u32 v41, v15, v36
	v_mul_lo_u32 v36, v15, v36
	v_mul_hi_u32 v42, v15, v16
	v_mul_lo_u32 v16, v15, v16
	v_add_co_u32 v38, vcc_lo, v38, v39
	v_add_co_ci_u32_e32 v39, vcc_lo, 0, v40, vcc_lo
	s_delay_alu instid0(VALU_DEP_2) | instskip(NEXT) | instid1(VALU_DEP_2)
	v_add_co_u32 v36, vcc_lo, v38, v36
	v_add_co_ci_u32_e32 v36, vcc_lo, v39, v41, vcc_lo
	v_add_co_ci_u32_e32 v38, vcc_lo, 0, v42, vcc_lo
	s_delay_alu instid0(VALU_DEP_2) | instskip(NEXT) | instid1(VALU_DEP_2)
	v_add_co_u32 v16, vcc_lo, v36, v16
	v_add_co_ci_u32_e32 v36, vcc_lo, 0, v38, vcc_lo
	s_delay_alu instid0(VALU_DEP_2) | instskip(NEXT) | instid1(VALU_DEP_2)
	v_add_co_u32 v2, vcc_lo, v2, v16
	v_add_co_ci_u32_e32 v15, vcc_lo, v15, v36, vcc_lo
	s_delay_alu instid0(VALU_DEP_2) | instskip(SKIP_1) | instid1(VALU_DEP_3)
	v_mul_hi_u32 v16, s0, v2
	v_mul_lo_u32 v38, s65, v2
	v_mul_lo_u32 v36, s0, v15
	s_delay_alu instid0(VALU_DEP_1) | instskip(SKIP_1) | instid1(VALU_DEP_2)
	v_add_nc_u32_e32 v16, v16, v36
	v_mul_lo_u32 v36, s0, v2
	v_add_nc_u32_e32 v16, v16, v38
	s_delay_alu instid0(VALU_DEP_2) | instskip(NEXT) | instid1(VALU_DEP_2)
	v_mul_hi_u32 v38, v2, v36
	v_mul_lo_u32 v39, v2, v16
	v_mul_hi_u32 v40, v2, v16
	v_mul_hi_u32 v41, v15, v36
	v_mul_lo_u32 v36, v15, v36
	v_mul_hi_u32 v42, v15, v16
	v_mul_lo_u32 v16, v15, v16
	v_add_co_u32 v38, vcc_lo, v38, v39
	v_add_co_ci_u32_e32 v39, vcc_lo, 0, v40, vcc_lo
	s_delay_alu instid0(VALU_DEP_2) | instskip(NEXT) | instid1(VALU_DEP_2)
	v_add_co_u32 v36, vcc_lo, v38, v36
	v_add_co_ci_u32_e32 v36, vcc_lo, v39, v41, vcc_lo
	v_add_co_ci_u32_e32 v38, vcc_lo, 0, v42, vcc_lo
	v_add_co_u32 v39, vcc_lo, v25, v22
	v_add_co_ci_u32_e32 v40, vcc_lo, v26, v22, vcc_lo
	s_delay_alu instid0(VALU_DEP_4) | instskip(NEXT) | instid1(VALU_DEP_4)
	v_add_co_u32 v16, vcc_lo, v36, v16
	v_add_co_ci_u32_e32 v36, vcc_lo, 0, v38, vcc_lo
	s_delay_alu instid0(VALU_DEP_4) | instskip(NEXT) | instid1(VALU_DEP_3)
	v_xor_b32_e32 v42, v39, v22
	v_add_co_u32 v2, vcc_lo, v2, v16
	s_delay_alu instid0(VALU_DEP_3) | instskip(SKIP_1) | instid1(VALU_DEP_3)
	v_add_co_ci_u32_e32 v36, vcc_lo, v15, v36, vcc_lo
	v_xor_b32_e32 v43, v40, v22
	v_mul_hi_u32 v44, v42, v2
	s_delay_alu instid0(VALU_DEP_3) | instskip(NEXT) | instid1(VALU_DEP_3)
	v_mad_u64_u32 v[15:16], null, v42, v36, 0
	v_mad_u64_u32 v[38:39], null, v43, v2, 0
	;; [unrolled: 1-line block ×3, first 2 shown]
	s_delay_alu instid0(VALU_DEP_3) | instskip(NEXT) | instid1(VALU_DEP_4)
	v_add_co_u32 v2, vcc_lo, v44, v15
	v_add_co_ci_u32_e32 v15, vcc_lo, 0, v16, vcc_lo
	s_delay_alu instid0(VALU_DEP_2) | instskip(NEXT) | instid1(VALU_DEP_2)
	v_add_co_u32 v2, vcc_lo, v2, v38
	v_add_co_ci_u32_e32 v2, vcc_lo, v15, v39, vcc_lo
	v_add_co_ci_u32_e32 v15, vcc_lo, 0, v41, vcc_lo
	s_delay_alu instid0(VALU_DEP_2) | instskip(NEXT) | instid1(VALU_DEP_2)
	v_add_co_u32 v2, vcc_lo, v2, v40
	v_add_co_ci_u32_e32 v36, vcc_lo, 0, v15, vcc_lo
	s_delay_alu instid0(VALU_DEP_2) | instskip(SKIP_1) | instid1(VALU_DEP_3)
	v_mul_lo_u32 v38, s67, v2
	v_mad_u64_u32 v[15:16], null, s66, v2, 0
	v_mul_lo_u32 v39, s66, v36
	s_delay_alu instid0(VALU_DEP_2) | instskip(NEXT) | instid1(VALU_DEP_2)
	v_sub_co_u32 v15, vcc_lo, v42, v15
	v_add3_u32 v16, v16, v39, v38
	s_delay_alu instid0(VALU_DEP_1) | instskip(NEXT) | instid1(VALU_DEP_1)
	v_sub_nc_u32_e32 v38, v43, v16
	v_subrev_co_ci_u32_e64 v38, s0, s67, v38, vcc_lo
	v_add_co_u32 v39, s0, v2, 2
	s_delay_alu instid0(VALU_DEP_1) | instskip(SKIP_3) | instid1(VALU_DEP_3)
	v_add_co_ci_u32_e64 v40, s0, 0, v36, s0
	v_sub_co_u32 v41, s0, v15, s66
	v_sub_co_ci_u32_e32 v16, vcc_lo, v43, v16, vcc_lo
	v_subrev_co_ci_u32_e64 v38, s0, 0, v38, s0
	v_cmp_le_u32_e32 vcc_lo, s66, v41
	s_delay_alu instid0(VALU_DEP_3) | instskip(SKIP_1) | instid1(VALU_DEP_4)
	v_cmp_eq_u32_e64 s0, s67, v16
	v_cndmask_b32_e64 v41, 0, -1, vcc_lo
	v_cmp_le_u32_e32 vcc_lo, s67, v38
	v_cndmask_b32_e64 v42, 0, -1, vcc_lo
	v_cmp_le_u32_e32 vcc_lo, s66, v15
	;; [unrolled: 2-line block ×3, first 2 shown]
	v_cndmask_b32_e64 v43, 0, -1, vcc_lo
	v_cmp_eq_u32_e32 vcc_lo, s67, v38
	s_delay_alu instid0(VALU_DEP_2) | instskip(SKIP_3) | instid1(VALU_DEP_3)
	v_cndmask_b32_e64 v15, v43, v15, s0
	v_cndmask_b32_e32 v38, v42, v41, vcc_lo
	v_add_co_u32 v41, vcc_lo, v2, 1
	v_add_co_ci_u32_e32 v42, vcc_lo, 0, v36, vcc_lo
	v_cmp_ne_u32_e32 vcc_lo, 0, v38
	s_delay_alu instid0(VALU_DEP_2) | instskip(NEXT) | instid1(VALU_DEP_4)
	v_cndmask_b32_e32 v16, v42, v40, vcc_lo
	v_cndmask_b32_e32 v38, v41, v39, vcc_lo
	v_cmp_ne_u32_e32 vcc_lo, 0, v15
	v_xor_b32_e32 v39, s64, v22
	s_delay_alu instid0(VALU_DEP_3) | instskip(NEXT) | instid1(VALU_DEP_1)
	v_dual_cndmask_b32 v2, v2, v38 :: v_dual_cndmask_b32 v15, v36, v16
	v_xor_b32_e32 v2, v2, v39
	s_delay_alu instid0(VALU_DEP_2) | instskip(NEXT) | instid1(VALU_DEP_2)
	v_xor_b32_e32 v16, v15, v39
	v_sub_co_u32 v15, vcc_lo, v2, v39
	s_delay_alu instid0(VALU_DEP_2)
	v_sub_co_ci_u32_e32 v16, vcc_lo, v16, v39, vcc_lo
.LBB7_33:                               ;   in Loop: Header=BB7_3 Depth=1
	s_and_not1_saveexec_b32 s0, s1
	s_cbranch_execz .LBB7_35
; %bb.34:                               ;   in Loop: Header=BB7_3 Depth=1
	v_rcp_iflag_f32_e32 v2, v37
	s_sub_i32 s1, 0, s40
	s_waitcnt_depctr 0xfff
	v_mul_f32_e32 v2, 0x4f7ffffe, v2
	s_delay_alu instid0(VALU_DEP_1) | instskip(NEXT) | instid1(VALU_DEP_1)
	v_cvt_u32_f32_e32 v2, v2
	v_mul_lo_u32 v15, s1, v2
	s_delay_alu instid0(VALU_DEP_1) | instskip(NEXT) | instid1(VALU_DEP_1)
	v_mul_hi_u32 v15, v2, v15
	v_add_nc_u32_e32 v2, v2, v15
	s_delay_alu instid0(VALU_DEP_1) | instskip(NEXT) | instid1(VALU_DEP_1)
	v_mul_hi_u32 v2, v25, v2
	v_mul_lo_u32 v15, v2, s40
	v_add_nc_u32_e32 v16, 1, v2
	s_delay_alu instid0(VALU_DEP_2) | instskip(NEXT) | instid1(VALU_DEP_1)
	v_sub_nc_u32_e32 v15, v25, v15
	v_subrev_nc_u32_e32 v36, s40, v15
	v_cmp_le_u32_e32 vcc_lo, s40, v15
	s_delay_alu instid0(VALU_DEP_2) | instskip(SKIP_1) | instid1(VALU_DEP_2)
	v_cndmask_b32_e32 v15, v15, v36, vcc_lo
	v_cndmask_b32_e32 v2, v2, v16, vcc_lo
	v_cmp_le_u32_e32 vcc_lo, s40, v15
	s_delay_alu instid0(VALU_DEP_2) | instskip(NEXT) | instid1(VALU_DEP_1)
	v_add_nc_u32_e32 v16, 1, v2
	v_dual_cndmask_b32 v15, v2, v16 :: v_dual_mov_b32 v16, v1
.LBB7_35:                               ;   in Loop: Header=BB7_3 Depth=1
	s_or_b32 exec_lo, exec_lo, s0
	s_delay_alu instid0(VALU_DEP_1) | instskip(NEXT) | instid1(VALU_DEP_2)
	v_mul_lo_u32 v2, v16, s40
	v_mul_lo_u32 v36, v15, s41
	v_mad_u64_u32 v[38:39], null, v15, s40, 0
	v_mul_lo_u32 v40, v15, s13
	s_mov_b32 s0, exec_lo
	s_delay_alu instid0(VALU_DEP_2) | instskip(SKIP_1) | instid1(VALU_DEP_4)
	v_add3_u32 v2, v39, v36, v2
	v_mul_lo_u32 v36, v16, s12
	v_sub_co_u32 v16, vcc_lo, v11, v38
	v_mad_u64_u32 v[38:39], null, v15, s12, 0
	s_delay_alu instid0(VALU_DEP_4) | instskip(NEXT) | instid1(VALU_DEP_3)
	v_sub_co_ci_u32_e32 v2, vcc_lo, v12, v2, vcc_lo
	v_add_co_u32 v41, vcc_lo, v3, v16
	s_delay_alu instid0(VALU_DEP_2) | instskip(NEXT) | instid1(VALU_DEP_2)
	v_add_co_ci_u32_e32 v2, vcc_lo, v4, v2, vcc_lo
	v_mul_lo_u32 v42, v41, s15
	v_mad_u64_u32 v[15:16], null, v41, s14, 0
	s_delay_alu instid0(VALU_DEP_3) | instskip(SKIP_1) | instid1(VALU_DEP_1)
	v_mul_lo_u32 v2, v2, s14
	v_add3_u32 v39, v39, v40, v36
	v_lshlrev_b64 v[38:39], 2, v[38:39]
	s_delay_alu instid0(VALU_DEP_3) | instskip(NEXT) | instid1(VALU_DEP_2)
	v_add3_u32 v16, v16, v42, v2
	v_add_co_u32 v2, vcc_lo, s36, v38
	s_delay_alu instid0(VALU_DEP_2) | instskip(NEXT) | instid1(VALU_DEP_4)
	v_lshlrev_b64 v[15:16], 2, v[15:16]
	v_add_co_ci_u32_e32 v36, vcc_lo, s37, v39, vcc_lo
	s_delay_alu instid0(VALU_DEP_2) | instskip(NEXT) | instid1(VALU_DEP_2)
	v_add_co_u32 v15, vcc_lo, v2, v15
	v_add_co_ci_u32_e32 v16, vcc_lo, v36, v16, vcc_lo
	v_or_b32_e32 v2, s41, v35
	global_load_b32 v36, v[15:16], off
                                        ; implicit-def: $vgpr15_vgpr16
	v_cmpx_ne_u64_e32 0, v[1:2]
	s_xor_b32 s1, exec_lo, s0
	s_cbranch_execz .LBB7_37
; %bb.36:                               ;   in Loop: Header=BB7_3 Depth=1
	s_ashr_i32 s64, s41, 31
	s_delay_alu instid0(SALU_CYCLE_1) | instskip(SKIP_2) | instid1(SALU_CYCLE_1)
	s_add_u32 s66, s40, s64
	s_mov_b32 s65, s64
	s_addc_u32 s67, s41, s64
	s_xor_b64 s[66:67], s[66:67], s[64:65]
	s_delay_alu instid0(SALU_CYCLE_1) | instskip(SKIP_3) | instid1(VALU_DEP_1)
	v_cvt_f32_u32_e32 v2, s66
	v_cvt_f32_u32_e32 v15, s67
	s_sub_u32 s0, 0, s66
	s_subb_u32 s65, 0, s67
	v_fmac_f32_e32 v2, 0x4f800000, v15
	s_delay_alu instid0(VALU_DEP_1) | instskip(SKIP_2) | instid1(VALU_DEP_1)
	v_rcp_f32_e32 v2, v2
	s_waitcnt_depctr 0xfff
	v_mul_f32_e32 v2, 0x5f7ffffc, v2
	v_mul_f32_e32 v15, 0x2f800000, v2
	s_delay_alu instid0(VALU_DEP_1) | instskip(NEXT) | instid1(VALU_DEP_1)
	v_trunc_f32_e32 v15, v15
	v_fmac_f32_e32 v2, 0xcf800000, v15
	v_cvt_u32_f32_e32 v15, v15
	s_delay_alu instid0(VALU_DEP_2) | instskip(NEXT) | instid1(VALU_DEP_2)
	v_cvt_u32_f32_e32 v2, v2
	v_mul_lo_u32 v16, s0, v15
	s_delay_alu instid0(VALU_DEP_2) | instskip(SKIP_1) | instid1(VALU_DEP_2)
	v_mul_hi_u32 v37, s0, v2
	v_mul_lo_u32 v38, s65, v2
	v_add_nc_u32_e32 v16, v37, v16
	v_mul_lo_u32 v37, s0, v2
	s_delay_alu instid0(VALU_DEP_2) | instskip(NEXT) | instid1(VALU_DEP_2)
	v_add_nc_u32_e32 v16, v16, v38
	v_mul_hi_u32 v38, v2, v37
	s_delay_alu instid0(VALU_DEP_2)
	v_mul_lo_u32 v39, v2, v16
	v_mul_hi_u32 v40, v2, v16
	v_mul_hi_u32 v41, v15, v37
	v_mul_lo_u32 v37, v15, v37
	v_mul_hi_u32 v42, v15, v16
	v_mul_lo_u32 v16, v15, v16
	v_add_co_u32 v38, vcc_lo, v38, v39
	v_add_co_ci_u32_e32 v39, vcc_lo, 0, v40, vcc_lo
	s_delay_alu instid0(VALU_DEP_2) | instskip(NEXT) | instid1(VALU_DEP_2)
	v_add_co_u32 v37, vcc_lo, v38, v37
	v_add_co_ci_u32_e32 v37, vcc_lo, v39, v41, vcc_lo
	v_add_co_ci_u32_e32 v38, vcc_lo, 0, v42, vcc_lo
	s_delay_alu instid0(VALU_DEP_2) | instskip(NEXT) | instid1(VALU_DEP_2)
	v_add_co_u32 v16, vcc_lo, v37, v16
	v_add_co_ci_u32_e32 v37, vcc_lo, 0, v38, vcc_lo
	s_delay_alu instid0(VALU_DEP_2) | instskip(NEXT) | instid1(VALU_DEP_2)
	v_add_co_u32 v2, vcc_lo, v2, v16
	v_add_co_ci_u32_e32 v15, vcc_lo, v15, v37, vcc_lo
	s_delay_alu instid0(VALU_DEP_2) | instskip(SKIP_1) | instid1(VALU_DEP_3)
	v_mul_hi_u32 v16, s0, v2
	v_mul_lo_u32 v38, s65, v2
	v_mul_lo_u32 v37, s0, v15
	s_delay_alu instid0(VALU_DEP_1) | instskip(SKIP_1) | instid1(VALU_DEP_2)
	v_add_nc_u32_e32 v16, v16, v37
	v_mul_lo_u32 v37, s0, v2
	v_add_nc_u32_e32 v16, v16, v38
	s_delay_alu instid0(VALU_DEP_2) | instskip(NEXT) | instid1(VALU_DEP_2)
	v_mul_hi_u32 v38, v2, v37
	v_mul_lo_u32 v39, v2, v16
	v_mul_hi_u32 v40, v2, v16
	v_mul_hi_u32 v41, v15, v37
	v_mul_lo_u32 v37, v15, v37
	v_mul_hi_u32 v42, v15, v16
	v_mul_lo_u32 v16, v15, v16
	v_add_co_u32 v38, vcc_lo, v38, v39
	v_add_co_ci_u32_e32 v39, vcc_lo, 0, v40, vcc_lo
	s_delay_alu instid0(VALU_DEP_2) | instskip(NEXT) | instid1(VALU_DEP_2)
	v_add_co_u32 v37, vcc_lo, v38, v37
	v_add_co_ci_u32_e32 v37, vcc_lo, v39, v41, vcc_lo
	v_add_co_ci_u32_e32 v38, vcc_lo, 0, v42, vcc_lo
	v_add_co_u32 v39, vcc_lo, v34, v24
	v_add_co_ci_u32_e32 v40, vcc_lo, v35, v24, vcc_lo
	s_delay_alu instid0(VALU_DEP_4) | instskip(NEXT) | instid1(VALU_DEP_4)
	v_add_co_u32 v16, vcc_lo, v37, v16
	v_add_co_ci_u32_e32 v37, vcc_lo, 0, v38, vcc_lo
	s_delay_alu instid0(VALU_DEP_4) | instskip(NEXT) | instid1(VALU_DEP_3)
	v_xor_b32_e32 v41, v39, v24
	v_add_co_u32 v2, vcc_lo, v2, v16
	s_delay_alu instid0(VALU_DEP_3) | instskip(SKIP_1) | instid1(VALU_DEP_3)
	v_add_co_ci_u32_e32 v42, vcc_lo, v15, v37, vcc_lo
	v_xor_b32_e32 v43, v40, v24
	v_mul_hi_u32 v44, v41, v2
	s_delay_alu instid0(VALU_DEP_3) | instskip(NEXT) | instid1(VALU_DEP_3)
	v_mad_u64_u32 v[15:16], null, v41, v42, 0
	v_mad_u64_u32 v[37:38], null, v43, v2, 0
	;; [unrolled: 1-line block ×3, first 2 shown]
	s_delay_alu instid0(VALU_DEP_3) | instskip(NEXT) | instid1(VALU_DEP_4)
	v_add_co_u32 v2, vcc_lo, v44, v15
	v_add_co_ci_u32_e32 v15, vcc_lo, 0, v16, vcc_lo
	s_delay_alu instid0(VALU_DEP_2) | instskip(NEXT) | instid1(VALU_DEP_2)
	v_add_co_u32 v2, vcc_lo, v2, v37
	v_add_co_ci_u32_e32 v2, vcc_lo, v15, v38, vcc_lo
	v_add_co_ci_u32_e32 v15, vcc_lo, 0, v40, vcc_lo
	s_delay_alu instid0(VALU_DEP_2) | instskip(NEXT) | instid1(VALU_DEP_2)
	v_add_co_u32 v2, vcc_lo, v2, v39
	v_add_co_ci_u32_e32 v37, vcc_lo, 0, v15, vcc_lo
	s_delay_alu instid0(VALU_DEP_2) | instskip(SKIP_1) | instid1(VALU_DEP_3)
	v_mul_lo_u32 v38, s67, v2
	v_mad_u64_u32 v[15:16], null, s66, v2, 0
	v_mul_lo_u32 v39, s66, v37
	s_delay_alu instid0(VALU_DEP_2) | instskip(NEXT) | instid1(VALU_DEP_2)
	v_sub_co_u32 v15, vcc_lo, v41, v15
	v_add3_u32 v16, v16, v39, v38
	s_delay_alu instid0(VALU_DEP_1) | instskip(NEXT) | instid1(VALU_DEP_1)
	v_sub_nc_u32_e32 v38, v43, v16
	v_subrev_co_ci_u32_e64 v38, s0, s67, v38, vcc_lo
	v_add_co_u32 v39, s0, v2, 2
	s_delay_alu instid0(VALU_DEP_1) | instskip(SKIP_3) | instid1(VALU_DEP_3)
	v_add_co_ci_u32_e64 v40, s0, 0, v37, s0
	v_sub_co_u32 v41, s0, v15, s66
	v_sub_co_ci_u32_e32 v16, vcc_lo, v43, v16, vcc_lo
	v_subrev_co_ci_u32_e64 v38, s0, 0, v38, s0
	v_cmp_le_u32_e32 vcc_lo, s66, v41
	s_delay_alu instid0(VALU_DEP_3) | instskip(SKIP_1) | instid1(VALU_DEP_4)
	v_cmp_eq_u32_e64 s0, s67, v16
	v_cndmask_b32_e64 v41, 0, -1, vcc_lo
	v_cmp_le_u32_e32 vcc_lo, s67, v38
	v_cndmask_b32_e64 v42, 0, -1, vcc_lo
	v_cmp_le_u32_e32 vcc_lo, s66, v15
	;; [unrolled: 2-line block ×3, first 2 shown]
	v_cndmask_b32_e64 v43, 0, -1, vcc_lo
	v_cmp_eq_u32_e32 vcc_lo, s67, v38
	s_delay_alu instid0(VALU_DEP_2) | instskip(SKIP_3) | instid1(VALU_DEP_3)
	v_cndmask_b32_e64 v15, v43, v15, s0
	v_cndmask_b32_e32 v38, v42, v41, vcc_lo
	v_add_co_u32 v41, vcc_lo, v2, 1
	v_add_co_ci_u32_e32 v42, vcc_lo, 0, v37, vcc_lo
	v_cmp_ne_u32_e32 vcc_lo, 0, v38
	s_delay_alu instid0(VALU_DEP_2) | instskip(NEXT) | instid1(VALU_DEP_4)
	v_cndmask_b32_e32 v16, v42, v40, vcc_lo
	v_cndmask_b32_e32 v38, v41, v39, vcc_lo
	v_cmp_ne_u32_e32 vcc_lo, 0, v15
	v_xor_b32_e32 v39, s64, v24
	s_delay_alu instid0(VALU_DEP_3) | instskip(NEXT) | instid1(VALU_DEP_1)
	v_dual_cndmask_b32 v2, v2, v38 :: v_dual_cndmask_b32 v15, v37, v16
                                        ; implicit-def: $vgpr37
	v_xor_b32_e32 v2, v2, v39
	s_delay_alu instid0(VALU_DEP_2) | instskip(NEXT) | instid1(VALU_DEP_2)
	v_xor_b32_e32 v16, v15, v39
	v_sub_co_u32 v15, vcc_lo, v2, v39
	s_delay_alu instid0(VALU_DEP_2)
	v_sub_co_ci_u32_e32 v16, vcc_lo, v16, v39, vcc_lo
.LBB7_37:                               ;   in Loop: Header=BB7_3 Depth=1
	s_and_not1_saveexec_b32 s0, s1
	s_cbranch_execz .LBB7_39
; %bb.38:                               ;   in Loop: Header=BB7_3 Depth=1
	v_rcp_iflag_f32_e32 v2, v37
	s_sub_i32 s1, 0, s40
	s_waitcnt_depctr 0xfff
	v_mul_f32_e32 v2, 0x4f7ffffe, v2
	s_delay_alu instid0(VALU_DEP_1) | instskip(NEXT) | instid1(VALU_DEP_1)
	v_cvt_u32_f32_e32 v2, v2
	v_mul_lo_u32 v15, s1, v2
	s_delay_alu instid0(VALU_DEP_1) | instskip(NEXT) | instid1(VALU_DEP_1)
	v_mul_hi_u32 v15, v2, v15
	v_add_nc_u32_e32 v2, v2, v15
	s_delay_alu instid0(VALU_DEP_1) | instskip(NEXT) | instid1(VALU_DEP_1)
	v_mul_hi_u32 v2, v34, v2
	v_mul_lo_u32 v15, v2, s40
	v_add_nc_u32_e32 v16, 1, v2
	s_delay_alu instid0(VALU_DEP_2) | instskip(NEXT) | instid1(VALU_DEP_1)
	v_sub_nc_u32_e32 v15, v34, v15
	v_subrev_nc_u32_e32 v37, s40, v15
	v_cmp_le_u32_e32 vcc_lo, s40, v15
	s_delay_alu instid0(VALU_DEP_2) | instskip(NEXT) | instid1(VALU_DEP_1)
	v_dual_cndmask_b32 v15, v15, v37 :: v_dual_cndmask_b32 v2, v2, v16
	v_cmp_le_u32_e32 vcc_lo, s40, v15
	s_delay_alu instid0(VALU_DEP_2) | instskip(NEXT) | instid1(VALU_DEP_1)
	v_add_nc_u32_e32 v16, 1, v2
	v_dual_cndmask_b32 v15, v2, v16 :: v_dual_mov_b32 v16, v1
.LBB7_39:                               ;   in Loop: Header=BB7_3 Depth=1
	s_or_b32 exec_lo, exec_lo, s0
	s_delay_alu instid0(VALU_DEP_1) | instskip(NEXT) | instid1(VALU_DEP_2)
	v_mul_lo_u32 v2, v16, s40
	v_mul_lo_u32 v39, v15, s41
	v_mad_u64_u32 v[37:38], null, v15, s40, 0
	v_mul_lo_u32 v40, v15, s13
	s_mov_b32 s0, exec_lo
	s_delay_alu instid0(VALU_DEP_2) | instskip(SKIP_1) | instid1(VALU_DEP_4)
	v_add3_u32 v2, v38, v39, v2
	v_mul_lo_u32 v39, v16, s12
	v_sub_co_u32 v16, vcc_lo, v13, v37
	v_mad_u64_u32 v[37:38], null, v15, s12, 0
	s_delay_alu instid0(VALU_DEP_4) | instskip(NEXT) | instid1(VALU_DEP_3)
	v_sub_co_ci_u32_e32 v2, vcc_lo, v14, v2, vcc_lo
	v_add_co_u32 v41, vcc_lo, v3, v16
	s_delay_alu instid0(VALU_DEP_2) | instskip(NEXT) | instid1(VALU_DEP_2)
	v_add_co_ci_u32_e32 v2, vcc_lo, v4, v2, vcc_lo
	v_mul_lo_u32 v42, v41, s15
	v_mad_u64_u32 v[15:16], null, v41, s14, 0
	s_delay_alu instid0(VALU_DEP_3) | instskip(SKIP_1) | instid1(VALU_DEP_1)
	v_mul_lo_u32 v2, v2, s14
	v_add3_u32 v38, v38, v40, v39
	v_lshlrev_b64 v[37:38], 2, v[37:38]
	s_delay_alu instid0(VALU_DEP_3) | instskip(NEXT) | instid1(VALU_DEP_2)
	v_add3_u32 v16, v16, v42, v2
	v_add_co_u32 v2, vcc_lo, s36, v37
	s_delay_alu instid0(VALU_DEP_2) | instskip(NEXT) | instid1(VALU_DEP_4)
	v_lshlrev_b64 v[15:16], 2, v[15:16]
	v_add_co_ci_u32_e32 v37, vcc_lo, s37, v38, vcc_lo
	s_delay_alu instid0(VALU_DEP_2) | instskip(NEXT) | instid1(VALU_DEP_2)
	v_add_co_u32 v15, vcc_lo, v2, v15
	v_add_co_ci_u32_e32 v16, vcc_lo, v37, v16, vcc_lo
	v_or_b32_e32 v2, s63, v20
	global_load_b32 v37, v[15:16], off
                                        ; implicit-def: $vgpr15_vgpr16
	v_cmpx_ne_u64_e32 0, v[1:2]
	s_xor_b32 s1, exec_lo, s0
	s_cbranch_execz .LBB7_41
; %bb.40:                               ;   in Loop: Header=BB7_3 Depth=1
	s_ashr_i32 s64, s63, 31
	s_delay_alu instid0(SALU_CYCLE_1) | instskip(SKIP_2) | instid1(SALU_CYCLE_1)
	s_add_u32 s66, s62, s64
	s_mov_b32 s65, s64
	s_addc_u32 s67, s63, s64
	s_xor_b64 s[66:67], s[66:67], s[64:65]
	s_delay_alu instid0(SALU_CYCLE_1) | instskip(SKIP_3) | instid1(VALU_DEP_1)
	v_cvt_f32_u32_e32 v2, s66
	v_cvt_f32_u32_e32 v15, s67
	s_sub_u32 s0, 0, s66
	s_subb_u32 s65, 0, s67
	v_fmac_f32_e32 v2, 0x4f800000, v15
	s_delay_alu instid0(VALU_DEP_1) | instskip(SKIP_2) | instid1(VALU_DEP_1)
	v_rcp_f32_e32 v2, v2
	s_waitcnt_depctr 0xfff
	v_mul_f32_e32 v2, 0x5f7ffffc, v2
	v_mul_f32_e32 v15, 0x2f800000, v2
	s_delay_alu instid0(VALU_DEP_1) | instskip(NEXT) | instid1(VALU_DEP_1)
	v_trunc_f32_e32 v15, v15
	v_fmac_f32_e32 v2, 0xcf800000, v15
	v_cvt_u32_f32_e32 v15, v15
	s_delay_alu instid0(VALU_DEP_2) | instskip(NEXT) | instid1(VALU_DEP_2)
	v_cvt_u32_f32_e32 v2, v2
	v_mul_lo_u32 v16, s0, v15
	s_delay_alu instid0(VALU_DEP_2) | instskip(SKIP_1) | instid1(VALU_DEP_2)
	v_mul_hi_u32 v38, s0, v2
	v_mul_lo_u32 v39, s65, v2
	v_add_nc_u32_e32 v16, v38, v16
	v_mul_lo_u32 v38, s0, v2
	s_delay_alu instid0(VALU_DEP_2) | instskip(NEXT) | instid1(VALU_DEP_2)
	v_add_nc_u32_e32 v16, v16, v39
	v_mul_hi_u32 v39, v2, v38
	s_delay_alu instid0(VALU_DEP_2)
	v_mul_lo_u32 v40, v2, v16
	v_mul_hi_u32 v41, v2, v16
	v_mul_hi_u32 v42, v15, v38
	v_mul_lo_u32 v38, v15, v38
	v_mul_hi_u32 v43, v15, v16
	v_mul_lo_u32 v16, v15, v16
	v_add_co_u32 v39, vcc_lo, v39, v40
	v_add_co_ci_u32_e32 v40, vcc_lo, 0, v41, vcc_lo
	s_delay_alu instid0(VALU_DEP_2) | instskip(NEXT) | instid1(VALU_DEP_2)
	v_add_co_u32 v38, vcc_lo, v39, v38
	v_add_co_ci_u32_e32 v38, vcc_lo, v40, v42, vcc_lo
	v_add_co_ci_u32_e32 v39, vcc_lo, 0, v43, vcc_lo
	s_delay_alu instid0(VALU_DEP_2) | instskip(NEXT) | instid1(VALU_DEP_2)
	v_add_co_u32 v16, vcc_lo, v38, v16
	v_add_co_ci_u32_e32 v38, vcc_lo, 0, v39, vcc_lo
	s_delay_alu instid0(VALU_DEP_2) | instskip(NEXT) | instid1(VALU_DEP_2)
	v_add_co_u32 v2, vcc_lo, v2, v16
	v_add_co_ci_u32_e32 v15, vcc_lo, v15, v38, vcc_lo
	s_delay_alu instid0(VALU_DEP_2) | instskip(SKIP_1) | instid1(VALU_DEP_3)
	v_mul_hi_u32 v16, s0, v2
	v_mul_lo_u32 v39, s65, v2
	v_mul_lo_u32 v38, s0, v15
	s_delay_alu instid0(VALU_DEP_1) | instskip(SKIP_1) | instid1(VALU_DEP_2)
	v_add_nc_u32_e32 v16, v16, v38
	v_mul_lo_u32 v38, s0, v2
	v_add_nc_u32_e32 v16, v16, v39
	s_delay_alu instid0(VALU_DEP_2) | instskip(NEXT) | instid1(VALU_DEP_2)
	v_mul_hi_u32 v39, v2, v38
	v_mul_lo_u32 v40, v2, v16
	v_mul_hi_u32 v41, v2, v16
	v_mul_hi_u32 v42, v15, v38
	v_mul_lo_u32 v38, v15, v38
	v_mul_hi_u32 v43, v15, v16
	v_mul_lo_u32 v16, v15, v16
	v_add_co_u32 v39, vcc_lo, v39, v40
	v_add_co_ci_u32_e32 v40, vcc_lo, 0, v41, vcc_lo
	s_delay_alu instid0(VALU_DEP_2) | instskip(NEXT) | instid1(VALU_DEP_2)
	v_add_co_u32 v38, vcc_lo, v39, v38
	v_add_co_ci_u32_e32 v38, vcc_lo, v40, v42, vcc_lo
	v_add_co_ci_u32_e32 v39, vcc_lo, 0, v43, vcc_lo
	v_add_co_u32 v18, vcc_lo, v18, v17
	v_add_co_ci_u32_e32 v20, vcc_lo, v20, v17, vcc_lo
	s_delay_alu instid0(VALU_DEP_4) | instskip(NEXT) | instid1(VALU_DEP_4)
	v_add_co_u32 v16, vcc_lo, v38, v16
	v_add_co_ci_u32_e32 v38, vcc_lo, 0, v39, vcc_lo
	s_delay_alu instid0(VALU_DEP_4) | instskip(NEXT) | instid1(VALU_DEP_3)
	v_xor_b32_e32 v18, v18, v17
	v_add_co_u32 v2, vcc_lo, v2, v16
	s_delay_alu instid0(VALU_DEP_3) | instskip(SKIP_1) | instid1(VALU_DEP_3)
	v_add_co_ci_u32_e32 v42, vcc_lo, v15, v38, vcc_lo
	v_xor_b32_e32 v20, v20, v17
	v_mul_hi_u32 v43, v18, v2
	v_xor_b32_e32 v17, s64, v17
	s_delay_alu instid0(VALU_DEP_4) | instskip(NEXT) | instid1(VALU_DEP_4)
	v_mad_u64_u32 v[15:16], null, v18, v42, 0
	v_mad_u64_u32 v[38:39], null, v20, v2, 0
	;; [unrolled: 1-line block ×3, first 2 shown]
	s_delay_alu instid0(VALU_DEP_3) | instskip(NEXT) | instid1(VALU_DEP_4)
	v_add_co_u32 v2, vcc_lo, v43, v15
	v_add_co_ci_u32_e32 v15, vcc_lo, 0, v16, vcc_lo
	s_delay_alu instid0(VALU_DEP_2) | instskip(NEXT) | instid1(VALU_DEP_2)
	v_add_co_u32 v2, vcc_lo, v2, v38
	v_add_co_ci_u32_e32 v2, vcc_lo, v15, v39, vcc_lo
	v_add_co_ci_u32_e32 v15, vcc_lo, 0, v41, vcc_lo
	s_delay_alu instid0(VALU_DEP_2) | instskip(NEXT) | instid1(VALU_DEP_2)
	v_add_co_u32 v2, vcc_lo, v2, v40
	v_add_co_ci_u32_e32 v38, vcc_lo, 0, v15, vcc_lo
	s_delay_alu instid0(VALU_DEP_2) | instskip(SKIP_1) | instid1(VALU_DEP_3)
	v_mul_lo_u32 v39, s67, v2
	v_mad_u64_u32 v[15:16], null, s66, v2, 0
	v_mul_lo_u32 v40, s66, v38
	s_delay_alu instid0(VALU_DEP_2) | instskip(NEXT) | instid1(VALU_DEP_2)
	v_sub_co_u32 v15, vcc_lo, v18, v15
	v_add3_u32 v16, v16, v40, v39
	s_delay_alu instid0(VALU_DEP_1) | instskip(NEXT) | instid1(VALU_DEP_1)
	v_sub_nc_u32_e32 v39, v20, v16
	v_subrev_co_ci_u32_e64 v18, s0, s67, v39, vcc_lo
	v_add_co_u32 v39, s0, v2, 2
	s_delay_alu instid0(VALU_DEP_1) | instskip(SKIP_3) | instid1(VALU_DEP_3)
	v_add_co_ci_u32_e64 v40, s0, 0, v38, s0
	v_sub_co_u32 v41, s0, v15, s66
	v_sub_co_ci_u32_e32 v16, vcc_lo, v20, v16, vcc_lo
	v_subrev_co_ci_u32_e64 v18, s0, 0, v18, s0
	v_cmp_le_u32_e32 vcc_lo, s66, v41
	s_delay_alu instid0(VALU_DEP_3) | instskip(SKIP_1) | instid1(VALU_DEP_4)
	v_cmp_eq_u32_e64 s0, s67, v16
	v_cndmask_b32_e64 v20, 0, -1, vcc_lo
	v_cmp_le_u32_e32 vcc_lo, s67, v18
	v_cndmask_b32_e64 v41, 0, -1, vcc_lo
	v_cmp_le_u32_e32 vcc_lo, s66, v15
	;; [unrolled: 2-line block ×3, first 2 shown]
	v_cndmask_b32_e64 v42, 0, -1, vcc_lo
	v_cmp_eq_u32_e32 vcc_lo, s67, v18
	s_delay_alu instid0(VALU_DEP_2) | instskip(SKIP_3) | instid1(VALU_DEP_3)
	v_cndmask_b32_e64 v15, v42, v15, s0
	v_cndmask_b32_e32 v18, v41, v20, vcc_lo
	v_add_co_u32 v20, vcc_lo, v2, 1
	v_add_co_ci_u32_e32 v41, vcc_lo, 0, v38, vcc_lo
	v_cmp_ne_u32_e32 vcc_lo, 0, v18
	s_delay_alu instid0(VALU_DEP_2) | instskip(NEXT) | instid1(VALU_DEP_4)
	v_cndmask_b32_e32 v16, v41, v40, vcc_lo
	v_cndmask_b32_e32 v18, v20, v39, vcc_lo
	v_cmp_ne_u32_e32 vcc_lo, 0, v15
	s_delay_alu instid0(VALU_DEP_2) | instskip(NEXT) | instid1(VALU_DEP_4)
	v_cndmask_b32_e32 v2, v2, v18, vcc_lo
	v_cndmask_b32_e32 v15, v38, v16, vcc_lo
                                        ; implicit-def: $vgpr18
	s_delay_alu instid0(VALU_DEP_2) | instskip(NEXT) | instid1(VALU_DEP_2)
	v_xor_b32_e32 v2, v2, v17
	v_xor_b32_e32 v16, v15, v17
	s_delay_alu instid0(VALU_DEP_2) | instskip(NEXT) | instid1(VALU_DEP_2)
	v_sub_co_u32 v15, vcc_lo, v2, v17
	v_sub_co_ci_u32_e32 v16, vcc_lo, v16, v17, vcc_lo
.LBB7_41:                               ;   in Loop: Header=BB7_3 Depth=1
	s_or_saveexec_b32 s0, s1
	v_cvt_f32_u32_e32 v38, s62
	s_xor_b32 exec_lo, exec_lo, s0
	s_cbranch_execz .LBB7_43
; %bb.42:                               ;   in Loop: Header=BB7_3 Depth=1
	s_delay_alu instid0(VALU_DEP_1) | instskip(SKIP_3) | instid1(VALU_DEP_1)
	v_rcp_iflag_f32_e32 v2, v38
	s_sub_i32 s1, 0, s62
	s_waitcnt_depctr 0xfff
	v_mul_f32_e32 v2, 0x4f7ffffe, v2
	v_cvt_u32_f32_e32 v2, v2
	s_delay_alu instid0(VALU_DEP_1) | instskip(NEXT) | instid1(VALU_DEP_1)
	v_mul_lo_u32 v15, s1, v2
	v_mul_hi_u32 v15, v2, v15
	s_delay_alu instid0(VALU_DEP_1) | instskip(NEXT) | instid1(VALU_DEP_1)
	v_add_nc_u32_e32 v2, v2, v15
	v_mul_hi_u32 v2, v18, v2
	s_delay_alu instid0(VALU_DEP_1) | instskip(SKIP_1) | instid1(VALU_DEP_2)
	v_mul_lo_u32 v15, v2, s62
	v_add_nc_u32_e32 v16, 1, v2
	v_sub_nc_u32_e32 v15, v18, v15
	s_delay_alu instid0(VALU_DEP_1) | instskip(SKIP_1) | instid1(VALU_DEP_2)
	v_subrev_nc_u32_e32 v17, s62, v15
	v_cmp_le_u32_e32 vcc_lo, s62, v15
	v_dual_cndmask_b32 v15, v15, v17 :: v_dual_cndmask_b32 v2, v2, v16
	s_delay_alu instid0(VALU_DEP_1) | instskip(NEXT) | instid1(VALU_DEP_2)
	v_cmp_le_u32_e32 vcc_lo, s62, v15
	v_add_nc_u32_e32 v16, 1, v2
	s_delay_alu instid0(VALU_DEP_1)
	v_dual_cndmask_b32 v15, v2, v16 :: v_dual_mov_b32 v16, v1
.LBB7_43:                               ;   in Loop: Header=BB7_3 Depth=1
	s_or_b32 exec_lo, exec_lo, s0
	v_or_b32_e32 v2, s63, v23
                                        ; implicit-def: $vgpr17_vgpr18
	s_mov_b32 s0, exec_lo
	s_delay_alu instid0(VALU_DEP_1)
	v_cmpx_ne_u64_e32 0, v[1:2]
	s_xor_b32 s1, exec_lo, s0
	s_cbranch_execz .LBB7_45
; %bb.44:                               ;   in Loop: Header=BB7_3 Depth=1
	s_ashr_i32 s64, s63, 31
	s_delay_alu instid0(SALU_CYCLE_1) | instskip(SKIP_2) | instid1(SALU_CYCLE_1)
	s_add_u32 s66, s62, s64
	s_mov_b32 s65, s64
	s_addc_u32 s67, s63, s64
	s_xor_b64 s[66:67], s[66:67], s[64:65]
	s_delay_alu instid0(SALU_CYCLE_1) | instskip(SKIP_3) | instid1(VALU_DEP_1)
	v_cvt_f32_u32_e32 v2, s66
	v_cvt_f32_u32_e32 v17, s67
	s_sub_u32 s0, 0, s66
	s_subb_u32 s65, 0, s67
	v_fmac_f32_e32 v2, 0x4f800000, v17
	s_delay_alu instid0(VALU_DEP_1) | instskip(SKIP_2) | instid1(VALU_DEP_1)
	v_rcp_f32_e32 v2, v2
	s_waitcnt_depctr 0xfff
	v_mul_f32_e32 v2, 0x5f7ffffc, v2
	v_mul_f32_e32 v17, 0x2f800000, v2
	s_delay_alu instid0(VALU_DEP_1) | instskip(NEXT) | instid1(VALU_DEP_1)
	v_trunc_f32_e32 v17, v17
	v_fmac_f32_e32 v2, 0xcf800000, v17
	v_cvt_u32_f32_e32 v17, v17
	s_delay_alu instid0(VALU_DEP_2) | instskip(NEXT) | instid1(VALU_DEP_2)
	v_cvt_u32_f32_e32 v2, v2
	v_mul_lo_u32 v18, s0, v17
	s_delay_alu instid0(VALU_DEP_2) | instskip(SKIP_1) | instid1(VALU_DEP_2)
	v_mul_hi_u32 v20, s0, v2
	v_mul_lo_u32 v39, s65, v2
	v_add_nc_u32_e32 v18, v20, v18
	v_mul_lo_u32 v20, s0, v2
	s_delay_alu instid0(VALU_DEP_2) | instskip(NEXT) | instid1(VALU_DEP_2)
	v_add_nc_u32_e32 v18, v18, v39
	v_mul_hi_u32 v39, v2, v20
	s_delay_alu instid0(VALU_DEP_2)
	v_mul_lo_u32 v40, v2, v18
	v_mul_hi_u32 v41, v2, v18
	v_mul_hi_u32 v42, v17, v20
	v_mul_lo_u32 v20, v17, v20
	v_mul_hi_u32 v43, v17, v18
	v_mul_lo_u32 v18, v17, v18
	v_add_co_u32 v39, vcc_lo, v39, v40
	v_add_co_ci_u32_e32 v40, vcc_lo, 0, v41, vcc_lo
	s_delay_alu instid0(VALU_DEP_2) | instskip(NEXT) | instid1(VALU_DEP_2)
	v_add_co_u32 v20, vcc_lo, v39, v20
	v_add_co_ci_u32_e32 v20, vcc_lo, v40, v42, vcc_lo
	v_add_co_ci_u32_e32 v39, vcc_lo, 0, v43, vcc_lo
	s_delay_alu instid0(VALU_DEP_2) | instskip(NEXT) | instid1(VALU_DEP_2)
	v_add_co_u32 v18, vcc_lo, v20, v18
	v_add_co_ci_u32_e32 v20, vcc_lo, 0, v39, vcc_lo
	s_delay_alu instid0(VALU_DEP_2) | instskip(NEXT) | instid1(VALU_DEP_2)
	v_add_co_u32 v2, vcc_lo, v2, v18
	v_add_co_ci_u32_e32 v17, vcc_lo, v17, v20, vcc_lo
	s_delay_alu instid0(VALU_DEP_2) | instskip(SKIP_1) | instid1(VALU_DEP_3)
	v_mul_hi_u32 v18, s0, v2
	v_mul_lo_u32 v39, s65, v2
	v_mul_lo_u32 v20, s0, v17
	s_delay_alu instid0(VALU_DEP_1) | instskip(SKIP_1) | instid1(VALU_DEP_2)
	v_add_nc_u32_e32 v18, v18, v20
	v_mul_lo_u32 v20, s0, v2
	v_add_nc_u32_e32 v18, v18, v39
	s_delay_alu instid0(VALU_DEP_2) | instskip(NEXT) | instid1(VALU_DEP_2)
	v_mul_hi_u32 v39, v2, v20
	v_mul_lo_u32 v40, v2, v18
	v_mul_hi_u32 v41, v2, v18
	v_mul_hi_u32 v42, v17, v20
	v_mul_lo_u32 v20, v17, v20
	v_mul_hi_u32 v43, v17, v18
	v_mul_lo_u32 v18, v17, v18
	v_add_co_u32 v39, vcc_lo, v39, v40
	v_add_co_ci_u32_e32 v40, vcc_lo, 0, v41, vcc_lo
	s_delay_alu instid0(VALU_DEP_2) | instskip(NEXT) | instid1(VALU_DEP_2)
	v_add_co_u32 v20, vcc_lo, v39, v20
	v_add_co_ci_u32_e32 v20, vcc_lo, v40, v42, vcc_lo
	v_add_co_ci_u32_e32 v39, vcc_lo, 0, v43, vcc_lo
	v_add_co_u32 v21, vcc_lo, v21, v19
	v_add_co_ci_u32_e32 v23, vcc_lo, v23, v19, vcc_lo
	s_delay_alu instid0(VALU_DEP_4) | instskip(NEXT) | instid1(VALU_DEP_4)
	v_add_co_u32 v18, vcc_lo, v20, v18
	v_add_co_ci_u32_e32 v20, vcc_lo, 0, v39, vcc_lo
	s_delay_alu instid0(VALU_DEP_4) | instskip(NEXT) | instid1(VALU_DEP_3)
	v_xor_b32_e32 v41, v21, v19
	v_add_co_u32 v2, vcc_lo, v2, v18
	s_delay_alu instid0(VALU_DEP_3) | instskip(SKIP_1) | instid1(VALU_DEP_3)
	v_add_co_ci_u32_e32 v42, vcc_lo, v17, v20, vcc_lo
	v_xor_b32_e32 v23, v23, v19
	v_mul_hi_u32 v43, v41, v2
	v_xor_b32_e32 v19, s64, v19
	s_delay_alu instid0(VALU_DEP_4) | instskip(NEXT) | instid1(VALU_DEP_4)
	v_mad_u64_u32 v[17:18], null, v41, v42, 0
	v_mad_u64_u32 v[20:21], null, v23, v2, 0
	;; [unrolled: 1-line block ×3, first 2 shown]
	s_delay_alu instid0(VALU_DEP_3) | instskip(NEXT) | instid1(VALU_DEP_4)
	v_add_co_u32 v2, vcc_lo, v43, v17
	v_add_co_ci_u32_e32 v17, vcc_lo, 0, v18, vcc_lo
	s_delay_alu instid0(VALU_DEP_2) | instskip(NEXT) | instid1(VALU_DEP_2)
	v_add_co_u32 v2, vcc_lo, v2, v20
	v_add_co_ci_u32_e32 v2, vcc_lo, v17, v21, vcc_lo
	v_add_co_ci_u32_e32 v17, vcc_lo, 0, v40, vcc_lo
	s_delay_alu instid0(VALU_DEP_2) | instskip(NEXT) | instid1(VALU_DEP_2)
	v_add_co_u32 v2, vcc_lo, v2, v39
	v_add_co_ci_u32_e32 v20, vcc_lo, 0, v17, vcc_lo
	s_delay_alu instid0(VALU_DEP_2) | instskip(SKIP_1) | instid1(VALU_DEP_3)
	v_mul_lo_u32 v21, s67, v2
	v_mad_u64_u32 v[17:18], null, s66, v2, 0
	v_mul_lo_u32 v39, s66, v20
	s_delay_alu instid0(VALU_DEP_2) | instskip(NEXT) | instid1(VALU_DEP_2)
	v_sub_co_u32 v17, vcc_lo, v41, v17
	v_add3_u32 v18, v18, v39, v21
	s_delay_alu instid0(VALU_DEP_1) | instskip(NEXT) | instid1(VALU_DEP_1)
	v_sub_nc_u32_e32 v21, v23, v18
	v_subrev_co_ci_u32_e64 v21, s0, s67, v21, vcc_lo
	v_add_co_u32 v39, s0, v2, 2
	s_delay_alu instid0(VALU_DEP_1) | instskip(SKIP_3) | instid1(VALU_DEP_3)
	v_add_co_ci_u32_e64 v40, s0, 0, v20, s0
	v_sub_co_u32 v41, s0, v17, s66
	v_sub_co_ci_u32_e32 v18, vcc_lo, v23, v18, vcc_lo
	v_subrev_co_ci_u32_e64 v21, s0, 0, v21, s0
	v_cmp_le_u32_e32 vcc_lo, s66, v41
	s_delay_alu instid0(VALU_DEP_3) | instskip(SKIP_1) | instid1(VALU_DEP_4)
	v_cmp_eq_u32_e64 s0, s67, v18
	v_cndmask_b32_e64 v23, 0, -1, vcc_lo
	v_cmp_le_u32_e32 vcc_lo, s67, v21
	v_cndmask_b32_e64 v41, 0, -1, vcc_lo
	v_cmp_le_u32_e32 vcc_lo, s66, v17
	;; [unrolled: 2-line block ×3, first 2 shown]
	v_cndmask_b32_e64 v42, 0, -1, vcc_lo
	v_cmp_eq_u32_e32 vcc_lo, s67, v21
	s_delay_alu instid0(VALU_DEP_2) | instskip(SKIP_3) | instid1(VALU_DEP_3)
	v_cndmask_b32_e64 v17, v42, v17, s0
	v_cndmask_b32_e32 v21, v41, v23, vcc_lo
	v_add_co_u32 v23, vcc_lo, v2, 1
	v_add_co_ci_u32_e32 v41, vcc_lo, 0, v20, vcc_lo
	v_cmp_ne_u32_e32 vcc_lo, 0, v21
	s_delay_alu instid0(VALU_DEP_2) | instskip(SKIP_1) | instid1(VALU_DEP_2)
	v_dual_cndmask_b32 v18, v41, v40 :: v_dual_cndmask_b32 v21, v23, v39
	v_cmp_ne_u32_e32 vcc_lo, 0, v17
	v_dual_cndmask_b32 v17, v20, v18 :: v_dual_cndmask_b32 v2, v2, v21
                                        ; implicit-def: $vgpr21
	s_delay_alu instid0(VALU_DEP_1) | instskip(NEXT) | instid1(VALU_DEP_2)
	v_xor_b32_e32 v18, v17, v19
	v_xor_b32_e32 v2, v2, v19
	s_delay_alu instid0(VALU_DEP_1) | instskip(NEXT) | instid1(VALU_DEP_3)
	v_sub_co_u32 v17, vcc_lo, v2, v19
	v_sub_co_ci_u32_e32 v18, vcc_lo, v18, v19, vcc_lo
.LBB7_45:                               ;   in Loop: Header=BB7_3 Depth=1
	s_and_not1_saveexec_b32 s0, s1
	s_cbranch_execz .LBB7_47
; %bb.46:                               ;   in Loop: Header=BB7_3 Depth=1
	v_rcp_iflag_f32_e32 v2, v38
	s_sub_i32 s1, 0, s62
	s_waitcnt_depctr 0xfff
	v_mul_f32_e32 v2, 0x4f7ffffe, v2
	s_delay_alu instid0(VALU_DEP_1) | instskip(NEXT) | instid1(VALU_DEP_1)
	v_cvt_u32_f32_e32 v2, v2
	v_mul_lo_u32 v17, s1, v2
	s_delay_alu instid0(VALU_DEP_1) | instskip(NEXT) | instid1(VALU_DEP_1)
	v_mul_hi_u32 v17, v2, v17
	v_add_nc_u32_e32 v2, v2, v17
	s_delay_alu instid0(VALU_DEP_1) | instskip(NEXT) | instid1(VALU_DEP_1)
	v_mul_hi_u32 v2, v21, v2
	v_mul_lo_u32 v17, v2, s62
	v_add_nc_u32_e32 v18, 1, v2
	s_delay_alu instid0(VALU_DEP_2) | instskip(NEXT) | instid1(VALU_DEP_1)
	v_sub_nc_u32_e32 v17, v21, v17
	v_subrev_nc_u32_e32 v19, s62, v17
	v_cmp_le_u32_e32 vcc_lo, s62, v17
	s_delay_alu instid0(VALU_DEP_2) | instskip(NEXT) | instid1(VALU_DEP_1)
	v_dual_cndmask_b32 v17, v17, v19 :: v_dual_cndmask_b32 v2, v2, v18
	v_cmp_le_u32_e32 vcc_lo, s62, v17
	s_delay_alu instid0(VALU_DEP_2) | instskip(NEXT) | instid1(VALU_DEP_1)
	v_add_nc_u32_e32 v18, 1, v2
	v_dual_cndmask_b32 v17, v2, v18 :: v_dual_mov_b32 v18, v1
.LBB7_47:                               ;   in Loop: Header=BB7_3 Depth=1
	s_or_b32 exec_lo, exec_lo, s0
	v_or_b32_e32 v2, s63, v26
                                        ; implicit-def: $vgpr19_vgpr20
	s_mov_b32 s0, exec_lo
	s_delay_alu instid0(VALU_DEP_1)
	v_cmpx_ne_u64_e32 0, v[1:2]
	s_xor_b32 s1, exec_lo, s0
	s_cbranch_execz .LBB7_49
; %bb.48:                               ;   in Loop: Header=BB7_3 Depth=1
	s_ashr_i32 s64, s63, 31
	s_delay_alu instid0(SALU_CYCLE_1) | instskip(SKIP_2) | instid1(SALU_CYCLE_1)
	s_add_u32 s66, s62, s64
	s_mov_b32 s65, s64
	s_addc_u32 s67, s63, s64
	s_xor_b64 s[66:67], s[66:67], s[64:65]
	s_delay_alu instid0(SALU_CYCLE_1) | instskip(SKIP_3) | instid1(VALU_DEP_1)
	v_cvt_f32_u32_e32 v2, s66
	v_cvt_f32_u32_e32 v19, s67
	s_sub_u32 s0, 0, s66
	s_subb_u32 s65, 0, s67
	v_fmac_f32_e32 v2, 0x4f800000, v19
	s_delay_alu instid0(VALU_DEP_1) | instskip(SKIP_2) | instid1(VALU_DEP_1)
	v_rcp_f32_e32 v2, v2
	s_waitcnt_depctr 0xfff
	v_mul_f32_e32 v2, 0x5f7ffffc, v2
	v_mul_f32_e32 v19, 0x2f800000, v2
	s_delay_alu instid0(VALU_DEP_1) | instskip(NEXT) | instid1(VALU_DEP_1)
	v_trunc_f32_e32 v19, v19
	v_fmac_f32_e32 v2, 0xcf800000, v19
	v_cvt_u32_f32_e32 v19, v19
	s_delay_alu instid0(VALU_DEP_2) | instskip(NEXT) | instid1(VALU_DEP_2)
	v_cvt_u32_f32_e32 v2, v2
	v_mul_lo_u32 v20, s0, v19
	s_delay_alu instid0(VALU_DEP_2) | instskip(SKIP_1) | instid1(VALU_DEP_2)
	v_mul_hi_u32 v21, s0, v2
	v_mul_lo_u32 v23, s65, v2
	v_add_nc_u32_e32 v20, v21, v20
	v_mul_lo_u32 v21, s0, v2
	s_delay_alu instid0(VALU_DEP_2) | instskip(NEXT) | instid1(VALU_DEP_2)
	v_add_nc_u32_e32 v20, v20, v23
	v_mul_hi_u32 v23, v2, v21
	s_delay_alu instid0(VALU_DEP_2)
	v_mul_lo_u32 v39, v2, v20
	v_mul_hi_u32 v40, v2, v20
	v_mul_hi_u32 v41, v19, v21
	v_mul_lo_u32 v21, v19, v21
	v_mul_hi_u32 v42, v19, v20
	v_mul_lo_u32 v20, v19, v20
	v_add_co_u32 v23, vcc_lo, v23, v39
	v_add_co_ci_u32_e32 v39, vcc_lo, 0, v40, vcc_lo
	s_delay_alu instid0(VALU_DEP_2) | instskip(NEXT) | instid1(VALU_DEP_2)
	v_add_co_u32 v21, vcc_lo, v23, v21
	v_add_co_ci_u32_e32 v21, vcc_lo, v39, v41, vcc_lo
	v_add_co_ci_u32_e32 v23, vcc_lo, 0, v42, vcc_lo
	s_delay_alu instid0(VALU_DEP_2) | instskip(NEXT) | instid1(VALU_DEP_2)
	v_add_co_u32 v20, vcc_lo, v21, v20
	v_add_co_ci_u32_e32 v21, vcc_lo, 0, v23, vcc_lo
	s_delay_alu instid0(VALU_DEP_2) | instskip(NEXT) | instid1(VALU_DEP_2)
	v_add_co_u32 v2, vcc_lo, v2, v20
	v_add_co_ci_u32_e32 v19, vcc_lo, v19, v21, vcc_lo
	s_delay_alu instid0(VALU_DEP_2) | instskip(SKIP_1) | instid1(VALU_DEP_3)
	v_mul_hi_u32 v20, s0, v2
	v_mul_lo_u32 v23, s65, v2
	v_mul_lo_u32 v21, s0, v19
	s_delay_alu instid0(VALU_DEP_1) | instskip(SKIP_1) | instid1(VALU_DEP_2)
	v_add_nc_u32_e32 v20, v20, v21
	v_mul_lo_u32 v21, s0, v2
	v_add_nc_u32_e32 v20, v20, v23
	s_delay_alu instid0(VALU_DEP_2) | instskip(NEXT) | instid1(VALU_DEP_2)
	v_mul_hi_u32 v23, v2, v21
	v_mul_lo_u32 v39, v2, v20
	v_mul_hi_u32 v40, v2, v20
	v_mul_hi_u32 v41, v19, v21
	v_mul_lo_u32 v21, v19, v21
	v_mul_hi_u32 v42, v19, v20
	v_mul_lo_u32 v20, v19, v20
	v_add_co_u32 v23, vcc_lo, v23, v39
	v_add_co_ci_u32_e32 v39, vcc_lo, 0, v40, vcc_lo
	s_delay_alu instid0(VALU_DEP_2) | instskip(NEXT) | instid1(VALU_DEP_2)
	v_add_co_u32 v21, vcc_lo, v23, v21
	v_add_co_ci_u32_e32 v21, vcc_lo, v39, v41, vcc_lo
	v_add_co_ci_u32_e32 v23, vcc_lo, 0, v42, vcc_lo
	v_add_co_u32 v25, vcc_lo, v25, v22
	v_add_co_ci_u32_e32 v26, vcc_lo, v26, v22, vcc_lo
	s_delay_alu instid0(VALU_DEP_4) | instskip(NEXT) | instid1(VALU_DEP_4)
	v_add_co_u32 v20, vcc_lo, v21, v20
	v_add_co_ci_u32_e32 v21, vcc_lo, 0, v23, vcc_lo
	s_delay_alu instid0(VALU_DEP_4) | instskip(NEXT) | instid1(VALU_DEP_3)
	v_xor_b32_e32 v23, v25, v22
	v_add_co_u32 v2, vcc_lo, v2, v20
	s_delay_alu instid0(VALU_DEP_3) | instskip(SKIP_1) | instid1(VALU_DEP_3)
	v_add_co_ci_u32_e32 v21, vcc_lo, v19, v21, vcc_lo
	v_xor_b32_e32 v41, v26, v22
	v_mul_hi_u32 v42, v23, v2
	v_xor_b32_e32 v22, s64, v22
	s_delay_alu instid0(VALU_DEP_4) | instskip(NEXT) | instid1(VALU_DEP_4)
	v_mad_u64_u32 v[19:20], null, v23, v21, 0
	v_mad_u64_u32 v[25:26], null, v41, v2, 0
	;; [unrolled: 1-line block ×3, first 2 shown]
	s_delay_alu instid0(VALU_DEP_3) | instskip(NEXT) | instid1(VALU_DEP_4)
	v_add_co_u32 v2, vcc_lo, v42, v19
	v_add_co_ci_u32_e32 v19, vcc_lo, 0, v20, vcc_lo
	s_delay_alu instid0(VALU_DEP_2) | instskip(NEXT) | instid1(VALU_DEP_2)
	v_add_co_u32 v2, vcc_lo, v2, v25
	v_add_co_ci_u32_e32 v2, vcc_lo, v19, v26, vcc_lo
	v_add_co_ci_u32_e32 v19, vcc_lo, 0, v40, vcc_lo
	s_delay_alu instid0(VALU_DEP_2) | instskip(NEXT) | instid1(VALU_DEP_2)
	v_add_co_u32 v2, vcc_lo, v2, v39
	v_add_co_ci_u32_e32 v21, vcc_lo, 0, v19, vcc_lo
	s_delay_alu instid0(VALU_DEP_2) | instskip(SKIP_1) | instid1(VALU_DEP_3)
	v_mul_lo_u32 v25, s67, v2
	v_mad_u64_u32 v[19:20], null, s66, v2, 0
	v_mul_lo_u32 v26, s66, v21
	s_delay_alu instid0(VALU_DEP_2) | instskip(NEXT) | instid1(VALU_DEP_2)
	v_sub_co_u32 v19, vcc_lo, v23, v19
	v_add3_u32 v20, v20, v26, v25
	s_delay_alu instid0(VALU_DEP_1) | instskip(NEXT) | instid1(VALU_DEP_1)
	v_sub_nc_u32_e32 v25, v41, v20
	v_subrev_co_ci_u32_e64 v23, s0, s67, v25, vcc_lo
	v_add_co_u32 v25, s0, v2, 2
	s_delay_alu instid0(VALU_DEP_1) | instskip(SKIP_3) | instid1(VALU_DEP_3)
	v_add_co_ci_u32_e64 v26, s0, 0, v21, s0
	v_sub_co_u32 v39, s0, v19, s66
	v_sub_co_ci_u32_e32 v20, vcc_lo, v41, v20, vcc_lo
	v_subrev_co_ci_u32_e64 v23, s0, 0, v23, s0
	v_cmp_le_u32_e32 vcc_lo, s66, v39
	s_delay_alu instid0(VALU_DEP_3) | instskip(SKIP_1) | instid1(VALU_DEP_4)
	v_cmp_eq_u32_e64 s0, s67, v20
	v_cndmask_b32_e64 v39, 0, -1, vcc_lo
	v_cmp_le_u32_e32 vcc_lo, s67, v23
	v_cndmask_b32_e64 v40, 0, -1, vcc_lo
	v_cmp_le_u32_e32 vcc_lo, s66, v19
	;; [unrolled: 2-line block ×3, first 2 shown]
	v_cndmask_b32_e64 v41, 0, -1, vcc_lo
	v_cmp_eq_u32_e32 vcc_lo, s67, v23
	s_delay_alu instid0(VALU_DEP_2) | instskip(SKIP_3) | instid1(VALU_DEP_3)
	v_cndmask_b32_e64 v19, v41, v19, s0
	v_cndmask_b32_e32 v23, v40, v39, vcc_lo
	v_add_co_u32 v39, vcc_lo, v2, 1
	v_add_co_ci_u32_e32 v40, vcc_lo, 0, v21, vcc_lo
	v_cmp_ne_u32_e32 vcc_lo, 0, v23
	s_delay_alu instid0(VALU_DEP_2) | instskip(SKIP_1) | instid1(VALU_DEP_2)
	v_dual_cndmask_b32 v20, v40, v26 :: v_dual_cndmask_b32 v23, v39, v25
	v_cmp_ne_u32_e32 vcc_lo, 0, v19
                                        ; implicit-def: $vgpr25
	v_dual_cndmask_b32 v19, v21, v20 :: v_dual_cndmask_b32 v2, v2, v23
	s_delay_alu instid0(VALU_DEP_1) | instskip(NEXT) | instid1(VALU_DEP_2)
	v_xor_b32_e32 v20, v19, v22
	v_xor_b32_e32 v2, v2, v22
	s_delay_alu instid0(VALU_DEP_1) | instskip(NEXT) | instid1(VALU_DEP_3)
	v_sub_co_u32 v19, vcc_lo, v2, v22
	v_sub_co_ci_u32_e32 v20, vcc_lo, v20, v22, vcc_lo
.LBB7_49:                               ;   in Loop: Header=BB7_3 Depth=1
	s_and_not1_saveexec_b32 s0, s1
	s_cbranch_execz .LBB7_51
; %bb.50:                               ;   in Loop: Header=BB7_3 Depth=1
	v_rcp_iflag_f32_e32 v2, v38
	s_sub_i32 s1, 0, s62
	s_waitcnt_depctr 0xfff
	v_mul_f32_e32 v2, 0x4f7ffffe, v2
	s_delay_alu instid0(VALU_DEP_1) | instskip(NEXT) | instid1(VALU_DEP_1)
	v_cvt_u32_f32_e32 v2, v2
	v_mul_lo_u32 v19, s1, v2
	s_delay_alu instid0(VALU_DEP_1) | instskip(NEXT) | instid1(VALU_DEP_1)
	v_mul_hi_u32 v19, v2, v19
	v_add_nc_u32_e32 v2, v2, v19
	s_delay_alu instid0(VALU_DEP_1) | instskip(NEXT) | instid1(VALU_DEP_1)
	v_mul_hi_u32 v2, v25, v2
	v_mul_lo_u32 v19, v2, s62
	v_add_nc_u32_e32 v20, 1, v2
	s_delay_alu instid0(VALU_DEP_2) | instskip(NEXT) | instid1(VALU_DEP_1)
	v_sub_nc_u32_e32 v19, v25, v19
	v_subrev_nc_u32_e32 v21, s62, v19
	v_cmp_le_u32_e32 vcc_lo, s62, v19
	s_delay_alu instid0(VALU_DEP_2) | instskip(NEXT) | instid1(VALU_DEP_1)
	v_dual_cndmask_b32 v19, v19, v21 :: v_dual_cndmask_b32 v2, v2, v20
	v_cmp_le_u32_e32 vcc_lo, s62, v19
	s_delay_alu instid0(VALU_DEP_2) | instskip(NEXT) | instid1(VALU_DEP_1)
	v_add_nc_u32_e32 v20, 1, v2
	v_dual_cndmask_b32 v19, v2, v20 :: v_dual_mov_b32 v20, v1
.LBB7_51:                               ;   in Loop: Header=BB7_3 Depth=1
	s_or_b32 exec_lo, exec_lo, s0
	v_or_b32_e32 v2, s63, v35
                                        ; implicit-def: $vgpr21_vgpr22
	s_mov_b32 s0, exec_lo
	s_delay_alu instid0(VALU_DEP_1)
	v_cmpx_ne_u64_e32 0, v[1:2]
	s_xor_b32 s1, exec_lo, s0
	s_cbranch_execz .LBB7_53
; %bb.52:                               ;   in Loop: Header=BB7_3 Depth=1
	s_ashr_i32 s64, s63, 31
	s_delay_alu instid0(SALU_CYCLE_1) | instskip(SKIP_2) | instid1(SALU_CYCLE_1)
	s_add_u32 s66, s62, s64
	s_mov_b32 s65, s64
	s_addc_u32 s67, s63, s64
	s_xor_b64 s[66:67], s[66:67], s[64:65]
	s_delay_alu instid0(SALU_CYCLE_1) | instskip(SKIP_3) | instid1(VALU_DEP_1)
	v_cvt_f32_u32_e32 v2, s66
	v_cvt_f32_u32_e32 v21, s67
	s_sub_u32 s0, 0, s66
	s_subb_u32 s65, 0, s67
	v_fmac_f32_e32 v2, 0x4f800000, v21
	s_delay_alu instid0(VALU_DEP_1) | instskip(SKIP_2) | instid1(VALU_DEP_1)
	v_rcp_f32_e32 v2, v2
	s_waitcnt_depctr 0xfff
	v_mul_f32_e32 v2, 0x5f7ffffc, v2
	v_mul_f32_e32 v21, 0x2f800000, v2
	s_delay_alu instid0(VALU_DEP_1) | instskip(NEXT) | instid1(VALU_DEP_1)
	v_trunc_f32_e32 v21, v21
	v_fmac_f32_e32 v2, 0xcf800000, v21
	v_cvt_u32_f32_e32 v21, v21
	s_delay_alu instid0(VALU_DEP_2) | instskip(NEXT) | instid1(VALU_DEP_2)
	v_cvt_u32_f32_e32 v2, v2
	v_mul_lo_u32 v22, s0, v21
	s_delay_alu instid0(VALU_DEP_2) | instskip(SKIP_1) | instid1(VALU_DEP_2)
	v_mul_hi_u32 v23, s0, v2
	v_mul_lo_u32 v25, s65, v2
	v_add_nc_u32_e32 v22, v23, v22
	v_mul_lo_u32 v23, s0, v2
	s_delay_alu instid0(VALU_DEP_2) | instskip(NEXT) | instid1(VALU_DEP_2)
	v_add_nc_u32_e32 v22, v22, v25
	v_mul_hi_u32 v25, v2, v23
	s_delay_alu instid0(VALU_DEP_2)
	v_mul_lo_u32 v26, v2, v22
	v_mul_hi_u32 v38, v2, v22
	v_mul_hi_u32 v39, v21, v23
	v_mul_lo_u32 v23, v21, v23
	v_mul_hi_u32 v40, v21, v22
	v_mul_lo_u32 v22, v21, v22
	v_add_co_u32 v25, vcc_lo, v25, v26
	v_add_co_ci_u32_e32 v26, vcc_lo, 0, v38, vcc_lo
	s_delay_alu instid0(VALU_DEP_2) | instskip(NEXT) | instid1(VALU_DEP_2)
	v_add_co_u32 v23, vcc_lo, v25, v23
	v_add_co_ci_u32_e32 v23, vcc_lo, v26, v39, vcc_lo
	v_add_co_ci_u32_e32 v25, vcc_lo, 0, v40, vcc_lo
	s_delay_alu instid0(VALU_DEP_2) | instskip(NEXT) | instid1(VALU_DEP_2)
	v_add_co_u32 v22, vcc_lo, v23, v22
	v_add_co_ci_u32_e32 v23, vcc_lo, 0, v25, vcc_lo
	s_delay_alu instid0(VALU_DEP_2) | instskip(NEXT) | instid1(VALU_DEP_2)
	v_add_co_u32 v2, vcc_lo, v2, v22
	v_add_co_ci_u32_e32 v21, vcc_lo, v21, v23, vcc_lo
	s_delay_alu instid0(VALU_DEP_2) | instskip(SKIP_1) | instid1(VALU_DEP_3)
	v_mul_hi_u32 v22, s0, v2
	v_mul_lo_u32 v25, s65, v2
	v_mul_lo_u32 v23, s0, v21
	s_delay_alu instid0(VALU_DEP_1) | instskip(SKIP_1) | instid1(VALU_DEP_2)
	v_add_nc_u32_e32 v22, v22, v23
	v_mul_lo_u32 v23, s0, v2
	v_add_nc_u32_e32 v22, v22, v25
	s_delay_alu instid0(VALU_DEP_2) | instskip(NEXT) | instid1(VALU_DEP_2)
	v_mul_hi_u32 v25, v2, v23
	v_mul_lo_u32 v26, v2, v22
	v_mul_hi_u32 v38, v2, v22
	v_mul_hi_u32 v39, v21, v23
	v_mul_lo_u32 v23, v21, v23
	v_mul_hi_u32 v40, v21, v22
	v_mul_lo_u32 v22, v21, v22
	v_add_co_u32 v25, vcc_lo, v25, v26
	v_add_co_ci_u32_e32 v26, vcc_lo, 0, v38, vcc_lo
	s_delay_alu instid0(VALU_DEP_2) | instskip(NEXT) | instid1(VALU_DEP_2)
	v_add_co_u32 v23, vcc_lo, v25, v23
	v_add_co_ci_u32_e32 v23, vcc_lo, v26, v39, vcc_lo
	v_add_co_ci_u32_e32 v25, vcc_lo, 0, v40, vcc_lo
	v_add_co_u32 v26, vcc_lo, v34, v24
	v_add_co_ci_u32_e32 v34, vcc_lo, v35, v24, vcc_lo
	s_delay_alu instid0(VALU_DEP_4) | instskip(NEXT) | instid1(VALU_DEP_4)
	v_add_co_u32 v22, vcc_lo, v23, v22
	v_add_co_ci_u32_e32 v23, vcc_lo, 0, v25, vcc_lo
	s_delay_alu instid0(VALU_DEP_4) | instskip(NEXT) | instid1(VALU_DEP_3)
	v_xor_b32_e32 v38, v26, v24
	v_add_co_u32 v2, vcc_lo, v2, v22
	s_delay_alu instid0(VALU_DEP_3) | instskip(SKIP_1) | instid1(VALU_DEP_3)
	v_add_co_ci_u32_e32 v23, vcc_lo, v21, v23, vcc_lo
	v_xor_b32_e32 v39, v34, v24
	v_mul_hi_u32 v40, v38, v2
	v_xor_b32_e32 v24, s64, v24
	s_delay_alu instid0(VALU_DEP_4) | instskip(NEXT) | instid1(VALU_DEP_4)
	v_mad_u64_u32 v[21:22], null, v38, v23, 0
	v_mad_u64_u32 v[25:26], null, v39, v2, 0
	;; [unrolled: 1-line block ×3, first 2 shown]
	s_delay_alu instid0(VALU_DEP_3) | instskip(NEXT) | instid1(VALU_DEP_4)
	v_add_co_u32 v2, vcc_lo, v40, v21
	v_add_co_ci_u32_e32 v21, vcc_lo, 0, v22, vcc_lo
	s_delay_alu instid0(VALU_DEP_2) | instskip(NEXT) | instid1(VALU_DEP_2)
	v_add_co_u32 v2, vcc_lo, v2, v25
	v_add_co_ci_u32_e32 v2, vcc_lo, v21, v26, vcc_lo
	v_add_co_ci_u32_e32 v21, vcc_lo, 0, v35, vcc_lo
	s_delay_alu instid0(VALU_DEP_2) | instskip(NEXT) | instid1(VALU_DEP_2)
	v_add_co_u32 v2, vcc_lo, v2, v34
	v_add_co_ci_u32_e32 v23, vcc_lo, 0, v21, vcc_lo
	s_delay_alu instid0(VALU_DEP_2) | instskip(SKIP_1) | instid1(VALU_DEP_3)
	v_mul_lo_u32 v25, s67, v2
	v_mad_u64_u32 v[21:22], null, s66, v2, 0
	v_mul_lo_u32 v26, s66, v23
	s_delay_alu instid0(VALU_DEP_2) | instskip(NEXT) | instid1(VALU_DEP_2)
	v_sub_co_u32 v21, vcc_lo, v38, v21
	v_add3_u32 v22, v22, v26, v25
	s_delay_alu instid0(VALU_DEP_1) | instskip(NEXT) | instid1(VALU_DEP_1)
	v_sub_nc_u32_e32 v25, v39, v22
	v_subrev_co_ci_u32_e64 v25, s0, s67, v25, vcc_lo
	v_add_co_u32 v26, s0, v2, 2
	s_delay_alu instid0(VALU_DEP_1) | instskip(SKIP_3) | instid1(VALU_DEP_3)
	v_add_co_ci_u32_e64 v34, s0, 0, v23, s0
	v_sub_co_u32 v35, s0, v21, s66
	v_sub_co_ci_u32_e32 v22, vcc_lo, v39, v22, vcc_lo
	v_subrev_co_ci_u32_e64 v25, s0, 0, v25, s0
	v_cmp_le_u32_e32 vcc_lo, s66, v35
	s_delay_alu instid0(VALU_DEP_3) | instskip(SKIP_1) | instid1(VALU_DEP_4)
	v_cmp_eq_u32_e64 s0, s67, v22
	v_cndmask_b32_e64 v35, 0, -1, vcc_lo
	v_cmp_le_u32_e32 vcc_lo, s67, v25
	v_cndmask_b32_e64 v38, 0, -1, vcc_lo
	v_cmp_le_u32_e32 vcc_lo, s66, v21
	;; [unrolled: 2-line block ×3, first 2 shown]
	v_cndmask_b32_e64 v39, 0, -1, vcc_lo
	v_cmp_eq_u32_e32 vcc_lo, s67, v25
	s_delay_alu instid0(VALU_DEP_2) | instskip(SKIP_3) | instid1(VALU_DEP_3)
	v_cndmask_b32_e64 v21, v39, v21, s0
	v_cndmask_b32_e32 v25, v38, v35, vcc_lo
	v_add_co_u32 v35, vcc_lo, v2, 1
	v_add_co_ci_u32_e32 v38, vcc_lo, 0, v23, vcc_lo
	v_cmp_ne_u32_e32 vcc_lo, 0, v25
	s_delay_alu instid0(VALU_DEP_3) | instskip(NEXT) | instid1(VALU_DEP_3)
	v_cndmask_b32_e32 v25, v35, v26, vcc_lo
	v_cndmask_b32_e32 v22, v38, v34, vcc_lo
	v_cmp_ne_u32_e32 vcc_lo, 0, v21
                                        ; implicit-def: $vgpr38
                                        ; implicit-def: $vgpr34
	s_delay_alu instid0(VALU_DEP_2) | instskip(NEXT) | instid1(VALU_DEP_1)
	v_dual_cndmask_b32 v21, v23, v22 :: v_dual_cndmask_b32 v2, v2, v25
	v_xor_b32_e32 v22, v21, v24
	s_delay_alu instid0(VALU_DEP_2) | instskip(NEXT) | instid1(VALU_DEP_1)
	v_xor_b32_e32 v2, v2, v24
	v_sub_co_u32 v21, vcc_lo, v2, v24
	s_delay_alu instid0(VALU_DEP_3)
	v_sub_co_ci_u32_e32 v22, vcc_lo, v22, v24, vcc_lo
.LBB7_53:                               ;   in Loop: Header=BB7_3 Depth=1
	s_and_not1_saveexec_b32 s0, s1
	s_cbranch_execz .LBB7_55
; %bb.54:                               ;   in Loop: Header=BB7_3 Depth=1
	v_rcp_iflag_f32_e32 v2, v38
	s_sub_i32 s1, 0, s62
	s_waitcnt_depctr 0xfff
	v_mul_f32_e32 v2, 0x4f7ffffe, v2
	s_delay_alu instid0(VALU_DEP_1) | instskip(NEXT) | instid1(VALU_DEP_1)
	v_cvt_u32_f32_e32 v2, v2
	v_mul_lo_u32 v21, s1, v2
	s_delay_alu instid0(VALU_DEP_1) | instskip(NEXT) | instid1(VALU_DEP_1)
	v_mul_hi_u32 v21, v2, v21
	v_add_nc_u32_e32 v2, v2, v21
	s_delay_alu instid0(VALU_DEP_1) | instskip(NEXT) | instid1(VALU_DEP_1)
	v_mul_hi_u32 v2, v34, v2
	v_mul_lo_u32 v21, v2, s62
	v_add_nc_u32_e32 v22, 1, v2
	s_delay_alu instid0(VALU_DEP_2) | instskip(NEXT) | instid1(VALU_DEP_1)
	v_sub_nc_u32_e32 v21, v34, v21
	v_subrev_nc_u32_e32 v23, s62, v21
	v_cmp_le_u32_e32 vcc_lo, s62, v21
	s_delay_alu instid0(VALU_DEP_2) | instskip(NEXT) | instid1(VALU_DEP_1)
	v_dual_cndmask_b32 v21, v21, v23 :: v_dual_cndmask_b32 v2, v2, v22
	v_cmp_le_u32_e32 vcc_lo, s62, v21
	s_delay_alu instid0(VALU_DEP_2) | instskip(NEXT) | instid1(VALU_DEP_1)
	v_add_nc_u32_e32 v22, 1, v2
	v_dual_cndmask_b32 v21, v2, v22 :: v_dual_mov_b32 v22, v1
.LBB7_55:                               ;   in Loop: Header=BB7_3 Depth=1
	s_or_b32 exec_lo, exec_lo, s0
	v_or_b32_e32 v2, s51, v4
                                        ; implicit-def: $vgpr23_vgpr24
	s_mov_b32 s0, exec_lo
	s_delay_alu instid0(VALU_DEP_1)
	v_cmpx_ne_u64_e32 0, v[1:2]
	s_xor_b32 s1, exec_lo, s0
	s_cbranch_execz .LBB7_57
; %bb.56:                               ;   in Loop: Header=BB7_3 Depth=1
	s_ashr_i32 s64, s51, 31
	s_delay_alu instid0(SALU_CYCLE_1) | instskip(SKIP_2) | instid1(SALU_CYCLE_1)
	s_add_u32 s66, s50, s64
	s_mov_b32 s65, s64
	s_addc_u32 s67, s51, s64
	s_xor_b64 s[66:67], s[66:67], s[64:65]
	s_delay_alu instid0(SALU_CYCLE_1) | instskip(SKIP_3) | instid1(VALU_DEP_1)
	v_cvt_f32_u32_e32 v2, s66
	v_cvt_f32_u32_e32 v23, s67
	s_sub_u32 s0, 0, s66
	s_subb_u32 s65, 0, s67
	v_fmac_f32_e32 v2, 0x4f800000, v23
	s_delay_alu instid0(VALU_DEP_1) | instskip(SKIP_2) | instid1(VALU_DEP_1)
	v_rcp_f32_e32 v2, v2
	s_waitcnt_depctr 0xfff
	v_mul_f32_e32 v2, 0x5f7ffffc, v2
	v_mul_f32_e32 v23, 0x2f800000, v2
	s_delay_alu instid0(VALU_DEP_1) | instskip(NEXT) | instid1(VALU_DEP_1)
	v_trunc_f32_e32 v23, v23
	v_fmac_f32_e32 v2, 0xcf800000, v23
	v_cvt_u32_f32_e32 v23, v23
	s_delay_alu instid0(VALU_DEP_2) | instskip(NEXT) | instid1(VALU_DEP_2)
	v_cvt_u32_f32_e32 v2, v2
	v_mul_lo_u32 v24, s0, v23
	s_delay_alu instid0(VALU_DEP_2) | instskip(SKIP_1) | instid1(VALU_DEP_2)
	v_mul_hi_u32 v25, s0, v2
	v_mul_lo_u32 v26, s65, v2
	v_add_nc_u32_e32 v24, v25, v24
	v_mul_lo_u32 v25, s0, v2
	s_delay_alu instid0(VALU_DEP_2) | instskip(NEXT) | instid1(VALU_DEP_2)
	v_add_nc_u32_e32 v24, v24, v26
	v_mul_hi_u32 v26, v2, v25
	s_delay_alu instid0(VALU_DEP_2)
	v_mul_lo_u32 v34, v2, v24
	v_mul_hi_u32 v35, v2, v24
	v_mul_hi_u32 v38, v23, v25
	v_mul_lo_u32 v25, v23, v25
	v_mul_hi_u32 v39, v23, v24
	v_mul_lo_u32 v24, v23, v24
	v_add_co_u32 v26, vcc_lo, v26, v34
	v_add_co_ci_u32_e32 v34, vcc_lo, 0, v35, vcc_lo
	s_delay_alu instid0(VALU_DEP_2) | instskip(NEXT) | instid1(VALU_DEP_2)
	v_add_co_u32 v25, vcc_lo, v26, v25
	v_add_co_ci_u32_e32 v25, vcc_lo, v34, v38, vcc_lo
	v_add_co_ci_u32_e32 v26, vcc_lo, 0, v39, vcc_lo
	s_delay_alu instid0(VALU_DEP_2) | instskip(NEXT) | instid1(VALU_DEP_2)
	v_add_co_u32 v24, vcc_lo, v25, v24
	v_add_co_ci_u32_e32 v25, vcc_lo, 0, v26, vcc_lo
	s_delay_alu instid0(VALU_DEP_2) | instskip(NEXT) | instid1(VALU_DEP_2)
	v_add_co_u32 v2, vcc_lo, v2, v24
	v_add_co_ci_u32_e32 v23, vcc_lo, v23, v25, vcc_lo
	s_delay_alu instid0(VALU_DEP_2) | instskip(SKIP_1) | instid1(VALU_DEP_3)
	v_mul_hi_u32 v24, s0, v2
	v_mul_lo_u32 v26, s65, v2
	v_mul_lo_u32 v25, s0, v23
	s_delay_alu instid0(VALU_DEP_1) | instskip(SKIP_1) | instid1(VALU_DEP_2)
	v_add_nc_u32_e32 v24, v24, v25
	v_mul_lo_u32 v25, s0, v2
	v_add_nc_u32_e32 v24, v24, v26
	s_delay_alu instid0(VALU_DEP_2) | instskip(NEXT) | instid1(VALU_DEP_2)
	v_mul_hi_u32 v26, v2, v25
	v_mul_lo_u32 v34, v2, v24
	v_mul_hi_u32 v35, v2, v24
	v_mul_hi_u32 v38, v23, v25
	v_mul_lo_u32 v25, v23, v25
	v_mul_hi_u32 v39, v23, v24
	v_mul_lo_u32 v24, v23, v24
	v_add_co_u32 v26, vcc_lo, v26, v34
	v_add_co_ci_u32_e32 v34, vcc_lo, 0, v35, vcc_lo
	s_delay_alu instid0(VALU_DEP_2) | instskip(NEXT) | instid1(VALU_DEP_2)
	v_add_co_u32 v25, vcc_lo, v26, v25
	v_add_co_ci_u32_e32 v25, vcc_lo, v34, v38, vcc_lo
	v_add_co_ci_u32_e32 v26, vcc_lo, 0, v39, vcc_lo
	v_add_co_u32 v34, vcc_lo, v3, v27
	v_add_co_ci_u32_e32 v35, vcc_lo, v4, v27, vcc_lo
	s_delay_alu instid0(VALU_DEP_4) | instskip(NEXT) | instid1(VALU_DEP_4)
	v_add_co_u32 v24, vcc_lo, v25, v24
	v_add_co_ci_u32_e32 v25, vcc_lo, 0, v26, vcc_lo
	s_delay_alu instid0(VALU_DEP_4) | instskip(NEXT) | instid1(VALU_DEP_3)
	v_xor_b32_e32 v38, v34, v27
	v_add_co_u32 v2, vcc_lo, v2, v24
	s_delay_alu instid0(VALU_DEP_3) | instskip(SKIP_1) | instid1(VALU_DEP_3)
	v_add_co_ci_u32_e32 v39, vcc_lo, v23, v25, vcc_lo
	v_xor_b32_e32 v40, v35, v27
	v_mul_hi_u32 v41, v38, v2
	s_delay_alu instid0(VALU_DEP_3) | instskip(NEXT) | instid1(VALU_DEP_3)
	v_mad_u64_u32 v[23:24], null, v38, v39, 0
	v_mad_u64_u32 v[25:26], null, v40, v2, 0
	;; [unrolled: 1-line block ×3, first 2 shown]
	s_delay_alu instid0(VALU_DEP_3) | instskip(NEXT) | instid1(VALU_DEP_4)
	v_add_co_u32 v2, vcc_lo, v41, v23
	v_add_co_ci_u32_e32 v23, vcc_lo, 0, v24, vcc_lo
	s_delay_alu instid0(VALU_DEP_2) | instskip(NEXT) | instid1(VALU_DEP_2)
	v_add_co_u32 v2, vcc_lo, v2, v25
	v_add_co_ci_u32_e32 v2, vcc_lo, v23, v26, vcc_lo
	v_add_co_ci_u32_e32 v23, vcc_lo, 0, v35, vcc_lo
	s_delay_alu instid0(VALU_DEP_2) | instskip(NEXT) | instid1(VALU_DEP_2)
	v_add_co_u32 v2, vcc_lo, v2, v34
	v_add_co_ci_u32_e32 v25, vcc_lo, 0, v23, vcc_lo
	s_delay_alu instid0(VALU_DEP_2) | instskip(SKIP_1) | instid1(VALU_DEP_3)
	v_mul_lo_u32 v26, s67, v2
	v_mad_u64_u32 v[23:24], null, s66, v2, 0
	v_mul_lo_u32 v34, s66, v25
	s_delay_alu instid0(VALU_DEP_2) | instskip(NEXT) | instid1(VALU_DEP_2)
	v_sub_co_u32 v23, vcc_lo, v38, v23
	v_add3_u32 v24, v24, v34, v26
	s_delay_alu instid0(VALU_DEP_1) | instskip(NEXT) | instid1(VALU_DEP_1)
	v_sub_nc_u32_e32 v26, v40, v24
	v_subrev_co_ci_u32_e64 v26, s0, s67, v26, vcc_lo
	v_add_co_u32 v34, s0, v2, 2
	s_delay_alu instid0(VALU_DEP_1) | instskip(SKIP_3) | instid1(VALU_DEP_3)
	v_add_co_ci_u32_e64 v35, s0, 0, v25, s0
	v_sub_co_u32 v38, s0, v23, s66
	v_sub_co_ci_u32_e32 v24, vcc_lo, v40, v24, vcc_lo
	v_subrev_co_ci_u32_e64 v26, s0, 0, v26, s0
	v_cmp_le_u32_e32 vcc_lo, s66, v38
	s_delay_alu instid0(VALU_DEP_3) | instskip(SKIP_1) | instid1(VALU_DEP_4)
	v_cmp_eq_u32_e64 s0, s67, v24
	v_cndmask_b32_e64 v38, 0, -1, vcc_lo
	v_cmp_le_u32_e32 vcc_lo, s67, v26
	v_cndmask_b32_e64 v39, 0, -1, vcc_lo
	v_cmp_le_u32_e32 vcc_lo, s66, v23
	;; [unrolled: 2-line block ×3, first 2 shown]
	v_cndmask_b32_e64 v40, 0, -1, vcc_lo
	v_cmp_eq_u32_e32 vcc_lo, s67, v26
	s_delay_alu instid0(VALU_DEP_2) | instskip(SKIP_3) | instid1(VALU_DEP_3)
	v_cndmask_b32_e64 v23, v40, v23, s0
	v_cndmask_b32_e32 v26, v39, v38, vcc_lo
	v_add_co_u32 v38, vcc_lo, v2, 1
	v_add_co_ci_u32_e32 v39, vcc_lo, 0, v25, vcc_lo
	v_cmp_ne_u32_e32 vcc_lo, 0, v26
	s_delay_alu instid0(VALU_DEP_2) | instskip(NEXT) | instid1(VALU_DEP_4)
	v_cndmask_b32_e32 v24, v39, v35, vcc_lo
	v_cndmask_b32_e32 v26, v38, v34, vcc_lo
	v_cmp_ne_u32_e32 vcc_lo, 0, v23
	v_xor_b32_e32 v34, s64, v27
	s_delay_alu instid0(VALU_DEP_3) | instskip(NEXT) | instid1(VALU_DEP_1)
	v_dual_cndmask_b32 v2, v2, v26 :: v_dual_cndmask_b32 v23, v25, v24
	v_xor_b32_e32 v2, v2, v34
	s_delay_alu instid0(VALU_DEP_2) | instskip(NEXT) | instid1(VALU_DEP_2)
	v_xor_b32_e32 v24, v23, v34
	v_sub_co_u32 v23, vcc_lo, v2, v34
	s_delay_alu instid0(VALU_DEP_2)
	v_sub_co_ci_u32_e32 v24, vcc_lo, v24, v34, vcc_lo
.LBB7_57:                               ;   in Loop: Header=BB7_3 Depth=1
	s_and_not1_saveexec_b32 s0, s1
	s_cbranch_execz .LBB7_59
; %bb.58:                               ;   in Loop: Header=BB7_3 Depth=1
	v_cvt_f32_u32_e32 v2, s50
	s_sub_i32 s1, 0, s50
	s_delay_alu instid0(VALU_DEP_1) | instskip(SKIP_2) | instid1(VALU_DEP_1)
	v_rcp_iflag_f32_e32 v2, v2
	s_waitcnt_depctr 0xfff
	v_mul_f32_e32 v2, 0x4f7ffffe, v2
	v_cvt_u32_f32_e32 v2, v2
	s_delay_alu instid0(VALU_DEP_1) | instskip(NEXT) | instid1(VALU_DEP_1)
	v_mul_lo_u32 v23, s1, v2
	v_mul_hi_u32 v23, v2, v23
	s_delay_alu instid0(VALU_DEP_1) | instskip(NEXT) | instid1(VALU_DEP_1)
	v_add_nc_u32_e32 v2, v2, v23
	v_mul_hi_u32 v2, v3, v2
	s_delay_alu instid0(VALU_DEP_1) | instskip(SKIP_1) | instid1(VALU_DEP_2)
	v_mul_lo_u32 v23, v2, s50
	v_add_nc_u32_e32 v24, 1, v2
	v_sub_nc_u32_e32 v23, v3, v23
	s_delay_alu instid0(VALU_DEP_1) | instskip(SKIP_1) | instid1(VALU_DEP_2)
	v_subrev_nc_u32_e32 v25, s50, v23
	v_cmp_le_u32_e32 vcc_lo, s50, v23
	v_dual_cndmask_b32 v23, v23, v25 :: v_dual_cndmask_b32 v2, v2, v24
	s_delay_alu instid0(VALU_DEP_1) | instskip(NEXT) | instid1(VALU_DEP_2)
	v_cmp_le_u32_e32 vcc_lo, s50, v23
	v_add_nc_u32_e32 v24, 1, v2
	s_delay_alu instid0(VALU_DEP_1)
	v_dual_cndmask_b32 v23, v2, v24 :: v_dual_mov_b32 v24, v1
.LBB7_59:                               ;   in Loop: Header=BB7_3 Depth=1
	s_or_b32 exec_lo, exec_lo, s0
	s_delay_alu instid0(VALU_DEP_1) | instskip(NEXT) | instid1(VALU_DEP_2)
	v_mad_u64_u32 v[25:26], null, s74, v23, v[3:4]
	v_mul_lo_u32 v2, s74, v24
	v_mul_lo_u32 v34, s75, v23
	;; [unrolled: 1-line block ×4, first 2 shown]
	s_mov_b32 s0, exec_lo
	s_delay_alu instid0(VALU_DEP_3) | instskip(SKIP_3) | instid1(VALU_DEP_4)
	v_add3_u32 v2, v34, v26, v2
	v_mad_u64_u32 v[34:35], null, v23, s16, 0
	v_mul_lo_u32 v26, v25, s19
	v_mad_u64_u32 v[23:24], null, v25, s18, 0
	v_mul_lo_u32 v2, v2, s18
	s_delay_alu instid0(VALU_DEP_4) | instskip(NEXT) | instid1(VALU_DEP_2)
	v_add3_u32 v35, v35, v39, v38
	v_add3_u32 v24, v24, v26, v2
	s_delay_alu instid0(VALU_DEP_2) | instskip(NEXT) | instid1(VALU_DEP_2)
	v_lshlrev_b64 v[25:26], 2, v[34:35]
	v_lshlrev_b64 v[23:24], 2, v[23:24]
	s_delay_alu instid0(VALU_DEP_2) | instskip(NEXT) | instid1(VALU_DEP_3)
	v_add_co_u32 v2, vcc_lo, s48, v25
	v_add_co_ci_u32_e32 v25, vcc_lo, s49, v26, vcc_lo
	s_delay_alu instid0(VALU_DEP_2) | instskip(NEXT) | instid1(VALU_DEP_2)
	v_add_co_u32 v23, vcc_lo, v2, v23
	v_add_co_ci_u32_e32 v24, vcc_lo, v25, v24, vcc_lo
	v_or_b32_e32 v2, s55, v4
	global_load_b32 v34, v[23:24], off
                                        ; implicit-def: $vgpr23_vgpr24
	v_cmpx_ne_u64_e32 0, v[1:2]
	s_xor_b32 s1, exec_lo, s0
	s_cbranch_execz .LBB7_61
; %bb.60:                               ;   in Loop: Header=BB7_3 Depth=1
	s_ashr_i32 s64, s55, 31
	s_delay_alu instid0(SALU_CYCLE_1) | instskip(SKIP_2) | instid1(SALU_CYCLE_1)
	s_add_u32 s66, s54, s64
	s_mov_b32 s65, s64
	s_addc_u32 s67, s55, s64
	s_xor_b64 s[66:67], s[66:67], s[64:65]
	s_delay_alu instid0(SALU_CYCLE_1) | instskip(SKIP_3) | instid1(VALU_DEP_1)
	v_cvt_f32_u32_e32 v2, s66
	v_cvt_f32_u32_e32 v23, s67
	s_sub_u32 s0, 0, s66
	s_subb_u32 s65, 0, s67
	v_fmac_f32_e32 v2, 0x4f800000, v23
	s_delay_alu instid0(VALU_DEP_1) | instskip(SKIP_2) | instid1(VALU_DEP_1)
	v_rcp_f32_e32 v2, v2
	s_waitcnt_depctr 0xfff
	v_mul_f32_e32 v2, 0x5f7ffffc, v2
	v_mul_f32_e32 v23, 0x2f800000, v2
	s_delay_alu instid0(VALU_DEP_1) | instskip(NEXT) | instid1(VALU_DEP_1)
	v_trunc_f32_e32 v23, v23
	v_fmac_f32_e32 v2, 0xcf800000, v23
	v_cvt_u32_f32_e32 v23, v23
	s_delay_alu instid0(VALU_DEP_2) | instskip(NEXT) | instid1(VALU_DEP_2)
	v_cvt_u32_f32_e32 v2, v2
	v_mul_lo_u32 v24, s0, v23
	s_delay_alu instid0(VALU_DEP_2) | instskip(SKIP_1) | instid1(VALU_DEP_2)
	v_mul_hi_u32 v25, s0, v2
	v_mul_lo_u32 v26, s65, v2
	v_add_nc_u32_e32 v24, v25, v24
	v_mul_lo_u32 v25, s0, v2
	s_delay_alu instid0(VALU_DEP_2) | instskip(NEXT) | instid1(VALU_DEP_2)
	v_add_nc_u32_e32 v24, v24, v26
	v_mul_hi_u32 v26, v2, v25
	s_delay_alu instid0(VALU_DEP_2)
	v_mul_lo_u32 v35, v2, v24
	v_mul_hi_u32 v38, v2, v24
	v_mul_hi_u32 v39, v23, v25
	v_mul_lo_u32 v25, v23, v25
	v_mul_hi_u32 v40, v23, v24
	v_mul_lo_u32 v24, v23, v24
	v_add_co_u32 v26, vcc_lo, v26, v35
	v_add_co_ci_u32_e32 v35, vcc_lo, 0, v38, vcc_lo
	s_delay_alu instid0(VALU_DEP_2) | instskip(NEXT) | instid1(VALU_DEP_2)
	v_add_co_u32 v25, vcc_lo, v26, v25
	v_add_co_ci_u32_e32 v25, vcc_lo, v35, v39, vcc_lo
	v_add_co_ci_u32_e32 v26, vcc_lo, 0, v40, vcc_lo
	s_delay_alu instid0(VALU_DEP_2) | instskip(NEXT) | instid1(VALU_DEP_2)
	v_add_co_u32 v24, vcc_lo, v25, v24
	v_add_co_ci_u32_e32 v25, vcc_lo, 0, v26, vcc_lo
	s_delay_alu instid0(VALU_DEP_2) | instskip(NEXT) | instid1(VALU_DEP_2)
	v_add_co_u32 v2, vcc_lo, v2, v24
	v_add_co_ci_u32_e32 v23, vcc_lo, v23, v25, vcc_lo
	s_delay_alu instid0(VALU_DEP_2) | instskip(SKIP_1) | instid1(VALU_DEP_3)
	v_mul_hi_u32 v24, s0, v2
	v_mul_lo_u32 v26, s65, v2
	v_mul_lo_u32 v25, s0, v23
	s_delay_alu instid0(VALU_DEP_1) | instskip(SKIP_1) | instid1(VALU_DEP_2)
	v_add_nc_u32_e32 v24, v24, v25
	v_mul_lo_u32 v25, s0, v2
	v_add_nc_u32_e32 v24, v24, v26
	s_delay_alu instid0(VALU_DEP_2) | instskip(NEXT) | instid1(VALU_DEP_2)
	v_mul_hi_u32 v26, v2, v25
	v_mul_lo_u32 v35, v2, v24
	v_mul_hi_u32 v38, v2, v24
	v_mul_hi_u32 v39, v23, v25
	v_mul_lo_u32 v25, v23, v25
	v_mul_hi_u32 v40, v23, v24
	v_mul_lo_u32 v24, v23, v24
	v_add_co_u32 v26, vcc_lo, v26, v35
	v_add_co_ci_u32_e32 v35, vcc_lo, 0, v38, vcc_lo
	s_delay_alu instid0(VALU_DEP_2) | instskip(NEXT) | instid1(VALU_DEP_2)
	v_add_co_u32 v25, vcc_lo, v26, v25
	v_add_co_ci_u32_e32 v25, vcc_lo, v35, v39, vcc_lo
	v_add_co_ci_u32_e32 v26, vcc_lo, 0, v40, vcc_lo
	v_add_co_u32 v35, vcc_lo, v3, v27
	v_add_co_ci_u32_e32 v38, vcc_lo, v4, v27, vcc_lo
	s_delay_alu instid0(VALU_DEP_4) | instskip(NEXT) | instid1(VALU_DEP_4)
	v_add_co_u32 v24, vcc_lo, v25, v24
	v_add_co_ci_u32_e32 v25, vcc_lo, 0, v26, vcc_lo
	s_delay_alu instid0(VALU_DEP_4) | instskip(NEXT) | instid1(VALU_DEP_3)
	v_xor_b32_e32 v35, v35, v27
	v_add_co_u32 v2, vcc_lo, v2, v24
	s_delay_alu instid0(VALU_DEP_3) | instskip(SKIP_1) | instid1(VALU_DEP_3)
	v_add_co_ci_u32_e32 v40, vcc_lo, v23, v25, vcc_lo
	v_xor_b32_e32 v41, v38, v27
	v_mul_hi_u32 v42, v35, v2
	s_delay_alu instid0(VALU_DEP_3) | instskip(NEXT) | instid1(VALU_DEP_3)
	v_mad_u64_u32 v[23:24], null, v35, v40, 0
	v_mad_u64_u32 v[25:26], null, v41, v2, 0
	;; [unrolled: 1-line block ×3, first 2 shown]
	s_delay_alu instid0(VALU_DEP_3) | instskip(NEXT) | instid1(VALU_DEP_4)
	v_add_co_u32 v2, vcc_lo, v42, v23
	v_add_co_ci_u32_e32 v23, vcc_lo, 0, v24, vcc_lo
	s_delay_alu instid0(VALU_DEP_2) | instskip(NEXT) | instid1(VALU_DEP_2)
	v_add_co_u32 v2, vcc_lo, v2, v25
	v_add_co_ci_u32_e32 v2, vcc_lo, v23, v26, vcc_lo
	v_add_co_ci_u32_e32 v23, vcc_lo, 0, v39, vcc_lo
	s_delay_alu instid0(VALU_DEP_2) | instskip(NEXT) | instid1(VALU_DEP_2)
	v_add_co_u32 v2, vcc_lo, v2, v38
	v_add_co_ci_u32_e32 v25, vcc_lo, 0, v23, vcc_lo
	s_delay_alu instid0(VALU_DEP_2) | instskip(SKIP_1) | instid1(VALU_DEP_3)
	v_mul_lo_u32 v26, s67, v2
	v_mad_u64_u32 v[23:24], null, s66, v2, 0
	v_mul_lo_u32 v38, s66, v25
	s_delay_alu instid0(VALU_DEP_2) | instskip(NEXT) | instid1(VALU_DEP_2)
	v_sub_co_u32 v23, vcc_lo, v35, v23
	v_add3_u32 v24, v24, v38, v26
	s_delay_alu instid0(VALU_DEP_1) | instskip(NEXT) | instid1(VALU_DEP_1)
	v_sub_nc_u32_e32 v26, v41, v24
	v_subrev_co_ci_u32_e64 v26, s0, s67, v26, vcc_lo
	v_add_co_u32 v35, s0, v2, 2
	s_delay_alu instid0(VALU_DEP_1) | instskip(SKIP_3) | instid1(VALU_DEP_3)
	v_add_co_ci_u32_e64 v38, s0, 0, v25, s0
	v_sub_co_u32 v39, s0, v23, s66
	v_sub_co_ci_u32_e32 v24, vcc_lo, v41, v24, vcc_lo
	v_subrev_co_ci_u32_e64 v26, s0, 0, v26, s0
	v_cmp_le_u32_e32 vcc_lo, s66, v39
	s_delay_alu instid0(VALU_DEP_3) | instskip(SKIP_1) | instid1(VALU_DEP_4)
	v_cmp_eq_u32_e64 s0, s67, v24
	v_cndmask_b32_e64 v39, 0, -1, vcc_lo
	v_cmp_le_u32_e32 vcc_lo, s67, v26
	v_cndmask_b32_e64 v40, 0, -1, vcc_lo
	v_cmp_le_u32_e32 vcc_lo, s66, v23
	;; [unrolled: 2-line block ×3, first 2 shown]
	v_cndmask_b32_e64 v41, 0, -1, vcc_lo
	v_cmp_eq_u32_e32 vcc_lo, s67, v26
	s_delay_alu instid0(VALU_DEP_2) | instskip(SKIP_3) | instid1(VALU_DEP_3)
	v_cndmask_b32_e64 v23, v41, v23, s0
	v_cndmask_b32_e32 v26, v40, v39, vcc_lo
	v_add_co_u32 v39, vcc_lo, v2, 1
	v_add_co_ci_u32_e32 v40, vcc_lo, 0, v25, vcc_lo
	v_cmp_ne_u32_e32 vcc_lo, 0, v26
	s_delay_alu instid0(VALU_DEP_2) | instskip(NEXT) | instid1(VALU_DEP_4)
	v_cndmask_b32_e32 v24, v40, v38, vcc_lo
	v_cndmask_b32_e32 v26, v39, v35, vcc_lo
	v_cmp_ne_u32_e32 vcc_lo, 0, v23
	v_xor_b32_e32 v35, s64, v27
	s_delay_alu instid0(VALU_DEP_3) | instskip(NEXT) | instid1(VALU_DEP_1)
	v_dual_cndmask_b32 v2, v2, v26 :: v_dual_cndmask_b32 v23, v25, v24
	v_xor_b32_e32 v2, v2, v35
	s_delay_alu instid0(VALU_DEP_2) | instskip(NEXT) | instid1(VALU_DEP_2)
	v_xor_b32_e32 v24, v23, v35
	v_sub_co_u32 v23, vcc_lo, v2, v35
	s_delay_alu instid0(VALU_DEP_2)
	v_sub_co_ci_u32_e32 v24, vcc_lo, v24, v35, vcc_lo
.LBB7_61:                               ;   in Loop: Header=BB7_3 Depth=1
	s_and_not1_saveexec_b32 s0, s1
	s_cbranch_execz .LBB7_63
; %bb.62:                               ;   in Loop: Header=BB7_3 Depth=1
	v_cvt_f32_u32_e32 v2, s54
	s_sub_i32 s1, 0, s54
	s_delay_alu instid0(VALU_DEP_1) | instskip(SKIP_2) | instid1(VALU_DEP_1)
	v_rcp_iflag_f32_e32 v2, v2
	s_waitcnt_depctr 0xfff
	v_mul_f32_e32 v2, 0x4f7ffffe, v2
	v_cvt_u32_f32_e32 v2, v2
	s_delay_alu instid0(VALU_DEP_1) | instskip(NEXT) | instid1(VALU_DEP_1)
	v_mul_lo_u32 v23, s1, v2
	v_mul_hi_u32 v23, v2, v23
	s_delay_alu instid0(VALU_DEP_1) | instskip(NEXT) | instid1(VALU_DEP_1)
	v_add_nc_u32_e32 v2, v2, v23
	v_mul_hi_u32 v2, v3, v2
	s_delay_alu instid0(VALU_DEP_1) | instskip(SKIP_1) | instid1(VALU_DEP_2)
	v_mul_lo_u32 v23, v2, s54
	v_add_nc_u32_e32 v24, 1, v2
	v_sub_nc_u32_e32 v23, v3, v23
	s_delay_alu instid0(VALU_DEP_1) | instskip(SKIP_1) | instid1(VALU_DEP_2)
	v_subrev_nc_u32_e32 v25, s54, v23
	v_cmp_le_u32_e32 vcc_lo, s54, v23
	v_dual_cndmask_b32 v23, v23, v25 :: v_dual_cndmask_b32 v2, v2, v24
	s_delay_alu instid0(VALU_DEP_1) | instskip(NEXT) | instid1(VALU_DEP_2)
	v_cmp_le_u32_e32 vcc_lo, s54, v23
	v_add_nc_u32_e32 v24, 1, v2
	s_delay_alu instid0(VALU_DEP_1)
	v_dual_cndmask_b32 v23, v2, v24 :: v_dual_mov_b32 v24, v1
.LBB7_63:                               ;   in Loop: Header=BB7_3 Depth=1
	s_or_b32 exec_lo, exec_lo, s0
	v_or_b32_e32 v2, s59, v4
                                        ; implicit-def: $vgpr25_vgpr26
	s_mov_b32 s0, exec_lo
	s_delay_alu instid0(VALU_DEP_1)
	v_cmpx_ne_u64_e32 0, v[1:2]
	s_xor_b32 s1, exec_lo, s0
	s_cbranch_execz .LBB7_65
; %bb.64:                               ;   in Loop: Header=BB7_3 Depth=1
	s_ashr_i32 s64, s59, 31
	s_delay_alu instid0(SALU_CYCLE_1) | instskip(SKIP_2) | instid1(SALU_CYCLE_1)
	s_add_u32 s66, s58, s64
	s_mov_b32 s65, s64
	s_addc_u32 s67, s59, s64
	s_xor_b64 s[66:67], s[66:67], s[64:65]
	s_delay_alu instid0(SALU_CYCLE_1) | instskip(SKIP_3) | instid1(VALU_DEP_1)
	v_cvt_f32_u32_e32 v2, s66
	v_cvt_f32_u32_e32 v25, s67
	s_sub_u32 s0, 0, s66
	s_subb_u32 s65, 0, s67
	v_fmac_f32_e32 v2, 0x4f800000, v25
	s_delay_alu instid0(VALU_DEP_1) | instskip(SKIP_2) | instid1(VALU_DEP_1)
	v_rcp_f32_e32 v2, v2
	s_waitcnt_depctr 0xfff
	v_mul_f32_e32 v2, 0x5f7ffffc, v2
	v_mul_f32_e32 v25, 0x2f800000, v2
	s_delay_alu instid0(VALU_DEP_1) | instskip(NEXT) | instid1(VALU_DEP_1)
	v_trunc_f32_e32 v25, v25
	v_fmac_f32_e32 v2, 0xcf800000, v25
	v_cvt_u32_f32_e32 v25, v25
	s_delay_alu instid0(VALU_DEP_2) | instskip(NEXT) | instid1(VALU_DEP_2)
	v_cvt_u32_f32_e32 v2, v2
	v_mul_lo_u32 v26, s0, v25
	s_delay_alu instid0(VALU_DEP_2) | instskip(SKIP_1) | instid1(VALU_DEP_2)
	v_mul_hi_u32 v35, s0, v2
	v_mul_lo_u32 v38, s65, v2
	v_add_nc_u32_e32 v26, v35, v26
	v_mul_lo_u32 v35, s0, v2
	s_delay_alu instid0(VALU_DEP_2) | instskip(NEXT) | instid1(VALU_DEP_2)
	v_add_nc_u32_e32 v26, v26, v38
	v_mul_hi_u32 v38, v2, v35
	s_delay_alu instid0(VALU_DEP_2)
	v_mul_lo_u32 v39, v2, v26
	v_mul_hi_u32 v40, v2, v26
	v_mul_hi_u32 v41, v25, v35
	v_mul_lo_u32 v35, v25, v35
	v_mul_hi_u32 v42, v25, v26
	v_mul_lo_u32 v26, v25, v26
	v_add_co_u32 v38, vcc_lo, v38, v39
	v_add_co_ci_u32_e32 v39, vcc_lo, 0, v40, vcc_lo
	s_delay_alu instid0(VALU_DEP_2) | instskip(NEXT) | instid1(VALU_DEP_2)
	v_add_co_u32 v35, vcc_lo, v38, v35
	v_add_co_ci_u32_e32 v35, vcc_lo, v39, v41, vcc_lo
	v_add_co_ci_u32_e32 v38, vcc_lo, 0, v42, vcc_lo
	s_delay_alu instid0(VALU_DEP_2) | instskip(NEXT) | instid1(VALU_DEP_2)
	v_add_co_u32 v26, vcc_lo, v35, v26
	v_add_co_ci_u32_e32 v35, vcc_lo, 0, v38, vcc_lo
	s_delay_alu instid0(VALU_DEP_2) | instskip(NEXT) | instid1(VALU_DEP_2)
	v_add_co_u32 v2, vcc_lo, v2, v26
	v_add_co_ci_u32_e32 v25, vcc_lo, v25, v35, vcc_lo
	s_delay_alu instid0(VALU_DEP_2) | instskip(SKIP_1) | instid1(VALU_DEP_3)
	v_mul_hi_u32 v26, s0, v2
	v_mul_lo_u32 v38, s65, v2
	v_mul_lo_u32 v35, s0, v25
	s_delay_alu instid0(VALU_DEP_1) | instskip(SKIP_1) | instid1(VALU_DEP_2)
	v_add_nc_u32_e32 v26, v26, v35
	v_mul_lo_u32 v35, s0, v2
	v_add_nc_u32_e32 v26, v26, v38
	s_delay_alu instid0(VALU_DEP_2) | instskip(NEXT) | instid1(VALU_DEP_2)
	v_mul_hi_u32 v38, v2, v35
	v_mul_lo_u32 v39, v2, v26
	v_mul_hi_u32 v40, v2, v26
	v_mul_hi_u32 v41, v25, v35
	v_mul_lo_u32 v35, v25, v35
	v_mul_hi_u32 v42, v25, v26
	v_mul_lo_u32 v26, v25, v26
	v_add_co_u32 v38, vcc_lo, v38, v39
	v_add_co_ci_u32_e32 v39, vcc_lo, 0, v40, vcc_lo
	s_delay_alu instid0(VALU_DEP_2) | instskip(NEXT) | instid1(VALU_DEP_2)
	v_add_co_u32 v35, vcc_lo, v38, v35
	v_add_co_ci_u32_e32 v35, vcc_lo, v39, v41, vcc_lo
	v_add_co_ci_u32_e32 v38, vcc_lo, 0, v42, vcc_lo
	v_add_co_u32 v39, vcc_lo, v3, v27
	v_add_co_ci_u32_e32 v40, vcc_lo, v4, v27, vcc_lo
	s_delay_alu instid0(VALU_DEP_4) | instskip(NEXT) | instid1(VALU_DEP_4)
	v_add_co_u32 v26, vcc_lo, v35, v26
	v_add_co_ci_u32_e32 v35, vcc_lo, 0, v38, vcc_lo
	s_delay_alu instid0(VALU_DEP_4) | instskip(NEXT) | instid1(VALU_DEP_3)
	v_xor_b32_e32 v42, v39, v27
	v_add_co_u32 v2, vcc_lo, v2, v26
	s_delay_alu instid0(VALU_DEP_3) | instskip(SKIP_1) | instid1(VALU_DEP_3)
	v_add_co_ci_u32_e32 v35, vcc_lo, v25, v35, vcc_lo
	v_xor_b32_e32 v43, v40, v27
	v_mul_hi_u32 v44, v42, v2
	v_xor_b32_e32 v27, s64, v27
	s_delay_alu instid0(VALU_DEP_4) | instskip(NEXT) | instid1(VALU_DEP_4)
	v_mad_u64_u32 v[25:26], null, v42, v35, 0
	v_mad_u64_u32 v[38:39], null, v43, v2, 0
	;; [unrolled: 1-line block ×3, first 2 shown]
	s_delay_alu instid0(VALU_DEP_3) | instskip(NEXT) | instid1(VALU_DEP_4)
	v_add_co_u32 v2, vcc_lo, v44, v25
	v_add_co_ci_u32_e32 v25, vcc_lo, 0, v26, vcc_lo
	s_delay_alu instid0(VALU_DEP_2) | instskip(NEXT) | instid1(VALU_DEP_2)
	v_add_co_u32 v2, vcc_lo, v2, v38
	v_add_co_ci_u32_e32 v2, vcc_lo, v25, v39, vcc_lo
	v_add_co_ci_u32_e32 v25, vcc_lo, 0, v41, vcc_lo
	s_delay_alu instid0(VALU_DEP_2) | instskip(NEXT) | instid1(VALU_DEP_2)
	v_add_co_u32 v2, vcc_lo, v2, v40
	v_add_co_ci_u32_e32 v35, vcc_lo, 0, v25, vcc_lo
	s_delay_alu instid0(VALU_DEP_2) | instskip(SKIP_1) | instid1(VALU_DEP_3)
	v_mul_lo_u32 v38, s67, v2
	v_mad_u64_u32 v[25:26], null, s66, v2, 0
	v_mul_lo_u32 v39, s66, v35
	s_delay_alu instid0(VALU_DEP_2) | instskip(NEXT) | instid1(VALU_DEP_2)
	v_sub_co_u32 v25, vcc_lo, v42, v25
	v_add3_u32 v26, v26, v39, v38
	s_delay_alu instid0(VALU_DEP_1) | instskip(NEXT) | instid1(VALU_DEP_1)
	v_sub_nc_u32_e32 v38, v43, v26
	v_subrev_co_ci_u32_e64 v38, s0, s67, v38, vcc_lo
	v_add_co_u32 v39, s0, v2, 2
	s_delay_alu instid0(VALU_DEP_1) | instskip(SKIP_3) | instid1(VALU_DEP_3)
	v_add_co_ci_u32_e64 v40, s0, 0, v35, s0
	v_sub_co_u32 v41, s0, v25, s66
	v_sub_co_ci_u32_e32 v26, vcc_lo, v43, v26, vcc_lo
	v_subrev_co_ci_u32_e64 v38, s0, 0, v38, s0
	v_cmp_le_u32_e32 vcc_lo, s66, v41
	s_delay_alu instid0(VALU_DEP_3) | instskip(SKIP_1) | instid1(VALU_DEP_4)
	v_cmp_eq_u32_e64 s0, s67, v26
	v_cndmask_b32_e64 v41, 0, -1, vcc_lo
	v_cmp_le_u32_e32 vcc_lo, s67, v38
	v_cndmask_b32_e64 v42, 0, -1, vcc_lo
	v_cmp_le_u32_e32 vcc_lo, s66, v25
	;; [unrolled: 2-line block ×3, first 2 shown]
	v_cndmask_b32_e64 v43, 0, -1, vcc_lo
	v_cmp_eq_u32_e32 vcc_lo, s67, v38
	s_delay_alu instid0(VALU_DEP_2) | instskip(SKIP_3) | instid1(VALU_DEP_3)
	v_cndmask_b32_e64 v25, v43, v25, s0
	v_cndmask_b32_e32 v38, v42, v41, vcc_lo
	v_add_co_u32 v41, vcc_lo, v2, 1
	v_add_co_ci_u32_e32 v42, vcc_lo, 0, v35, vcc_lo
	v_cmp_ne_u32_e32 vcc_lo, 0, v38
	s_delay_alu instid0(VALU_DEP_2) | instskip(NEXT) | instid1(VALU_DEP_4)
	v_cndmask_b32_e32 v26, v42, v40, vcc_lo
	v_cndmask_b32_e32 v38, v41, v39, vcc_lo
	v_cmp_ne_u32_e32 vcc_lo, 0, v25
	s_delay_alu instid0(VALU_DEP_2) | instskip(NEXT) | instid1(VALU_DEP_4)
	v_cndmask_b32_e32 v2, v2, v38, vcc_lo
	v_cndmask_b32_e32 v25, v35, v26, vcc_lo
	s_delay_alu instid0(VALU_DEP_2) | instskip(NEXT) | instid1(VALU_DEP_2)
	v_xor_b32_e32 v2, v2, v27
	v_xor_b32_e32 v26, v25, v27
	s_delay_alu instid0(VALU_DEP_2) | instskip(NEXT) | instid1(VALU_DEP_2)
	v_sub_co_u32 v25, vcc_lo, v2, v27
	v_sub_co_ci_u32_e32 v26, vcc_lo, v26, v27, vcc_lo
.LBB7_65:                               ;   in Loop: Header=BB7_3 Depth=1
	s_and_not1_saveexec_b32 s0, s1
	s_cbranch_execz .LBB7_67
; %bb.66:                               ;   in Loop: Header=BB7_3 Depth=1
	v_cvt_f32_u32_e32 v2, s58
	s_sub_i32 s1, 0, s58
	s_delay_alu instid0(VALU_DEP_1) | instskip(SKIP_2) | instid1(VALU_DEP_1)
	v_rcp_iflag_f32_e32 v2, v2
	s_waitcnt_depctr 0xfff
	v_mul_f32_e32 v2, 0x4f7ffffe, v2
	v_cvt_u32_f32_e32 v2, v2
	s_delay_alu instid0(VALU_DEP_1) | instskip(NEXT) | instid1(VALU_DEP_1)
	v_mul_lo_u32 v25, s1, v2
	v_mul_hi_u32 v25, v2, v25
	s_delay_alu instid0(VALU_DEP_1) | instskip(NEXT) | instid1(VALU_DEP_1)
	v_add_nc_u32_e32 v2, v2, v25
	v_mul_hi_u32 v2, v3, v2
	s_delay_alu instid0(VALU_DEP_1) | instskip(SKIP_1) | instid1(VALU_DEP_2)
	v_mul_lo_u32 v25, v2, s58
	v_add_nc_u32_e32 v26, 1, v2
	v_sub_nc_u32_e32 v25, v3, v25
	s_delay_alu instid0(VALU_DEP_1) | instskip(SKIP_1) | instid1(VALU_DEP_2)
	v_subrev_nc_u32_e32 v27, s58, v25
	v_cmp_le_u32_e32 vcc_lo, s58, v25
	v_dual_cndmask_b32 v25, v25, v27 :: v_dual_cndmask_b32 v2, v2, v26
	s_delay_alu instid0(VALU_DEP_1) | instskip(NEXT) | instid1(VALU_DEP_2)
	v_cmp_le_u32_e32 vcc_lo, s58, v25
	v_add_nc_u32_e32 v26, 1, v2
	s_delay_alu instid0(VALU_DEP_1)
	v_dual_cndmask_b32 v25, v2, v26 :: v_dual_mov_b32 v26, v1
.LBB7_67:                               ;   in Loop: Header=BB7_3 Depth=1
	s_or_b32 exec_lo, exec_lo, s0
	v_dual_mov_b32 v27, 0 :: v_dual_mov_b32 v2, 0
	v_dual_mov_b32 v38, 0 :: v_dual_mov_b32 v39, 0
	;; [unrolled: 1-line block ×4, first 2 shown]
	s_and_not1_b32 vcc_lo, exec_lo, s33
	s_cbranch_vccnz .LBB7_69
; %bb.68:                               ;   in Loop: Header=BB7_3 Depth=1
	v_sub_co_u32 v2, vcc_lo, 1, v9
	v_sub_co_ci_u32_e32 v27, vcc_lo, 0, v10, vcc_lo
	v_mad_u64_u32 v[38:39], null, s72, v9, v[3:4]
	v_mul_lo_u32 v35, s72, v10
	v_mul_lo_u32 v42, s73, v9
	s_delay_alu instid0(VALU_DEP_4) | instskip(SKIP_2) | instid1(VALU_DEP_4)
	v_mul_lo_u32 v27, s4, v27
	v_mul_lo_u32 v43, s5, v2
	v_mad_u64_u32 v[40:41], null, s4, v2, v[3:4]
	v_add3_u32 v2, v42, v39, v35
	v_sub_co_u32 v39, vcc_lo, 2, v9
	s_delay_alu instid0(VALU_DEP_3) | instskip(SKIP_1) | instid1(VALU_DEP_3)
	v_add3_u32 v27, v43, v41, v27
	v_sub_co_ci_u32_e32 v43, vcc_lo, 0, v10, vcc_lo
	v_mul_lo_u32 v46, s5, v39
	v_mul_lo_u32 v35, v38, s43
	;; [unrolled: 1-line block ×3, first 2 shown]
	s_delay_alu instid0(VALU_DEP_4) | instskip(SKIP_4) | instid1(VALU_DEP_4)
	v_mul_lo_u32 v45, s4, v43
	v_mad_u64_u32 v[43:44], null, s4, v39, v[3:4]
	v_sub_co_u32 v39, vcc_lo, 3, v9
	v_sub_co_ci_u32_e32 v47, vcc_lo, 0, v10, vcc_lo
	v_mad_u64_u32 v[41:42], null, v38, s42, 0
	v_add3_u32 v51, v46, v44, v45
	s_delay_alu instid0(VALU_DEP_3)
	v_mul_lo_u32 v52, s4, v47
	v_mul_lo_u32 v53, s5, v39
	v_mad_u64_u32 v[44:45], null, s4, v39, v[3:4]
	v_mul_lo_u32 v49, v27, s42
	v_mul_lo_u32 v50, v40, s43
	v_mad_u64_u32 v[9:10], null, v40, s42, 0
	;; [unrolled: 3-line block ×3, first 2 shown]
	v_add3_u32 v42, v42, v35, v48
	v_add3_u32 v35, v53, v45, v52
	;; [unrolled: 1-line block ×3, first 2 shown]
	v_mul_lo_u32 v50, v44, s43
	v_mad_u64_u32 v[48:49], null, v44, s42, 0
	v_add3_u32 v47, v47, v54, v39
	v_mul_lo_u32 v39, v35, s42
	v_mul_lo_u32 v52, v38, s47
	;; [unrolled: 1-line block ×3, first 2 shown]
	v_lshlrev_b64 v[41:42], 2, v[41:42]
	v_lshlrev_b64 v[45:46], 2, v[46:47]
	v_mul_lo_u32 v27, v27, s46
	v_mul_lo_u32 v53, v40, s47
	v_lshlrev_b64 v[9:10], 2, v[9:10]
	v_add3_u32 v49, v49, v50, v39
	v_add_co_u32 v41, vcc_lo, s38, v41
	v_add_co_ci_u32_e32 v42, vcc_lo, s39, v42, vcc_lo
	s_delay_alu instid0(VALU_DEP_3)
	v_lshlrev_b64 v[47:48], 2, v[48:49]
	v_mad_u64_u32 v[49:50], null, v38, s46, 0
	v_mad_u64_u32 v[38:39], null, v40, s46, 0
	v_mul_lo_u32 v40, v43, s47
	v_add_co_u32 v9, vcc_lo, s38, v9
	v_add_co_ci_u32_e32 v10, vcc_lo, s39, v10, vcc_lo
	v_add3_u32 v50, v50, v52, v2
	v_mul_lo_u32 v2, v51, s46
	v_mad_u64_u32 v[51:52], null, v43, s46, 0
	v_add3_u32 v39, v39, v53, v27
	v_mul_lo_u32 v27, v35, s46
	v_mul_lo_u32 v35, v44, s47
	v_mad_u64_u32 v[53:54], null, v44, s46, 0
	v_add_co_u32 v45, vcc_lo, s38, v45
	v_lshlrev_b64 v[49:50], 2, v[49:50]
	v_add_co_ci_u32_e32 v46, vcc_lo, s39, v46, vcc_lo
	v_add_co_u32 v47, vcc_lo, s38, v47
	v_lshlrev_b64 v[38:39], 2, v[38:39]
	v_add3_u32 v52, v52, v40, v2
	v_add_co_ci_u32_e32 v48, vcc_lo, s39, v48, vcc_lo
	v_add_co_u32 v43, vcc_lo, s44, v49
	v_add3_u32 v54, v54, v35, v27
	v_add_co_ci_u32_e32 v44, vcc_lo, s45, v50, vcc_lo
	v_lshlrev_b64 v[49:50], 2, v[51:52]
	v_add_co_u32 v51, vcc_lo, s44, v38
	v_add_co_ci_u32_e32 v52, vcc_lo, s45, v39, vcc_lo
	v_lshlrev_b64 v[38:39], 2, v[53:54]
	s_delay_alu instid0(VALU_DEP_4) | instskip(SKIP_1) | instid1(VALU_DEP_3)
	v_add_co_u32 v49, vcc_lo, s44, v49
	v_add_co_ci_u32_e32 v50, vcc_lo, s45, v50, vcc_lo
	v_add_co_u32 v53, vcc_lo, s44, v38
	s_delay_alu instid0(VALU_DEP_4)
	v_add_co_ci_u32_e32 v54, vcc_lo, s45, v39, vcc_lo
	s_clause 0x3
	global_load_b32 v41, v[41:42], off
	global_load_b32 v40, v[9:10], off
	;; [unrolled: 1-line block ×4, first 2 shown]
	s_clause 0x3
	global_load_b32 v39, v[43:44], off
	global_load_b32 v27, v[51:52], off
	;; [unrolled: 1-line block ×4, first 2 shown]
.LBB7_69:                               ;   in Loop: Header=BB7_3 Depth=1
	s_waitcnt vmcnt(2)
	v_add_f32_e32 v9, v30, v36
                                        ; implicit-def: $vgpr10
	s_delay_alu instid0(VALU_DEP_1) | instskip(SKIP_1) | instid1(VALU_DEP_1)
	v_add_f32_e32 v9, v9, v42
	s_waitcnt vmcnt(1)
	v_add_f32_e32 v2, v2, v9
	s_delay_alu instid0(VALU_DEP_1) | instskip(NEXT) | instid1(VALU_DEP_1)
	v_cmp_ngt_f32_e64 s0, 0x3f200000, |v2|
	s_and_saveexec_b32 s1, s0
	s_delay_alu instid0(SALU_CYCLE_1)
	s_xor_b32 s0, exec_lo, s1
	s_cbranch_execz .LBB7_71
; %bb.70:                               ;   in Loop: Header=BB7_3 Depth=1
	v_add_f32_e64 v9, |v2|, |v2|
	s_delay_alu instid0(VALU_DEP_1) | instskip(SKIP_1) | instid1(VALU_DEP_2)
	v_mul_f32_e32 v10, 0x3fb8aa3b, v9
	v_cmp_ngt_f32_e32 vcc_lo, 0xc2ce8ed0, v9
	v_rndne_f32_e32 v30, v10
	v_fma_f32 v36, 0x3fb8aa3b, v9, -v10
	s_delay_alu instid0(VALU_DEP_2) | instskip(NEXT) | instid1(VALU_DEP_2)
	v_sub_f32_e32 v10, v10, v30
	v_fmac_f32_e32 v36, 0x32a5705f, v9
	v_cvt_i32_f32_e32 v30, v30
	s_delay_alu instid0(VALU_DEP_2) | instskip(NEXT) | instid1(VALU_DEP_1)
	v_add_f32_e32 v10, v10, v36
	v_exp_f32_e32 v10, v10
	s_waitcnt_depctr 0xfff
	v_ldexp_f32 v10, v10, v30
	s_delay_alu instid0(VALU_DEP_1) | instskip(SKIP_1) | instid1(VALU_DEP_2)
	v_cndmask_b32_e32 v10, 0, v10, vcc_lo
	v_cmp_nlt_f32_e32 vcc_lo, 0x42b17218, v9
	v_cndmask_b32_e32 v9, 0x7f800000, v10, vcc_lo
	s_delay_alu instid0(VALU_DEP_1) | instskip(NEXT) | instid1(VALU_DEP_1)
	v_add_f32_e32 v9, 1.0, v9
	v_rcp_f32_e32 v9, v9
	s_waitcnt_depctr 0xfff
	v_fma_f32 v10, v9, -2.0, 1.0
.LBB7_71:                               ;   in Loop: Header=BB7_3 Depth=1
	s_and_not1_saveexec_b32 s0, s0
; %bb.72:                               ;   in Loop: Header=BB7_3 Depth=1
	v_mul_f32_e32 v9, v2, v2
	s_delay_alu instid0(VALU_DEP_1) | instskip(NEXT) | instid1(VALU_DEP_1)
	v_fmaak_f32 v10, s80, v9, 0x3ca908c9
	v_fmaak_f32 v10, v9, v10, 0xbd5c1c4e
	s_delay_alu instid0(VALU_DEP_1) | instskip(NEXT) | instid1(VALU_DEP_1)
	v_fmaak_f32 v10, v9, v10, 0x3e088382
	v_fmaak_f32 v10, v9, v10, 0xbeaaaa99
	s_delay_alu instid0(VALU_DEP_1) | instskip(NEXT) | instid1(VALU_DEP_1)
	v_mul_f32_e64 v10, |v2|, v10
	v_fma_f32 v10, v9, v10, |v2|
; %bb.73:                               ;   in Loop: Header=BB7_3 Depth=1
	s_or_b32 exec_lo, exec_lo, s0
	v_dual_add_f32 v9, v28, v32 :: v_dual_add_f32 v28, v29, v33
	s_delay_alu instid0(VALU_DEP_2) | instskip(NEXT) | instid1(VALU_DEP_2)
	v_bfi_b32 v2, 0x7fffffff, v10, v2
	v_dual_add_f32 v9, v9, v41 :: v_dual_add_f32 v28, v28, v40
	s_delay_alu instid0(VALU_DEP_1) | instskip(NEXT) | instid1(VALU_DEP_1)
	v_add_f32_e32 v9, v39, v9
	v_dual_add_f32 v27, v27, v28 :: v_dual_mul_f32 v28, 0xbfb8aa3b, v9
	s_delay_alu instid0(VALU_DEP_1) | instskip(SKIP_1) | instid1(VALU_DEP_1)
	v_fma_f32 v30, 0xbfb8aa3b, v9, -v28
	v_rndne_f32_e32 v32, v28
	v_sub_f32_e32 v28, v28, v32
	s_delay_alu instid0(VALU_DEP_3) | instskip(SKIP_2) | instid1(VALU_DEP_3)
	v_fmac_f32_e32 v30, 0xb2a5705f, v9
	v_mul_f32_e32 v29, 0xbfb8aa3b, v27
	v_cmp_nlt_f32_e32 vcc_lo, 0x42ce8ed0, v9
	v_add_f32_e32 v28, v28, v30
	s_delay_alu instid0(VALU_DEP_3) | instskip(SKIP_2) | instid1(VALU_DEP_4)
	v_fma_f32 v33, 0xbfb8aa3b, v27, -v29
	v_rndne_f32_e32 v36, v29
	v_cvt_i32_f32_e32 v30, v32
	v_exp_f32_e32 v28, v28
	s_delay_alu instid0(VALU_DEP_3) | instskip(NEXT) | instid1(VALU_DEP_3)
	v_fmac_f32_e32 v33, 0xb2a5705f, v27
	v_sub_f32_e32 v29, v29, v36
	v_cvt_i32_f32_e32 v32, v36
	s_waitcnt_depctr 0xfff
	v_ldexp_f32 v28, v28, v30
	s_delay_alu instid0(VALU_DEP_1) | instskip(NEXT) | instid1(VALU_DEP_1)
	v_dual_add_f32 v29, v29, v33 :: v_dual_cndmask_b32 v28, 0, v28
	v_exp_f32_e32 v29, v29
	v_cmp_nlt_f32_e32 vcc_lo, 0x42ce8ed0, v27
	s_waitcnt_depctr 0xfff
	v_ldexp_f32 v29, v29, v32
	s_delay_alu instid0(VALU_DEP_1) | instskip(SKIP_3) | instid1(VALU_DEP_2)
	v_cndmask_b32_e32 v29, 0, v29, vcc_lo
	v_cmp_ngt_f32_e32 vcc_lo, 0xc2b17218, v9
	v_cndmask_b32_e32 v9, 0x7f800000, v28, vcc_lo
	v_cmp_ngt_f32_e32 vcc_lo, 0xc2b17218, v27
	v_add_f32_e32 v9, 1.0, v9
	s_delay_alu instid0(VALU_DEP_1) | instskip(NEXT) | instid1(VALU_DEP_1)
	v_div_scale_f32 v28, null, v9, v9, 1.0
	v_rcp_f32_e32 v30, v28
	s_waitcnt_depctr 0xfff
	v_fma_f32 v33, -v28, v30, 1.0
	s_delay_alu instid0(VALU_DEP_1) | instskip(NEXT) | instid1(VALU_DEP_1)
	v_dual_fmac_f32 v30, v33, v30 :: v_dual_cndmask_b32 v27, 0x7f800000, v29
	v_add_f32_e32 v27, 1.0, v27
	s_delay_alu instid0(VALU_DEP_1) | instskip(SKIP_1) | instid1(VALU_DEP_2)
	v_div_scale_f32 v29, null, v27, v27, 1.0
	v_div_scale_f32 v33, s0, 1.0, v27, 1.0
	v_rcp_f32_e32 v32, v29
	s_waitcnt_depctr 0xfff
	v_fma_f32 v36, -v29, v32, 1.0
	s_delay_alu instid0(VALU_DEP_1) | instskip(NEXT) | instid1(VALU_DEP_1)
	v_fmac_f32_e32 v32, v36, v32
	v_mul_f32_e32 v40, v33, v32
	v_div_scale_f32 v39, vcc_lo, 1.0, v9, 1.0
	s_delay_alu instid0(VALU_DEP_2) | instskip(NEXT) | instid1(VALU_DEP_2)
	v_fma_f32 v42, -v29, v40, v33
	v_mul_f32_e32 v36, v39, v30
	s_delay_alu instid0(VALU_DEP_2) | instskip(NEXT) | instid1(VALU_DEP_2)
	v_fmac_f32_e32 v40, v42, v32
	v_fma_f32 v41, -v28, v36, v39
	s_delay_alu instid0(VALU_DEP_2) | instskip(NEXT) | instid1(VALU_DEP_2)
	v_fma_f32 v29, -v29, v40, v33
	v_fmac_f32_e32 v36, v41, v30
	s_delay_alu instid0(VALU_DEP_1) | instskip(NEXT) | instid1(VALU_DEP_1)
	v_fma_f32 v28, -v28, v36, v39
	v_div_fmas_f32 v28, v28, v30, v36
	s_mov_b32 vcc_lo, s0
	v_div_fmas_f32 v29, v29, v32, v40
	s_delay_alu instid0(VALU_DEP_2) | instskip(NEXT) | instid1(VALU_DEP_2)
	v_div_fixup_f32 v9, v28, v9, 1.0
                                        ; implicit-def: $vgpr28
	v_div_fixup_f32 v10, v29, v27, 1.0
	s_delay_alu instid0(VALU_DEP_2) | instskip(SKIP_1) | instid1(VALU_DEP_1)
	v_mul_f32_e32 v27, v9, v2
	s_waitcnt vmcnt(0)
	v_fmac_f32_e32 v27, v34, v10
	s_delay_alu instid0(VALU_DEP_1) | instskip(NEXT) | instid1(VALU_DEP_1)
	v_cmp_ngt_f32_e64 s0, 0x3f200000, |v27|
	s_and_saveexec_b32 s1, s0
	s_delay_alu instid0(SALU_CYCLE_1)
	s_xor_b32 s0, exec_lo, s1
	s_cbranch_execz .LBB7_75
; %bb.74:                               ;   in Loop: Header=BB7_3 Depth=1
	v_add_f32_e64 v28, |v27|, |v27|
	s_delay_alu instid0(VALU_DEP_1) | instskip(SKIP_1) | instid1(VALU_DEP_2)
	v_mul_f32_e32 v29, 0x3fb8aa3b, v28
	v_cmp_ngt_f32_e32 vcc_lo, 0xc2ce8ed0, v28
	v_rndne_f32_e32 v30, v29
	v_fma_f32 v32, 0x3fb8aa3b, v28, -v29
	s_delay_alu instid0(VALU_DEP_1) | instskip(SKIP_1) | instid1(VALU_DEP_2)
	v_dual_sub_f32 v29, v29, v30 :: v_dual_fmac_f32 v32, 0x32a5705f, v28
	v_cvt_i32_f32_e32 v30, v30
	v_add_f32_e32 v29, v29, v32
	s_delay_alu instid0(VALU_DEP_1) | instskip(SKIP_2) | instid1(VALU_DEP_1)
	v_exp_f32_e32 v29, v29
	s_waitcnt_depctr 0xfff
	v_ldexp_f32 v29, v29, v30
	v_cndmask_b32_e32 v29, 0, v29, vcc_lo
	v_cmp_nlt_f32_e32 vcc_lo, 0x42b17218, v28
	s_delay_alu instid0(VALU_DEP_2) | instskip(NEXT) | instid1(VALU_DEP_1)
	v_cndmask_b32_e32 v28, 0x7f800000, v29, vcc_lo
	v_add_f32_e32 v28, 1.0, v28
	s_delay_alu instid0(VALU_DEP_1)
	v_rcp_f32_e32 v28, v28
	s_waitcnt_depctr 0xfff
	v_fma_f32 v28, v28, -2.0, 1.0
.LBB7_75:                               ;   in Loop: Header=BB7_3 Depth=1
	s_and_not1_saveexec_b32 s0, s0
	s_cbranch_execz .LBB7_2
; %bb.76:                               ;   in Loop: Header=BB7_3 Depth=1
	v_mul_f32_e32 v28, v27, v27
	s_delay_alu instid0(VALU_DEP_1) | instskip(NEXT) | instid1(VALU_DEP_1)
	v_fmaak_f32 v29, s80, v28, 0x3ca908c9
	v_fmaak_f32 v29, v28, v29, 0xbd5c1c4e
	s_delay_alu instid0(VALU_DEP_1) | instskip(NEXT) | instid1(VALU_DEP_1)
	v_fmaak_f32 v29, v28, v29, 0x3e088382
	v_fmaak_f32 v29, v28, v29, 0xbeaaaa99
	s_delay_alu instid0(VALU_DEP_1) | instskip(NEXT) | instid1(VALU_DEP_1)
	v_mul_f32_e64 v29, |v27|, v29
	v_fma_f32 v28, v28, v29, |v27|
	s_branch .LBB7_2
.LBB7_77:
	s_nop 0
	s_sendmsg sendmsg(MSG_DEALLOC_VGPRS)
	s_endpgm
	.section	.rodata,"a",@progbits
	.p2align	6, 0x0
	.amdhsa_kernel _ZN2at6native12_GLOBAL__N_16kernel17lstm_cell_forwardIfflLi2EEEvNS_4cuda6detail10TensorInfoIT_T1_EES9_S9_S9_S9_S9_S9_S9_S8_S8_
		.amdhsa_group_segment_fixed_size 0
		.amdhsa_private_segment_fixed_size 0
		.amdhsa_kernarg_size 3600
		.amdhsa_user_sgpr_count 15
		.amdhsa_user_sgpr_dispatch_ptr 0
		.amdhsa_user_sgpr_queue_ptr 0
		.amdhsa_user_sgpr_kernarg_segment_ptr 1
		.amdhsa_user_sgpr_dispatch_id 0
		.amdhsa_user_sgpr_private_segment_size 0
		.amdhsa_wavefront_size32 1
		.amdhsa_uses_dynamic_stack 0
		.amdhsa_enable_private_segment 0
		.amdhsa_system_sgpr_workgroup_id_x 1
		.amdhsa_system_sgpr_workgroup_id_y 0
		.amdhsa_system_sgpr_workgroup_id_z 0
		.amdhsa_system_sgpr_workgroup_info 0
		.amdhsa_system_vgpr_workitem_id 0
		.amdhsa_next_free_vgpr 55
		.amdhsa_next_free_sgpr 81
		.amdhsa_reserve_vcc 1
		.amdhsa_float_round_mode_32 0
		.amdhsa_float_round_mode_16_64 0
		.amdhsa_float_denorm_mode_32 3
		.amdhsa_float_denorm_mode_16_64 3
		.amdhsa_dx10_clamp 1
		.amdhsa_ieee_mode 1
		.amdhsa_fp16_overflow 0
		.amdhsa_workgroup_processor_mode 1
		.amdhsa_memory_ordered 1
		.amdhsa_forward_progress 0
		.amdhsa_shared_vgpr_count 0
		.amdhsa_exception_fp_ieee_invalid_op 0
		.amdhsa_exception_fp_denorm_src 0
		.amdhsa_exception_fp_ieee_div_zero 0
		.amdhsa_exception_fp_ieee_overflow 0
		.amdhsa_exception_fp_ieee_underflow 0
		.amdhsa_exception_fp_ieee_inexact 0
		.amdhsa_exception_int_div_zero 0
	.end_amdhsa_kernel
	.section	.text._ZN2at6native12_GLOBAL__N_16kernel17lstm_cell_forwardIfflLi2EEEvNS_4cuda6detail10TensorInfoIT_T1_EES9_S9_S9_S9_S9_S9_S9_S8_S8_,"axG",@progbits,_ZN2at6native12_GLOBAL__N_16kernel17lstm_cell_forwardIfflLi2EEEvNS_4cuda6detail10TensorInfoIT_T1_EES9_S9_S9_S9_S9_S9_S9_S8_S8_,comdat
.Lfunc_end7:
	.size	_ZN2at6native12_GLOBAL__N_16kernel17lstm_cell_forwardIfflLi2EEEvNS_4cuda6detail10TensorInfoIT_T1_EES9_S9_S9_S9_S9_S9_S9_S8_S8_, .Lfunc_end7-_ZN2at6native12_GLOBAL__N_16kernel17lstm_cell_forwardIfflLi2EEEvNS_4cuda6detail10TensorInfoIT_T1_EES9_S9_S9_S9_S9_S9_S9_S8_S8_
                                        ; -- End function
	.section	.AMDGPU.csdata,"",@progbits
; Kernel info:
; codeLenInByte = 21132
; NumSgprs: 83
; NumVgprs: 55
; ScratchSize: 0
; MemoryBound: 0
; FloatMode: 240
; IeeeMode: 1
; LDSByteSize: 0 bytes/workgroup (compile time only)
; SGPRBlocks: 10
; VGPRBlocks: 6
; NumSGPRsForWavesPerEU: 83
; NumVGPRsForWavesPerEU: 55
; Occupancy: 16
; WaveLimiterHint : 1
; COMPUTE_PGM_RSRC2:SCRATCH_EN: 0
; COMPUTE_PGM_RSRC2:USER_SGPR: 15
; COMPUTE_PGM_RSRC2:TRAP_HANDLER: 0
; COMPUTE_PGM_RSRC2:TGID_X_EN: 1
; COMPUTE_PGM_RSRC2:TGID_Y_EN: 0
; COMPUTE_PGM_RSRC2:TGID_Z_EN: 0
; COMPUTE_PGM_RSRC2:TIDIG_COMP_CNT: 0
	.section	.text._ZN2at6native12_GLOBAL__N_16kernel17lstm_cell_forwardIN3c104HalfEfiLi1EEEvNS_4cuda6detail10TensorInfoIT_T1_EESB_SB_SB_SB_SB_SB_SB_SA_SA_,"axG",@progbits,_ZN2at6native12_GLOBAL__N_16kernel17lstm_cell_forwardIN3c104HalfEfiLi1EEEvNS_4cuda6detail10TensorInfoIT_T1_EESB_SB_SB_SB_SB_SB_SB_SA_SA_,comdat
	.globl	_ZN2at6native12_GLOBAL__N_16kernel17lstm_cell_forwardIN3c104HalfEfiLi1EEEvNS_4cuda6detail10TensorInfoIT_T1_EESB_SB_SB_SB_SB_SB_SB_SA_SA_ ; -- Begin function _ZN2at6native12_GLOBAL__N_16kernel17lstm_cell_forwardIN3c104HalfEfiLi1EEEvNS_4cuda6detail10TensorInfoIT_T1_EESB_SB_SB_SB_SB_SB_SB_SA_SA_
	.p2align	8
	.type	_ZN2at6native12_GLOBAL__N_16kernel17lstm_cell_forwardIN3c104HalfEfiLi1EEEvNS_4cuda6detail10TensorInfoIT_T1_EESB_SB_SB_SB_SB_SB_SB_SA_SA_,@function
_ZN2at6native12_GLOBAL__N_16kernel17lstm_cell_forwardIN3c104HalfEfiLi1EEEvNS_4cuda6detail10TensorInfoIT_T1_EESB_SB_SB_SB_SB_SB_SB_SA_SA_: ; @_ZN2at6native12_GLOBAL__N_16kernel17lstm_cell_forwardIN3c104HalfEfiLi1EEEvNS_4cuda6detail10TensorInfoIT_T1_EESB_SB_SB_SB_SB_SB_SB_SA_SA_
; %bb.0:
	s_clause 0x1
	s_load_b32 s4, s[0:1], 0x6d4
	s_load_b64 s[2:3], s[0:1], 0x6c0
	s_add_u32 s8, s0, 0x6c8
	s_addc_u32 s9, s1, 0
	s_waitcnt lgkmcnt(0)
	s_and_b32 s28, s4, 0xffff
	s_mov_b32 s4, exec_lo
	v_mad_u64_u32 v[1:2], null, s15, s28, v[0:1]
	s_delay_alu instid0(VALU_DEP_1)
	v_cmpx_gt_i32_e64 s3, v1
	s_cbranch_execz .LBB8_13
; %bb.1:
	s_clause 0x3
	s_load_b64 s[4:5], s[0:1], 0x1b0
	s_load_b32 s20, s[0:1], 0x21c
	s_load_b64 s[6:7], s[0:1], 0x288
	s_load_b32 s21, s[0:1], 0x2f4
	s_load_b32 s29, s[8:9], 0x0
	s_clause 0x9
	s_load_b64 s[8:9], s[0:1], 0x360
	s_load_b32 s31, s[0:1], 0x3cc
	s_load_b64 s[10:11], s[0:1], 0x438
	s_load_b32 s33, s[0:1], 0x4a4
	s_load_b32 s34, s[0:1], 0x57c
	s_load_b64 s[12:13], s[0:1], 0x510
	s_load_b64 s[14:15], s[0:1], 0x0
	s_load_b32 s24, s[0:1], 0x6c
	s_load_b64 s[16:17], s[0:1], 0xd8
	s_load_b32 s25, s[0:1], 0x144
	s_mov_b32 s26, 0
	s_mul_i32 s27, s2, 3
	s_mov_b32 s35, 0xbbbac73d
	s_waitcnt lgkmcnt(0)
	s_cmp_lg_u64 s[4:5], 0
	s_cselect_b32 s22, -1, 0
	s_abs_i32 s23, s2
	v_mul_lo_u32 v4, v1, s33
	v_cvt_f32_u32_e32 v0, s23
	s_sub_i32 s18, 0, s23
	v_mul_lo_u32 v6, v1, s34
	s_mul_i32 s28, s29, s28
	s_ashr_i32 s29, s2, 31
	v_rcp_iflag_f32_e32 v0, v0
	s_sub_i32 s30, 0, s2
	s_mul_i32 s33, s28, s33
	s_mul_i32 s34, s28, s34
	s_waitcnt_depctr 0xfff
	v_mul_f32_e32 v0, 0x4f7ffffe, v0
	s_delay_alu instid0(VALU_DEP_1) | instskip(NEXT) | instid1(VALU_DEP_1)
	v_cvt_u32_f32_e32 v0, v0
	v_mul_lo_u32 v2, s18, v0
	s_clause 0x1
	s_load_b64 s[18:19], s[0:1], 0x5e8
	s_load_b32 s1, s[0:1], 0x654
	s_delay_alu instid0(VALU_DEP_1) | instskip(SKIP_2) | instid1(VALU_DEP_2)
	v_mul_hi_u32 v3, v0, v2
	v_mul_lo_u32 v2, v1, s31
	s_mul_i32 s31, s28, s31
	v_add_nc_u32_e32 v0, v0, v3
	s_branch .LBB8_3
.LBB8_2:                                ;   in Loop: Header=BB8_3 Depth=1
	s_or_b32 exec_lo, exec_lo, s0
	v_cvt_f32_f16_e32 v5, v5
	v_cvt_f32_f16_e32 v8, v8
	;; [unrolled: 1-line block ×3, first 2 shown]
	s_waitcnt_depctr 0xfff
	v_bfi_b32 v23, 0x7fffffff, v17, v10
	v_cvt_f16_f32_e32 v27, v16
	s_waitcnt lgkmcnt(0)
	v_mul_lo_u32 v18, v7, s1
	v_add_f32_e32 v5, v5, v8
	v_cvt_f32_f16_e32 v8, v14
	v_ashrrev_i32_e32 v7, 31, v6
	v_cvt_f16_f32_e32 v28, v12
	v_cvt_f16_f32_e32 v24, v10
	v_add_f32_e32 v5, v5, v15
	v_cvt_f16_f32_e32 v26, v13
	v_lshlrev_b64 v[20:21], 1, v[6:7]
	v_ashrrev_i32_e32 v19, 31, v18
	s_delay_alu instid0(VALU_DEP_4) | instskip(SKIP_1) | instid1(VALU_DEP_2)
	v_dual_add_f32 v5, v5, v8 :: v_dual_add_nc_u32 v2, s31, v2
	v_add_nc_u32_e32 v1, s28, v1
	v_mul_f32_e32 v8, 0xbfb8aa3b, v5
	v_cmp_nlt_f32_e32 vcc_lo, 0x42ce8ed0, v5
	s_delay_alu instid0(VALU_DEP_2) | instskip(SKIP_1) | instid1(VALU_DEP_2)
	v_fma_f32 v14, 0xbfb8aa3b, v5, -v8
	v_rndne_f32_e32 v15, v8
	v_fmac_f32_e32 v14, 0xb2a5705f, v5
	s_delay_alu instid0(VALU_DEP_2) | instskip(NEXT) | instid1(VALU_DEP_1)
	v_sub_f32_e32 v8, v8, v15
	v_add_f32_e32 v8, v8, v14
	v_cvt_i32_f32_e32 v14, v15
	s_delay_alu instid0(VALU_DEP_2) | instskip(SKIP_3) | instid1(VALU_DEP_2)
	v_exp_f32_e32 v8, v8
	s_waitcnt_depctr 0xfff
	v_ldexp_f32 v8, v8, v14
	v_mul_lo_u32 v14, v9, s1
	v_cndmask_b32_e32 v8, 0, v8, vcc_lo
	v_cmp_ngt_f32_e32 vcc_lo, 0xc2b17218, v5
	s_delay_alu instid0(VALU_DEP_3) | instskip(NEXT) | instid1(VALU_DEP_3)
	v_ashrrev_i32_e32 v15, 31, v14
	v_cndmask_b32_e32 v5, 0x7f800000, v8, vcc_lo
	v_mul_lo_u32 v8, v11, s1
	v_mul_lo_u32 v11, v3, s1
	v_cmp_le_i32_e32 vcc_lo, s3, v1
	s_delay_alu instid0(VALU_DEP_4) | instskip(SKIP_3) | instid1(VALU_DEP_3)
	v_add_f32_e32 v22, 1.0, v5
	v_ashrrev_i32_e32 v5, 31, v4
	s_or_b32 s26, vcc_lo, s26
	v_ashrrev_i32_e32 v9, 31, v8
	v_div_scale_f32 v3, null, v22, v22, 1.0
	s_delay_alu instid0(VALU_DEP_3) | instskip(SKIP_1) | instid1(VALU_DEP_3)
	v_lshlrev_b64 v[16:17], 1, v[4:5]
	v_div_scale_f32 v29, s0, 1.0, v22, 1.0
	v_rcp_f32_e32 v25, v3
	v_ashrrev_i32_e32 v12, 31, v11
	s_delay_alu instid0(VALU_DEP_3) | instskip(NEXT) | instid1(VALU_DEP_4)
	v_add_co_u32 v16, vcc_lo, s10, v16
	v_add_co_ci_u32_e32 v17, vcc_lo, s11, v17, vcc_lo
	v_add_co_u32 v20, vcc_lo, s12, v20
	v_add_co_ci_u32_e32 v21, vcc_lo, s13, v21, vcc_lo
	s_waitcnt_depctr 0xfff
	v_fma_f32 v5, -v3, v25, 1.0
	s_delay_alu instid0(VALU_DEP_1) | instskip(NEXT) | instid1(VALU_DEP_1)
	v_dual_fmac_f32 v25, v5, v25 :: v_dual_add_nc_u32 v4, s33, v4
	v_dual_mul_f32 v5, v29, v25 :: v_dual_add_nc_u32 v6, s34, v6
	s_delay_alu instid0(VALU_DEP_1) | instskip(NEXT) | instid1(VALU_DEP_1)
	v_fma_f32 v7, -v3, v5, v29
	v_fmac_f32_e32 v5, v7, v25
	v_lshlrev_b64 v[7:8], 1, v[8:9]
	v_lshlrev_b64 v[9:10], 1, v[11:12]
	;; [unrolled: 1-line block ×4, first 2 shown]
	v_fma_f32 v3, -v3, v5, v29
	v_add_co_u32 v7, vcc_lo, s18, v7
	v_add_co_ci_u32_e32 v8, vcc_lo, s19, v8, vcc_lo
	s_mov_b32 vcc_lo, s0
	s_delay_alu instid0(VALU_DEP_3) | instskip(SKIP_2) | instid1(VALU_DEP_3)
	v_div_fmas_f32 v3, v3, v25, v5
	v_add_co_u32 v9, vcc_lo, s18, v9
	v_add_co_ci_u32_e32 v10, vcc_lo, s19, v10, vcc_lo
	v_div_fixup_f32 v3, v3, v22, 1.0
	v_add_co_u32 v11, vcc_lo, s18, v11
	v_add_co_ci_u32_e32 v12, vcc_lo, s19, v12, vcc_lo
	s_delay_alu instid0(VALU_DEP_3)
	v_fma_mixlo_f16 v5, v3, v23, 0
	v_add_co_u32 v13, vcc_lo, s18, v13
	v_add_co_ci_u32_e32 v14, vcc_lo, s19, v14, vcc_lo
	v_cvt_f16_f32_e32 v3, v3
	global_store_b16 v[16:17], v5, off
	global_store_b16 v[20:21], v24, off
	s_clause 0x3
	global_store_b16 v[7:8], v26, off
	global_store_b16 v[9:10], v27, off
	;; [unrolled: 1-line block ×4, first 2 shown]
	s_and_not1_b32 exec_lo, exec_lo, s26
	s_cbranch_execz .LBB8_13
.LBB8_3:                                ; =>This Inner Loop Header: Depth=1
	v_sub_nc_u32_e32 v3, 0, v1
	s_delay_alu instid0(VALU_DEP_1) | instskip(NEXT) | instid1(VALU_DEP_1)
	v_max_i32_e32 v3, v1, v3
	v_mul_hi_u32 v5, v3, v0
	s_delay_alu instid0(VALU_DEP_1) | instskip(NEXT) | instid1(VALU_DEP_1)
	v_mul_lo_u32 v7, v5, s23
	v_sub_nc_u32_e32 v3, v3, v7
	v_add_nc_u32_e32 v7, 1, v5
	s_delay_alu instid0(VALU_DEP_2) | instskip(SKIP_1) | instid1(VALU_DEP_3)
	v_subrev_nc_u32_e32 v8, s23, v3
	v_cmp_le_u32_e32 vcc_lo, s23, v3
	v_cndmask_b32_e32 v5, v5, v7, vcc_lo
	s_delay_alu instid0(VALU_DEP_3) | instskip(SKIP_1) | instid1(VALU_DEP_3)
	v_cndmask_b32_e32 v3, v3, v8, vcc_lo
	v_ashrrev_i32_e32 v7, 31, v1
	v_add_nc_u32_e32 v8, 1, v5
	s_delay_alu instid0(VALU_DEP_3) | instskip(NEXT) | instid1(VALU_DEP_3)
	v_cmp_le_u32_e32 vcc_lo, s23, v3
	v_xor_b32_e32 v18, s29, v7
	s_delay_alu instid0(VALU_DEP_3) | instskip(NEXT) | instid1(VALU_DEP_2)
	v_cndmask_b32_e32 v3, v5, v8, vcc_lo
	v_mul_i32_i24_e32 v5, 3, v18
	s_delay_alu instid0(VALU_DEP_2) | instskip(SKIP_1) | instid1(VALU_DEP_2)
	v_xor_b32_e32 v19, v3, v18
	v_ashrrev_i32_e32 v3, 31, v2
	v_lshl_add_u32 v7, v19, 1, v19
	v_sub_nc_u32_e32 v20, v19, v18
	s_delay_alu instid0(VALU_DEP_2) | instskip(NEXT) | instid1(VALU_DEP_2)
	v_sub_nc_u32_e32 v5, v7, v5
	v_mad_u64_u32 v[11:12], null, s27, v20, v[1:2]
	v_lshlrev_b64 v[12:13], 1, v[2:3]
	s_delay_alu instid0(VALU_DEP_3) | instskip(SKIP_4) | instid1(VALU_DEP_4)
	v_mul_lo_u32 v3, s2, v5
	v_add_nc_u32_e32 v7, 2, v5
	v_add_nc_u32_e32 v5, 3, v5
	v_mul_lo_u32 v14, v11, s24
	v_mul_lo_u32 v16, v11, s25
	v_mad_u64_u32 v[9:10], null, s2, v7, v[1:2]
	v_add3_u32 v3, v3, s2, v1
	v_mad_u64_u32 v[7:8], null, s2, v5, v[1:2]
	v_add_co_u32 v23, vcc_lo, s8, v12
	v_ashrrev_i32_e32 v15, 31, v14
	s_delay_alu instid0(VALU_DEP_4)
	v_mul_lo_u32 v12, v3, s24
	v_ashrrev_i32_e32 v17, 31, v16
	v_mul_lo_u32 v21, v9, s24
	v_mul_lo_u32 v25, v7, s24
	v_lshlrev_b64 v[14:15], 1, v[14:15]
	v_add_co_ci_u32_e32 v24, vcc_lo, s9, v13, vcc_lo
	v_lshlrev_b64 v[16:17], 1, v[16:17]
	v_ashrrev_i32_e32 v13, 31, v12
	v_mul_lo_u32 v27, v3, s25
	v_mul_lo_u32 v29, v9, s25
	v_mul_lo_u32 v31, v7, s25
	v_ashrrev_i32_e32 v22, 31, v21
	v_add_co_u32 v14, vcc_lo, s14, v14
	v_add_co_ci_u32_e32 v15, vcc_lo, s15, v15, vcc_lo
	v_lshlrev_b64 v[12:13], 1, v[12:13]
	v_ashrrev_i32_e32 v26, 31, v25
	v_add_co_u32 v33, vcc_lo, s16, v16
	v_add_co_ci_u32_e32 v34, vcc_lo, s17, v17, vcc_lo
	v_lshlrev_b64 v[16:17], 1, v[21:22]
	v_ashrrev_i32_e32 v28, 31, v27
	v_ashrrev_i32_e32 v30, 31, v29
	;; [unrolled: 1-line block ×3, first 2 shown]
	v_lshlrev_b64 v[21:22], 1, v[25:26]
	v_add_co_u32 v12, vcc_lo, s14, v12
	v_add_co_ci_u32_e32 v13, vcc_lo, s15, v13, vcc_lo
	v_lshlrev_b64 v[25:26], 1, v[27:28]
	v_lshlrev_b64 v[27:28], 1, v[29:30]
	v_lshlrev_b64 v[29:30], 1, v[31:32]
	v_add_co_u32 v31, vcc_lo, s14, v16
	v_add_co_ci_u32_e32 v32, vcc_lo, s15, v17, vcc_lo
	v_add_co_u32 v35, vcc_lo, s14, v21
	v_add_co_ci_u32_e32 v36, vcc_lo, s15, v22, vcc_lo
	;; [unrolled: 2-line block ×5, first 2 shown]
	s_clause 0x3
	global_load_u16 v16, v[14:15], off
	global_load_u16 v12, v[12:13], off
	global_load_u16 v21, v[31:32], off
	global_load_u16 v5, v[35:36], off
	s_clause 0x3
	global_load_u16 v17, v[33:34], off
	global_load_u16 v13, v[25:26], off
	;; [unrolled: 1-line block ×5, first 2 shown]
	v_mov_b32_e32 v26, 0
	v_dual_mov_b32 v14, 0 :: v_dual_mov_b32 v27, 0
	v_dual_mov_b32 v23, 0 :: v_dual_mov_b32 v24, 0
	;; [unrolled: 1-line block ×3, first 2 shown]
	v_mov_b32_e32 v25, 0
	s_and_not1_b32 vcc_lo, exec_lo, s22
	s_cbranch_vccnz .LBB8_5
; %bb.4:                                ;   in Loop: Header=BB8_3 Depth=1
	v_sub_nc_u32_e32 v18, v18, v19
	v_mad_u64_u32 v[14:15], null, s30, v20, v[1:2]
	s_delay_alu instid0(VALU_DEP_2) | instskip(SKIP_2) | instid1(VALU_DEP_4)
	v_mul_lo_u32 v15, s2, v18
	v_add_nc_u32_e32 v19, 2, v18
	v_add_nc_u32_e32 v20, 3, v18
	v_mul_lo_u32 v18, v14, s20
	v_mul_lo_u32 v14, v14, s21
	s_delay_alu instid0(VALU_DEP_4) | instskip(SKIP_3) | instid1(VALU_DEP_3)
	v_mad_u64_u32 v[23:24], null, s2, v19, v[1:2]
	v_add3_u32 v28, v15, s2, v1
	v_mad_u64_u32 v[24:25], null, s2, v20, v[1:2]
	v_ashrrev_i32_e32 v19, 31, v18
	v_mul_lo_u32 v25, v28, s20
	v_mul_lo_u32 v27, v23, s20
	;; [unrolled: 1-line block ×3, first 2 shown]
	v_ashrrev_i32_e32 v15, 31, v14
	v_mul_lo_u32 v29, v24, s20
	v_lshlrev_b64 v[18:19], 1, v[18:19]
	v_mul_lo_u32 v23, v23, s21
	s_delay_alu instid0(VALU_DEP_4) | instskip(SKIP_4) | instid1(VALU_DEP_4)
	v_lshlrev_b64 v[14:15], 1, v[14:15]
	v_ashrrev_i32_e32 v26, 31, v25
	v_ashrrev_i32_e32 v28, 31, v27
	v_add_co_u32 v18, vcc_lo, s4, v18
	v_ashrrev_i32_e32 v30, 31, v29
	v_lshlrev_b64 v[25:26], 1, v[25:26]
	s_delay_alu instid0(VALU_DEP_4) | instskip(SKIP_1) | instid1(VALU_DEP_4)
	v_lshlrev_b64 v[27:28], 1, v[27:28]
	v_add_co_ci_u32_e32 v19, vcc_lo, s5, v19, vcc_lo
	v_lshlrev_b64 v[29:30], 1, v[29:30]
	v_ashrrev_i32_e32 v32, 31, v31
	v_add_co_u32 v33, vcc_lo, s4, v25
	v_mul_lo_u32 v25, v24, s21
	v_add_co_ci_u32_e32 v34, vcc_lo, s5, v26, vcc_lo
	v_add_co_u32 v27, vcc_lo, s4, v27
	v_add_co_ci_u32_e32 v28, vcc_lo, s5, v28, vcc_lo
	v_add_co_u32 v29, vcc_lo, s4, v29
	v_ashrrev_i32_e32 v24, 31, v23
	v_add_co_ci_u32_e32 v30, vcc_lo, s5, v30, vcc_lo
	v_lshlrev_b64 v[31:32], 1, v[31:32]
	v_add_co_u32 v35, vcc_lo, s6, v14
	v_ashrrev_i32_e32 v26, 31, v25
	v_add_co_ci_u32_e32 v36, vcc_lo, s7, v15, vcc_lo
	v_lshlrev_b64 v[14:15], 1, v[23:24]
	v_add_co_u32 v31, vcc_lo, s6, v31
	s_delay_alu instid0(VALU_DEP_4) | instskip(SKIP_1) | instid1(VALU_DEP_4)
	v_lshlrev_b64 v[23:24], 1, v[25:26]
	v_add_co_ci_u32_e32 v32, vcc_lo, s7, v32, vcc_lo
	v_add_co_u32 v37, vcc_lo, s6, v14
	v_add_co_ci_u32_e32 v38, vcc_lo, s7, v15, vcc_lo
	s_delay_alu instid0(VALU_DEP_4)
	v_add_co_u32 v39, vcc_lo, s6, v23
	v_add_co_ci_u32_e32 v40, vcc_lo, s7, v24, vcc_lo
	s_clause 0x3
	global_load_u16 v26, v[18:19], off
	global_load_u16 v25, v[33:34], off
	;; [unrolled: 1-line block ×4, first 2 shown]
	s_clause 0x3
	global_load_u16 v24, v[35:36], off
	global_load_u16 v23, v[31:32], off
	;; [unrolled: 1-line block ×4, first 2 shown]
.LBB8_5:                                ;   in Loop: Header=BB8_3 Depth=1
	s_waitcnt vmcnt(6)
	v_cvt_f32_f16_e32 v18, v21
	s_waitcnt vmcnt(2)
	v_cvt_f32_f16_e32 v19, v22
	v_cvt_f32_f16_e32 v20, v28
	s_delay_alu instid0(VALU_DEP_2) | instskip(SKIP_2) | instid1(VALU_DEP_2)
	v_add_f32_e32 v18, v18, v19
	s_waitcnt vmcnt(1)
	v_cvt_f32_f16_e32 v19, v27
	v_add_f32_e32 v18, v18, v20
	s_delay_alu instid0(VALU_DEP_1) | instskip(NEXT) | instid1(VALU_DEP_1)
	v_add_f32_e32 v18, v18, v19
                                        ; implicit-def: $vgpr19
	v_cmp_ngt_f32_e64 s0, 0x3f200000, |v18|
	s_delay_alu instid0(VALU_DEP_1) | instskip(NEXT) | instid1(SALU_CYCLE_1)
	s_and_saveexec_b32 s36, s0
	s_xor_b32 s0, exec_lo, s36
	s_cbranch_execz .LBB8_7
; %bb.6:                                ;   in Loop: Header=BB8_3 Depth=1
	v_add_f32_e64 v19, |v18|, |v18|
	s_delay_alu instid0(VALU_DEP_1) | instskip(SKIP_1) | instid1(VALU_DEP_2)
	v_mul_f32_e32 v20, 0x3fb8aa3b, v19
	v_cmp_ngt_f32_e32 vcc_lo, 0xc2ce8ed0, v19
	v_rndne_f32_e32 v21, v20
	v_fma_f32 v22, 0x3fb8aa3b, v19, -v20
	s_delay_alu instid0(VALU_DEP_2) | instskip(NEXT) | instid1(VALU_DEP_2)
	v_sub_f32_e32 v20, v20, v21
	v_fmac_f32_e32 v22, 0x32a5705f, v19
	v_cvt_i32_f32_e32 v21, v21
	s_delay_alu instid0(VALU_DEP_2) | instskip(NEXT) | instid1(VALU_DEP_1)
	v_add_f32_e32 v20, v20, v22
	v_exp_f32_e32 v20, v20
	s_waitcnt_depctr 0xfff
	v_ldexp_f32 v20, v20, v21
	s_delay_alu instid0(VALU_DEP_1) | instskip(SKIP_1) | instid1(VALU_DEP_2)
	v_cndmask_b32_e32 v20, 0, v20, vcc_lo
	v_cmp_nlt_f32_e32 vcc_lo, 0x42b17218, v19
	v_cndmask_b32_e32 v19, 0x7f800000, v20, vcc_lo
	s_delay_alu instid0(VALU_DEP_1) | instskip(NEXT) | instid1(VALU_DEP_1)
	v_add_f32_e32 v19, 1.0, v19
	v_rcp_f32_e32 v19, v19
	s_waitcnt_depctr 0xfff
	v_fma_f32 v19, v19, -2.0, 1.0
.LBB8_7:                                ;   in Loop: Header=BB8_3 Depth=1
	s_and_not1_saveexec_b32 s0, s0
; %bb.8:                                ;   in Loop: Header=BB8_3 Depth=1
	v_mul_f32_e32 v19, v18, v18
	s_delay_alu instid0(VALU_DEP_1) | instskip(NEXT) | instid1(VALU_DEP_1)
	v_fmaak_f32 v20, s35, v19, 0x3ca908c9
	v_fmaak_f32 v20, v19, v20, 0xbd5c1c4e
	s_delay_alu instid0(VALU_DEP_1) | instskip(NEXT) | instid1(VALU_DEP_1)
	v_fmaak_f32 v20, v19, v20, 0x3e088382
	v_fmaak_f32 v20, v19, v20, 0xbeaaaa99
	s_delay_alu instid0(VALU_DEP_1) | instskip(NEXT) | instid1(VALU_DEP_1)
	v_mul_f32_e64 v20, |v18|, v20
	v_fma_f32 v19, v19, v20, |v18|
; %bb.9:                                ;   in Loop: Header=BB8_3 Depth=1
	s_or_b32 exec_lo, exec_lo, s0
	v_cvt_f32_f16_e32 v16, v16
	v_cvt_f32_f16_e32 v17, v17
	;; [unrolled: 1-line block ×5, first 2 shown]
	s_delay_alu instid0(VALU_DEP_4) | instskip(SKIP_1) | instid1(VALU_DEP_4)
	v_add_f32_e32 v16, v16, v17
	v_cvt_f32_f16_e32 v17, v25
	v_add_f32_e32 v12, v12, v13
	v_cvt_f32_f16_e32 v13, v24
	s_delay_alu instid0(VALU_DEP_4) | instskip(SKIP_1) | instid1(VALU_DEP_4)
	v_add_f32_e32 v16, v16, v20
	v_cvt_f32_f16_e32 v20, v23
	v_add_f32_e32 v12, v12, v17
	s_delay_alu instid0(VALU_DEP_1) | instskip(NEXT) | instid1(VALU_DEP_1)
	v_add_f32_e32 v12, v12, v20
	v_mul_f32_e32 v17, 0xbfb8aa3b, v12
	s_delay_alu instid0(VALU_DEP_1) | instskip(SKIP_1) | instid1(VALU_DEP_1)
	v_fma_f32 v22, 0xbfb8aa3b, v12, -v17
	v_rndne_f32_e32 v23, v17
	v_dual_fmac_f32 v22, 0xb2a5705f, v12 :: v_dual_sub_f32 v17, v17, v23
	s_delay_alu instid0(VALU_DEP_1) | instskip(SKIP_1) | instid1(VALU_DEP_2)
	v_add_f32_e32 v17, v17, v22
	v_add_f32_e32 v13, v16, v13
	v_exp_f32_e32 v17, v17
	s_delay_alu instid0(VALU_DEP_1) | instskip(SKIP_1) | instid1(VALU_DEP_2)
	v_mul_f32_e32 v16, 0xbfb8aa3b, v13
	v_cmp_nlt_f32_e32 vcc_lo, 0x42ce8ed0, v13
	v_fma_f32 v20, 0xbfb8aa3b, v13, -v16
	v_rndne_f32_e32 v21, v16
	s_delay_alu instid0(VALU_DEP_2) | instskip(NEXT) | instid1(VALU_DEP_2)
	v_fmac_f32_e32 v20, 0xb2a5705f, v13
	v_sub_f32_e32 v16, v16, v21
	s_delay_alu instid0(VALU_DEP_1) | instskip(SKIP_2) | instid1(VALU_DEP_3)
	v_add_f32_e32 v16, v16, v20
	v_cvt_i32_f32_e32 v20, v21
	v_cvt_i32_f32_e32 v21, v23
	v_exp_f32_e32 v16, v16
	s_delay_alu instid0(VALU_DEP_1) | instskip(SKIP_2) | instid1(VALU_DEP_1)
	v_ldexp_f32 v17, v17, v21
	s_waitcnt_depctr 0xfff
	v_ldexp_f32 v16, v16, v20
	v_cndmask_b32_e32 v16, 0, v16, vcc_lo
	v_cmp_nlt_f32_e32 vcc_lo, 0x42ce8ed0, v12
	v_cndmask_b32_e32 v17, 0, v17, vcc_lo
	v_cmp_ngt_f32_e32 vcc_lo, 0xc2b17218, v13
	s_delay_alu instid0(VALU_DEP_4) | instskip(SKIP_1) | instid1(VALU_DEP_2)
	v_cndmask_b32_e32 v13, 0x7f800000, v16, vcc_lo
	v_cmp_ngt_f32_e32 vcc_lo, 0xc2b17218, v12
	v_add_f32_e32 v13, 1.0, v13
	v_cndmask_b32_e32 v12, 0x7f800000, v17, vcc_lo
	s_delay_alu instid0(VALU_DEP_2) | instskip(NEXT) | instid1(VALU_DEP_2)
	v_div_scale_f32 v24, vcc_lo, 1.0, v13, 1.0
	v_add_f32_e32 v16, 1.0, v12
	v_div_scale_f32 v12, null, v13, v13, 1.0
	s_delay_alu instid0(VALU_DEP_2) | instskip(NEXT) | instid1(VALU_DEP_2)
	v_div_scale_f32 v17, null, v16, v16, 1.0
	v_rcp_f32_e32 v20, v12
	s_delay_alu instid0(VALU_DEP_1) | instskip(SKIP_3) | instid1(VALU_DEP_1)
	v_rcp_f32_e32 v21, v17
	s_waitcnt_depctr 0xfff
	v_fma_f32 v22, -v12, v20, 1.0
	v_fma_f32 v23, -v17, v21, 1.0
	v_dual_fmac_f32 v21, v23, v21 :: v_dual_fmac_f32 v20, v22, v20
	v_div_scale_f32 v22, s0, 1.0, v16, 1.0
	s_delay_alu instid0(VALU_DEP_1) | instskip(NEXT) | instid1(VALU_DEP_1)
	v_mul_f32_e32 v25, v22, v21
	v_fma_f32 v27, -v17, v25, v22
	s_delay_alu instid0(VALU_DEP_1) | instskip(SKIP_1) | instid1(VALU_DEP_2)
	v_fmac_f32_e32 v25, v27, v21
	v_mul_f32_e32 v23, v24, v20
	v_fma_f32 v17, -v17, v25, v22
	s_delay_alu instid0(VALU_DEP_2) | instskip(NEXT) | instid1(VALU_DEP_1)
	v_fma_f32 v26, -v12, v23, v24
	v_fmac_f32_e32 v23, v26, v20
	s_delay_alu instid0(VALU_DEP_1) | instskip(NEXT) | instid1(VALU_DEP_1)
	v_fma_f32 v12, -v12, v23, v24
	v_div_fmas_f32 v12, v12, v20, v23
	s_mov_b32 vcc_lo, s0
	v_div_fmas_f32 v17, v17, v21, v25
	s_delay_alu instid0(VALU_DEP_2) | instskip(SKIP_1) | instid1(VALU_DEP_3)
	v_div_fixup_f32 v13, v12, v13, 1.0
	v_bfi_b32 v12, 0x7fffffff, v19, v18
	v_div_fixup_f32 v16, v17, v16, 1.0
	s_delay_alu instid0(VALU_DEP_2) | instskip(SKIP_1) | instid1(VALU_DEP_1)
	v_mul_f32_e32 v17, v13, v12
	s_waitcnt vmcnt(0)
	v_fma_mix_f32 v10, v16, v10, v17 op_sel_hi:[0,1,0]
                                        ; implicit-def: $vgpr17
	s_delay_alu instid0(VALU_DEP_1) | instskip(NEXT) | instid1(VALU_DEP_1)
	v_cmp_ngt_f32_e64 s0, 0x3f200000, |v10|
	s_and_saveexec_b32 s36, s0
	s_delay_alu instid0(SALU_CYCLE_1)
	s_xor_b32 s0, exec_lo, s36
	s_cbranch_execz .LBB8_11
; %bb.10:                               ;   in Loop: Header=BB8_3 Depth=1
	v_add_f32_e64 v17, |v10|, |v10|
	s_delay_alu instid0(VALU_DEP_1) | instskip(SKIP_1) | instid1(VALU_DEP_2)
	v_mul_f32_e32 v18, 0x3fb8aa3b, v17
	v_cmp_ngt_f32_e32 vcc_lo, 0xc2ce8ed0, v17
	v_rndne_f32_e32 v19, v18
	v_fma_f32 v20, 0x3fb8aa3b, v17, -v18
	s_delay_alu instid0(VALU_DEP_2) | instskip(NEXT) | instid1(VALU_DEP_2)
	v_sub_f32_e32 v18, v18, v19
	v_fmac_f32_e32 v20, 0x32a5705f, v17
	v_cvt_i32_f32_e32 v19, v19
	s_delay_alu instid0(VALU_DEP_2) | instskip(NEXT) | instid1(VALU_DEP_1)
	v_add_f32_e32 v18, v18, v20
	v_exp_f32_e32 v18, v18
	s_waitcnt_depctr 0xfff
	v_ldexp_f32 v18, v18, v19
	s_delay_alu instid0(VALU_DEP_1) | instskip(SKIP_1) | instid1(VALU_DEP_2)
	v_cndmask_b32_e32 v18, 0, v18, vcc_lo
	v_cmp_nlt_f32_e32 vcc_lo, 0x42b17218, v17
	v_cndmask_b32_e32 v17, 0x7f800000, v18, vcc_lo
	s_delay_alu instid0(VALU_DEP_1) | instskip(NEXT) | instid1(VALU_DEP_1)
	v_add_f32_e32 v17, 1.0, v17
	v_rcp_f32_e32 v17, v17
	s_waitcnt_depctr 0xfff
	v_fma_f32 v17, v17, -2.0, 1.0
.LBB8_11:                               ;   in Loop: Header=BB8_3 Depth=1
	s_and_not1_saveexec_b32 s0, s0
	s_cbranch_execz .LBB8_2
; %bb.12:                               ;   in Loop: Header=BB8_3 Depth=1
	v_mul_f32_e32 v17, v10, v10
	s_delay_alu instid0(VALU_DEP_1) | instskip(NEXT) | instid1(VALU_DEP_1)
	v_fmaak_f32 v18, s35, v17, 0x3ca908c9
	v_fmaak_f32 v18, v17, v18, 0xbd5c1c4e
	s_delay_alu instid0(VALU_DEP_1) | instskip(NEXT) | instid1(VALU_DEP_1)
	v_fmaak_f32 v18, v17, v18, 0x3e088382
	v_fmaak_f32 v18, v17, v18, 0xbeaaaa99
	s_delay_alu instid0(VALU_DEP_1) | instskip(NEXT) | instid1(VALU_DEP_1)
	v_mul_f32_e64 v18, |v10|, v18
	v_fma_f32 v17, v17, v18, |v10|
	s_branch .LBB8_2
.LBB8_13:
	s_nop 0
	s_sendmsg sendmsg(MSG_DEALLOC_VGPRS)
	s_endpgm
	.section	.rodata,"a",@progbits
	.p2align	6, 0x0
	.amdhsa_kernel _ZN2at6native12_GLOBAL__N_16kernel17lstm_cell_forwardIN3c104HalfEfiLi1EEEvNS_4cuda6detail10TensorInfoIT_T1_EESB_SB_SB_SB_SB_SB_SB_SA_SA_
		.amdhsa_group_segment_fixed_size 0
		.amdhsa_private_segment_fixed_size 0
		.amdhsa_kernarg_size 1992
		.amdhsa_user_sgpr_count 15
		.amdhsa_user_sgpr_dispatch_ptr 0
		.amdhsa_user_sgpr_queue_ptr 0
		.amdhsa_user_sgpr_kernarg_segment_ptr 1
		.amdhsa_user_sgpr_dispatch_id 0
		.amdhsa_user_sgpr_private_segment_size 0
		.amdhsa_wavefront_size32 1
		.amdhsa_uses_dynamic_stack 0
		.amdhsa_enable_private_segment 0
		.amdhsa_system_sgpr_workgroup_id_x 1
		.amdhsa_system_sgpr_workgroup_id_y 0
		.amdhsa_system_sgpr_workgroup_id_z 0
		.amdhsa_system_sgpr_workgroup_info 0
		.amdhsa_system_vgpr_workitem_id 0
		.amdhsa_next_free_vgpr 41
		.amdhsa_next_free_sgpr 37
		.amdhsa_reserve_vcc 1
		.amdhsa_float_round_mode_32 0
		.amdhsa_float_round_mode_16_64 0
		.amdhsa_float_denorm_mode_32 3
		.amdhsa_float_denorm_mode_16_64 3
		.amdhsa_dx10_clamp 1
		.amdhsa_ieee_mode 1
		.amdhsa_fp16_overflow 0
		.amdhsa_workgroup_processor_mode 1
		.amdhsa_memory_ordered 1
		.amdhsa_forward_progress 0
		.amdhsa_shared_vgpr_count 0
		.amdhsa_exception_fp_ieee_invalid_op 0
		.amdhsa_exception_fp_denorm_src 0
		.amdhsa_exception_fp_ieee_div_zero 0
		.amdhsa_exception_fp_ieee_overflow 0
		.amdhsa_exception_fp_ieee_underflow 0
		.amdhsa_exception_fp_ieee_inexact 0
		.amdhsa_exception_int_div_zero 0
	.end_amdhsa_kernel
	.section	.text._ZN2at6native12_GLOBAL__N_16kernel17lstm_cell_forwardIN3c104HalfEfiLi1EEEvNS_4cuda6detail10TensorInfoIT_T1_EESB_SB_SB_SB_SB_SB_SB_SA_SA_,"axG",@progbits,_ZN2at6native12_GLOBAL__N_16kernel17lstm_cell_forwardIN3c104HalfEfiLi1EEEvNS_4cuda6detail10TensorInfoIT_T1_EESB_SB_SB_SB_SB_SB_SB_SA_SA_,comdat
.Lfunc_end8:
	.size	_ZN2at6native12_GLOBAL__N_16kernel17lstm_cell_forwardIN3c104HalfEfiLi1EEEvNS_4cuda6detail10TensorInfoIT_T1_EESB_SB_SB_SB_SB_SB_SB_SA_SA_, .Lfunc_end8-_ZN2at6native12_GLOBAL__N_16kernel17lstm_cell_forwardIN3c104HalfEfiLi1EEEvNS_4cuda6detail10TensorInfoIT_T1_EESB_SB_SB_SB_SB_SB_SB_SA_SA_
                                        ; -- End function
	.section	.AMDGPU.csdata,"",@progbits
; Kernel info:
; codeLenInByte = 2936
; NumSgprs: 39
; NumVgprs: 41
; ScratchSize: 0
; MemoryBound: 0
; FloatMode: 240
; IeeeMode: 1
; LDSByteSize: 0 bytes/workgroup (compile time only)
; SGPRBlocks: 4
; VGPRBlocks: 5
; NumSGPRsForWavesPerEU: 39
; NumVGPRsForWavesPerEU: 41
; Occupancy: 16
; WaveLimiterHint : 1
; COMPUTE_PGM_RSRC2:SCRATCH_EN: 0
; COMPUTE_PGM_RSRC2:USER_SGPR: 15
; COMPUTE_PGM_RSRC2:TRAP_HANDLER: 0
; COMPUTE_PGM_RSRC2:TGID_X_EN: 1
; COMPUTE_PGM_RSRC2:TGID_Y_EN: 0
; COMPUTE_PGM_RSRC2:TGID_Z_EN: 0
; COMPUTE_PGM_RSRC2:TIDIG_COMP_CNT: 0
	.section	.text._ZN2at6native12_GLOBAL__N_16kernel17lstm_cell_forwardIN3c104HalfEfiLi2EEEvNS_4cuda6detail10TensorInfoIT_T1_EESB_SB_SB_SB_SB_SB_SB_SA_SA_,"axG",@progbits,_ZN2at6native12_GLOBAL__N_16kernel17lstm_cell_forwardIN3c104HalfEfiLi2EEEvNS_4cuda6detail10TensorInfoIT_T1_EESB_SB_SB_SB_SB_SB_SB_SA_SA_,comdat
	.globl	_ZN2at6native12_GLOBAL__N_16kernel17lstm_cell_forwardIN3c104HalfEfiLi2EEEvNS_4cuda6detail10TensorInfoIT_T1_EESB_SB_SB_SB_SB_SB_SB_SA_SA_ ; -- Begin function _ZN2at6native12_GLOBAL__N_16kernel17lstm_cell_forwardIN3c104HalfEfiLi2EEEvNS_4cuda6detail10TensorInfoIT_T1_EESB_SB_SB_SB_SB_SB_SB_SA_SA_
	.p2align	8
	.type	_ZN2at6native12_GLOBAL__N_16kernel17lstm_cell_forwardIN3c104HalfEfiLi2EEEvNS_4cuda6detail10TensorInfoIT_T1_EESB_SB_SB_SB_SB_SB_SB_SA_SA_,@function
_ZN2at6native12_GLOBAL__N_16kernel17lstm_cell_forwardIN3c104HalfEfiLi2EEEvNS_4cuda6detail10TensorInfoIT_T1_EESB_SB_SB_SB_SB_SB_SB_SA_SA_: ; @_ZN2at6native12_GLOBAL__N_16kernel17lstm_cell_forwardIN3c104HalfEfiLi2EEEvNS_4cuda6detail10TensorInfoIT_T1_EESB_SB_SB_SB_SB_SB_SB_SA_SA_
; %bb.0:
	s_clause 0x1
	s_load_b32 s6, s[0:1], 0x6d4
	s_load_b64 s[4:5], s[0:1], 0x6c0
	s_add_u32 s2, s0, 0x6c8
	s_addc_u32 s3, s1, 0
	s_waitcnt lgkmcnt(0)
	s_and_b32 s43, s6, 0xffff
	s_mov_b32 s6, exec_lo
	v_mad_u64_u32 v[1:2], null, s15, s43, v[0:1]
	s_delay_alu instid0(VALU_DEP_1)
	v_cmpx_gt_i32_e64 s5, v1
	s_cbranch_execz .LBB9_13
; %bb.1:
	s_clause 0x9
	s_load_b64 s[6:7], s[0:1], 0x1b0
	s_load_b32 s33, s[0:1], 0xe4
	s_load_b64 s[8:9], s[0:1], 0x144
	s_load_b64 s[10:11], s[0:1], 0x0
	s_load_b32 s36, s[0:1], 0xc
	s_load_b32 s37, s[0:1], 0x21c
	s_load_b64 s[12:13], s[0:1], 0x288
	s_load_b32 s38, s[0:1], 0x2f4
	s_load_b64 s[14:15], s[0:1], 0x360
	s_load_b32 s58, s[0:1], 0x36c
	s_load_b32 s2, s[2:3], 0x0
	s_clause 0xb
	s_load_b64 s[16:17], s[0:1], 0x3cc
	s_load_b64 s[18:19], s[0:1], 0x438
	s_load_b32 s59, s[0:1], 0x444
	s_load_b32 s3, s[0:1], 0x5f4
	s_load_b64 s[20:21], s[0:1], 0x510
	s_load_b32 s60, s[0:1], 0x51c
	s_load_b64 s[22:23], s[0:1], 0x6c
	s_load_b64 s[24:25], s[0:1], 0xd8
	;; [unrolled: 1-line block ×6, first 2 shown]
	s_waitcnt lgkmcnt(0)
	s_cmp_lg_u64 s[6:7], 0
	s_mov_b32 s41, 0
	s_cselect_b32 s39, -1, 0
	s_abs_i32 s40, s4
	s_abs_i32 s45, s33
	v_cvt_f32_u32_e32 v0, s40
	v_cvt_f32_u32_e32 v3, s45
	s_abs_i32 s42, s36
	s_sub_i32 s0, 0, s40
	v_cvt_f32_u32_e32 v2, s42
	v_rcp_iflag_f32_e32 v0, v0
	v_rcp_iflag_f32_e32 v3, v3
	s_abs_i32 s47, s58
	s_abs_i32 s48, s59
	v_rcp_iflag_f32_e32 v2, v2
	v_cvt_f32_u32_e32 v5, s47
	s_abs_i32 s46, s3
	s_abs_i32 s49, s60
	v_cvt_f32_u32_e32 v4, s46
	v_cvt_f32_u32_e32 v8, s49
	s_waitcnt_depctr 0xfff
	v_dual_mul_f32 v0, 0x4f7ffffe, v0 :: v_dual_mul_f32 v3, 0x4f7ffffe, v3
	v_rcp_iflag_f32_e32 v5, v5
	v_rcp_iflag_f32_e32 v4, v4
	v_mul_f32_e32 v2, 0x4f7ffffe, v2
	s_delay_alu instid0(VALU_DEP_2)
	v_cvt_u32_f32_e32 v0, v0
	v_cvt_u32_f32_e32 v3, v3
	v_rcp_iflag_f32_e32 v8, v8
	v_cvt_f32_u32_e32 v6, s48
	s_sub_i32 s1, 0, s46
	v_mul_lo_u32 v7, s0, v0
	s_sub_i32 s0, 0, s42
	v_mul_f32_e32 v5, 0x4f7ffffe, v5
	v_cvt_u32_f32_e32 v2, v2
	v_rcp_iflag_f32_e32 v6, v6
	s_mul_i32 s43, s2, s43
	s_ashr_i32 s44, s4, 31
	v_cvt_u32_f32_e32 v11, v5
	v_mul_hi_u32 v7, v0, v7
	v_mul_lo_u32 v9, s0, v2
	s_sub_i32 s0, 0, s45
	s_ashr_i32 s50, s36, 31
	s_ashr_i32 s51, s33, 31
	;; [unrolled: 1-line block ×5, first 2 shown]
	v_add_nc_u32_e32 v0, v0, v7
	v_mul_lo_u32 v7, s0, v3
	s_sub_i32 s0, 0, s47
	s_ashr_i32 s55, s60, 31
	v_mul_lo_u32 v5, s0, v11
	s_sub_i32 s0, 0, s49
	s_mul_i32 s56, s4, 3
	s_sub_i32 s57, 0, s4
	s_sub_i32 s58, 0, s58
	v_mul_hi_u32 v7, v3, v7
	v_mul_f32_e32 v4, 0x4f7ffffe, v4
	s_sub_i32 s59, 0, s59
	s_sub_i32 s60, 0, s60
	s_mov_b32 s61, 0xbbbac73d
	s_delay_alu instid0(VALU_DEP_1) | instskip(SKIP_1) | instid1(VALU_DEP_2)
	v_cvt_u32_f32_e32 v10, v4
	v_mul_hi_u32 v4, v2, v9
	v_mul_lo_u32 v9, s1, v10
	s_sub_i32 s1, 0, s48
	s_delay_alu instid0(VALU_DEP_2) | instskip(SKIP_2) | instid1(VALU_DEP_4)
	v_add_nc_u32_e32 v4, v2, v4
	v_mul_hi_u32 v2, v11, v5
	v_dual_mul_f32 v8, 0x4f7ffffe, v8 :: v_dual_add_nc_u32 v5, v3, v7
	v_mul_hi_u32 v9, v10, v9
	s_delay_alu instid0(VALU_DEP_3) | instskip(NEXT) | instid1(VALU_DEP_3)
	v_add_nc_u32_e32 v7, v11, v2
	v_cvt_u32_f32_e32 v13, v8
	s_delay_alu instid0(VALU_DEP_1) | instskip(NEXT) | instid1(VALU_DEP_1)
	v_mul_lo_u32 v8, s0, v13
	v_mul_hi_u32 v3, v13, v8
	v_mul_f32_e32 v6, 0x4f7ffffe, v6
	s_delay_alu instid0(VALU_DEP_1) | instskip(NEXT) | instid1(VALU_DEP_1)
	v_cvt_u32_f32_e32 v12, v6
	v_mul_lo_u32 v6, s1, v12
	s_delay_alu instid0(VALU_DEP_1) | instskip(SKIP_2) | instid1(VALU_DEP_3)
	v_mul_hi_u32 v14, v12, v6
	v_add_nc_u32_e32 v6, v10, v9
	v_add_nc_u32_e32 v9, v13, v3
	;; [unrolled: 1-line block ×3, first 2 shown]
	s_branch .LBB9_3
.LBB9_2:                                ;   in Loop: Header=BB9_3 Depth=1
	s_or_b32 exec_lo, exec_lo, s0
	v_mul_hi_u32 v30, v14, v6
	v_cvt_f32_f16_e32 v25, v25
	v_cvt_f32_f16_e32 v27, v27
	v_cvt_f32_f16_e32 v29, v32
	v_mul_hi_u32 v33, v11, v8
	v_mul_hi_u32 v34, v11, v9
	v_xor_b32_e32 v21, s52, v21
	v_xor_b32_e32 v19, s52, v19
	v_mul_lo_u32 v36, v30, s46
	v_xor_b32_e32 v20, s52, v20
	v_xor_b32_e32 v18, s52, v18
	;; [unrolled: 1-line block ×3, first 2 shown]
	v_mul_lo_u32 v46, v33, s48
	v_mul_lo_u32 v48, v34, s49
	v_sub_nc_u32_e32 v14, v14, v36
	s_delay_alu instid0(VALU_DEP_3) | instskip(NEXT) | instid1(VALU_DEP_2)
	v_sub_nc_u32_e32 v36, v11, v46
	v_cmp_le_u32_e32 vcc_lo, s46, v14
	v_add_f32_e32 v25, v25, v27
	v_cvt_f32_f16_e32 v27, v31
	v_mul_hi_u32 v31, v16, v6
	s_delay_alu instid0(VALU_DEP_3) | instskip(SKIP_1) | instid1(VALU_DEP_3)
	v_add_f32_e32 v25, v25, v29
	v_mul_hi_u32 v29, v15, v6
	v_mul_lo_u32 v42, v31, s46
	v_add_nc_u32_e32 v43, 1, v31
	s_delay_alu instid0(VALU_DEP_3) | instskip(SKIP_1) | instid1(VALU_DEP_4)
	v_mul_lo_u32 v38, v29, s46
	v_add_nc_u32_e32 v39, 1, v29
	v_sub_nc_u32_e32 v16, v16, v42
	s_delay_alu instid0(VALU_DEP_3) | instskip(SKIP_1) | instid1(VALU_DEP_3)
	v_sub_nc_u32_e32 v15, v15, v38
	v_sub_nc_u32_e32 v38, v11, v48
	v_cmp_le_u32_e64 s1, s46, v16
	s_delay_alu instid0(VALU_DEP_3) | instskip(NEXT) | instid1(VALU_DEP_2)
	v_cmp_le_u32_e64 s0, s46, v15
	v_cndmask_b32_e64 v31, v31, v43, s1
	s_delay_alu instid0(VALU_DEP_2) | instskip(SKIP_3) | instid1(VALU_DEP_3)
	v_cndmask_b32_e64 v29, v29, v39, s0
	v_add_f32_e32 v25, v25, v27
	v_mul_hi_u32 v27, v17, v6
	v_subrev_nc_u32_e32 v39, s46, v15
	v_cmp_ngt_f32_e64 s2, 0xc2b17218, v25
	s_delay_alu instid0(VALU_DEP_2) | instskip(NEXT) | instid1(VALU_DEP_4)
	v_cndmask_b32_e64 v15, v15, v39, s0
	v_mul_lo_u32 v44, v27, s46
	v_add_nc_u32_e32 v45, 1, v27
	s_delay_alu instid0(VALU_DEP_3) | instskip(NEXT) | instid1(VALU_DEP_3)
	v_cmp_le_u32_e64 s0, s46, v15
	v_sub_nc_u32_e32 v17, v17, v44
	v_mul_f32_e32 v35, 0xbfb8aa3b, v25
	s_delay_alu instid0(VALU_DEP_1) | instskip(SKIP_1) | instid1(VALU_DEP_2)
	v_fma_f32 v40, 0xbfb8aa3b, v25, -v35
	v_rndne_f32_e32 v41, v35
	v_dual_fmac_f32 v40, 0xb2a5705f, v25 :: v_dual_add_nc_u32 v37, 1, v30
	s_delay_alu instid0(VALU_DEP_2) | instskip(NEXT) | instid1(VALU_DEP_2)
	v_sub_f32_e32 v35, v35, v41
	v_cndmask_b32_e32 v11, v30, v37, vcc_lo
	v_cvt_i32_f32_e32 v30, v41
	v_subrev_nc_u32_e32 v37, s46, v14
	s_delay_alu instid0(VALU_DEP_1) | instskip(SKIP_1) | instid1(VALU_DEP_2)
	v_dual_add_f32 v35, v35, v40 :: v_dual_cndmask_b32 v14, v14, v37
	v_cmp_nlt_f32_e32 vcc_lo, 0x42ce8ed0, v25
	v_exp_f32_e32 v35, v35
	v_add_nc_u32_e32 v37, 1, v11
	s_waitcnt_depctr 0xfff
	v_ldexp_f32 v30, v35, v30
	v_subrev_nc_u32_e32 v35, s46, v16
	s_delay_alu instid0(VALU_DEP_2) | instskip(NEXT) | instid1(VALU_DEP_2)
	v_cndmask_b32_e32 v30, 0, v30, vcc_lo
	v_cndmask_b32_e64 v16, v16, v35, s1
	v_cmp_le_u32_e32 vcc_lo, s46, v17
	s_delay_alu instid0(VALU_DEP_3) | instskip(SKIP_4) | instid1(VALU_DEP_4)
	v_cndmask_b32_e64 v25, 0x7f800000, v30, s2
	v_cmp_le_u32_e64 s2, s46, v14
	v_add_nc_u32_e32 v30, 1, v29
	v_subrev_nc_u32_e32 v14, s46, v17
	v_cndmask_b32_e32 v27, v27, v45, vcc_lo
	v_cndmask_b32_e64 v11, v11, v37, s2
	s_delay_alu instid0(VALU_DEP_3) | instskip(NEXT) | instid1(VALU_DEP_3)
	v_dual_cndmask_b32 v14, v17, v14 :: v_dual_add_nc_u32 v37, 1, v31
	v_add_nc_u32_e32 v17, 1, v27
	s_delay_alu instid0(VALU_DEP_3) | instskip(NEXT) | instid1(VALU_DEP_3)
	v_xor_b32_e32 v11, v11, v21
	v_cmp_le_u32_e64 s1, s46, v14
	s_delay_alu instid0(VALU_DEP_2) | instskip(SKIP_2) | instid1(VALU_DEP_3)
	v_sub_nc_u32_e32 v21, v11, v21
	v_cndmask_b32_e64 v11, v29, v30, s0
	v_cmp_le_u32_e64 s0, s46, v16
	v_mul_lo_u32 v29, v21, s3
	s_delay_alu instid0(VALU_DEP_3) | instskip(NEXT) | instid1(VALU_DEP_3)
	v_xor_b32_e32 v11, v11, v19
	v_cndmask_b32_e64 v16, v31, v37, s0
	v_cmp_le_u32_e64 s0, s48, v36
	s_delay_alu instid0(VALU_DEP_3) | instskip(NEXT) | instid1(VALU_DEP_3)
	v_sub_nc_u32_e32 v19, v11, v19
	v_xor_b32_e32 v16, v16, v20
	v_sub_nc_u32_e32 v11, v12, v29
	v_cndmask_b32_e64 v12, v27, v17, s1
	s_delay_alu instid0(VALU_DEP_4) | instskip(NEXT) | instid1(VALU_DEP_4)
	v_mul_lo_u32 v14, v19, s3
	v_sub_nc_u32_e32 v17, v16, v20
	v_subrev_nc_u32_e32 v20, s48, v36
	s_delay_alu instid0(VALU_DEP_4) | instskip(SKIP_1) | instid1(VALU_DEP_4)
	v_xor_b32_e32 v12, v12, v18
	v_add_nc_u32_e32 v11, v1, v11
	v_mul_lo_u32 v27, v17, s3
	v_sub_nc_u32_e32 v2, v2, v14
	v_cndmask_b32_e64 v14, v36, v20, s0
	v_sub_nc_u32_e32 v20, v12, v18
	v_mul_lo_u32 v11, v11, s35
	s_delay_alu instid0(VALU_DEP_4) | instskip(SKIP_3) | instid1(VALU_DEP_4)
	v_add_nc_u32_e32 v2, v1, v2
	v_sub_nc_u32_e32 v18, v13, v27
	v_subrev_nc_u32_e32 v27, s49, v38
	v_add_f32_e32 v25, 1.0, v25
	v_mul_lo_u32 v2, v2, s35
	v_mad_u64_u32 v[12:13], null, v21, s34, v[11:12]
	s_delay_alu instid0(VALU_DEP_3) | instskip(SKIP_2) | instid1(VALU_DEP_3)
	v_div_scale_f32 v35, null, v25, v25, 1.0
	v_div_scale_f32 v29, vcc_lo, 1.0, v25, 1.0
	v_add_nc_u32_e32 v21, 1, v34
	v_rcp_f32_e32 v15, v35
	s_waitcnt_depctr 0xfff
	v_fma_f32 v31, -v35, v15, 1.0
	s_delay_alu instid0(VALU_DEP_1) | instskip(NEXT) | instid1(VALU_DEP_1)
	v_fmac_f32_e32 v15, v31, v15
	v_mul_f32_e32 v16, v29, v15
	s_delay_alu instid0(VALU_DEP_1) | instskip(NEXT) | instid1(VALU_DEP_1)
	v_fma_f32 v31, -v35, v16, v29
	v_dual_fmac_f32 v16, v31, v15 :: v_dual_add_nc_u32 v47, 1, v33
	s_delay_alu instid0(VALU_DEP_1) | instskip(SKIP_2) | instid1(VALU_DEP_4)
	v_cndmask_b32_e64 v30, v33, v47, s0
	v_cmp_le_u32_e64 s0, s48, v14
	v_add_nc_u32_e32 v14, v1, v18
	v_fma_f32 v11, -v35, v16, v29
	s_delay_alu instid0(VALU_DEP_4) | instskip(NEXT) | instid1(VALU_DEP_2)
	v_add_nc_u32_e32 v13, 1, v30
	v_div_fmas_f32 v11, v11, v15, v16
	v_cmp_le_u32_e32 vcc_lo, s49, v38
	s_delay_alu instid0(VALU_DEP_3) | instskip(SKIP_2) | instid1(VALU_DEP_3)
	v_cndmask_b32_e64 v13, v30, v13, s0
	v_cndmask_b32_e32 v15, v34, v21, vcc_lo
	v_cndmask_b32_e32 v16, v38, v27, vcc_lo
	v_xor_b32_e32 v13, v13, v32
	v_mul_lo_u32 v21, v20, s3
	v_xor_b32_e32 v27, s55, v10
	v_add_nc_u32_e32 v18, 1, v15
	v_cmp_le_u32_e32 vcc_lo, s49, v16
	v_mul_lo_u32 v10, v14, s35
	v_sub_nc_u32_e32 v29, v13, v32
	v_ashrrev_i32_e32 v13, 31, v12
	v_div_fixup_f32 v25, v11, v25, 1.0
	v_cndmask_b32_e32 v15, v15, v18, vcc_lo
	v_sub_nc_u32_e32 v21, v3, v21
	s_delay_alu instid0(VALU_DEP_2) | instskip(SKIP_3) | instid1(VALU_DEP_4)
	v_xor_b32_e32 v18, v15, v27
	v_mad_u64_u32 v[14:15], null, s59, v29, v[1:2]
	v_mad_u64_u32 v[15:16], null, v19, s34, v[2:3]
	v_mad_u64_u32 v[2:3], null, v17, s34, v[10:11]
	v_sub_nc_u32_e32 v27, v18, v27
	v_lshlrev_b64 v[11:12], 1, v[12:13]
	v_mul_lo_u32 v10, v14, s27
	v_add_nc_u32_e32 v19, v1, v21
	v_ashrrev_i32_e32 v16, 31, v15
	v_mad_u64_u32 v[17:18], null, s60, v27, v[1:2]
	s_delay_alu instid0(VALU_DEP_3) | instskip(NEXT) | instid1(VALU_DEP_3)
	v_mul_lo_u32 v13, v19, s35
	v_lshlrev_b64 v[14:15], 1, v[15:16]
	v_mad_u64_u32 v[18:19], null, v29, s26, v[10:11]
	v_add_co_u32 v11, vcc_lo, s30, v11
	v_mul_lo_u32 v10, v17, s29
	v_ashrrev_i32_e32 v3, 31, v2
	v_mad_u64_u32 v[16:17], null, v20, s34, v[13:14]
	v_ashrrev_i32_e32 v19, 31, v18
	v_add_co_ci_u32_e32 v12, vcc_lo, s31, v12, vcc_lo
	s_delay_alu instid0(VALU_DEP_4)
	v_lshlrev_b64 v[2:3], 1, v[2:3]
	v_mad_u64_u32 v[20:21], null, v27, s28, v[10:11]
	v_add_co_u32 v13, vcc_lo, s30, v14
	v_lshlrev_b64 v[18:19], 1, v[18:19]
	v_ashrrev_i32_e32 v17, 31, v16
	v_add_co_ci_u32_e32 v14, vcc_lo, s31, v15, vcc_lo
	v_ashrrev_i32_e32 v21, 31, v20
	v_add_co_u32 v2, vcc_lo, s30, v2
	v_add_co_ci_u32_e32 v3, vcc_lo, s31, v3, vcc_lo
	s_delay_alu instid0(VALU_DEP_3)
	v_lshlrev_b64 v[20:21], 1, v[20:21]
	v_lshlrev_b64 v[15:16], 1, v[16:17]
	v_add_co_u32 v17, vcc_lo, s18, v18
	v_bfi_b32 v10, 0x7fffffff, v28, v26
	v_add_co_ci_u32_e32 v18, vcc_lo, s19, v19, vcc_lo
	v_add_co_u32 v19, vcc_lo, s20, v20
	v_add_nc_u32_e32 v1, s43, v1
	v_add_co_ci_u32_e32 v20, vcc_lo, s21, v21, vcc_lo
	v_fma_mixlo_f16 v10, v25, v10, 0
	v_add_co_u32 v15, vcc_lo, s30, v15
	v_cvt_f16_f32_e32 v21, v26
	v_add_co_ci_u32_e32 v16, vcc_lo, s31, v16, vcc_lo
	v_cmp_le_i32_e32 vcc_lo, s5, v1
	global_store_b16 v[17:18], v10, off
	global_store_b16 v[19:20], v21, off
	v_cvt_f16_f32_e32 v10, v23
	v_cvt_f16_f32_e32 v18, v22
	;; [unrolled: 1-line block ×4, first 2 shown]
	s_or_b32 s41, vcc_lo, s41
	s_clause 0x3
	global_store_b16 v[11:12], v10, off
	global_store_b16 v[13:14], v17, off
	;; [unrolled: 1-line block ×4, first 2 shown]
	s_and_not1_b32 exec_lo, exec_lo, s41
	s_cbranch_execz .LBB9_13
.LBB9_3:                                ; =>This Inner Loop Header: Depth=1
	v_sub_nc_u32_e32 v2, 0, v1
	s_delay_alu instid0(VALU_DEP_1) | instskip(NEXT) | instid1(VALU_DEP_1)
	v_max_i32_e32 v11, v1, v2
	v_mul_hi_u32 v2, v11, v0
	s_delay_alu instid0(VALU_DEP_1) | instskip(NEXT) | instid1(VALU_DEP_1)
	v_mul_lo_u32 v3, v2, s40
	v_sub_nc_u32_e32 v3, v11, v3
	s_delay_alu instid0(VALU_DEP_1) | instskip(SKIP_1) | instid1(VALU_DEP_2)
	v_subrev_nc_u32_e32 v12, s40, v3
	v_cmp_le_u32_e32 vcc_lo, s40, v3
	v_dual_cndmask_b32 v3, v3, v12 :: v_dual_add_nc_u32 v10, 1, v2
	s_delay_alu instid0(VALU_DEP_1) | instskip(SKIP_1) | instid1(VALU_DEP_3)
	v_cndmask_b32_e32 v2, v2, v10, vcc_lo
	v_ashrrev_i32_e32 v10, 31, v1
	v_cmp_le_u32_e32 vcc_lo, s40, v3
	s_delay_alu instid0(VALU_DEP_3) | instskip(NEXT) | instid1(VALU_DEP_3)
	v_add_nc_u32_e32 v12, 1, v2
	v_xor_b32_e32 v22, s44, v10
	s_delay_alu instid0(VALU_DEP_2) | instskip(NEXT) | instid1(VALU_DEP_1)
	v_cndmask_b32_e32 v2, v2, v12, vcc_lo
	v_xor_b32_e32 v23, v2, v22
	v_mul_i32_i24_e32 v2, 3, v22
	s_delay_alu instid0(VALU_DEP_2) | instskip(SKIP_1) | instid1(VALU_DEP_2)
	v_sub_nc_u32_e32 v24, v23, v22
	v_lshl_add_u32 v3, v23, 1, v23
	v_mul_lo_u32 v12, s56, v24
	s_delay_alu instid0(VALU_DEP_2) | instskip(NEXT) | instid1(VALU_DEP_1)
	v_sub_nc_u32_e32 v13, v3, v2
	v_add_nc_u32_e32 v15, 3, v13
	v_mad_u64_u32 v[2:3], null, s4, v13, s[4:5]
	v_add_nc_u32_e32 v3, 2, v13
	v_add_nc_u32_e32 v14, v1, v12
	s_delay_alu instid0(VALU_DEP_2) | instskip(NEXT) | instid1(VALU_DEP_2)
	v_mul_lo_u32 v13, s4, v3
	v_ashrrev_i32_e32 v21, 31, v14
	v_add_nc_u32_e32 v14, v1, v2
	v_mul_lo_u32 v3, s4, v15
	s_delay_alu instid0(VALU_DEP_3) | instskip(NEXT) | instid1(VALU_DEP_3)
	v_add3_u32 v15, v21, v12, v1
	v_ashrrev_i32_e32 v19, 31, v14
	v_add_nc_u32_e32 v16, v1, v13
	v_xor_b32_e32 v25, s50, v21
	v_xor_b32_e32 v27, s51, v21
	;; [unrolled: 1-line block ×3, first 2 shown]
	v_add3_u32 v15, v19, v2, v1
	v_ashrrev_i32_e32 v20, 31, v16
	v_xor_b32_e32 v26, s50, v19
	v_xor_b32_e32 v35, s51, v19
	v_mul_hi_u32 v28, v14, v4
	v_xor_b32_e32 v15, v15, v19
	v_add3_u32 v16, v20, v13, v1
	v_mul_hi_u32 v31, v14, v5
	v_xor_b32_e32 v29, s50, v20
	v_xor_b32_e32 v36, s51, v20
	v_mul_hi_u32 v32, v15, v4
	v_xor_b32_e32 v16, v16, v20
	v_mul_lo_u32 v34, v28, s42
	v_mul_hi_u32 v33, v15, v5
	v_mul_lo_u32 v38, v31, s45
	s_delay_alu instid0(VALU_DEP_4)
	v_mul_hi_u32 v40, v16, v4
	v_mul_hi_u32 v42, v16, v5
	v_mul_lo_u32 v44, v32, s42
	v_sub_nc_u32_e32 v34, v14, v34
	v_mul_lo_u32 v46, v33, s45
	v_sub_nc_u32_e32 v38, v14, v38
	v_mul_lo_u32 v48, v40, s42
	s_delay_alu instid0(VALU_DEP_4)
	v_cmp_le_u32_e32 vcc_lo, s42, v34
	v_sub_nc_u32_e32 v44, v15, v44
	v_add_nc_u32_e32 v49, 1, v40
	v_add_nc_u32_e32 v45, 1, v32
	;; [unrolled: 1-line block ×4, first 2 shown]
	v_cmp_le_u32_e64 s0, s45, v38
	v_mul_lo_u32 v52, v42, s45
	v_sub_nc_u32_e32 v48, v16, v48
	v_cndmask_b32_e32 v28, v28, v37, vcc_lo
	v_ashrrev_i32_e32 v18, 31, v17
	v_subrev_nc_u32_e32 v37, s42, v34
	v_add_nc_u32_e32 v39, 1, v31
	v_sub_nc_u32_e32 v46, v15, v46
	s_delay_alu instid0(VALU_DEP_4) | instskip(NEXT) | instid1(VALU_DEP_4)
	v_add3_u32 v17, v18, v3, v1
	v_cndmask_b32_e32 v34, v34, v37, vcc_lo
	s_delay_alu instid0(VALU_DEP_4)
	v_cndmask_b32_e64 v31, v31, v39, s0
	v_subrev_nc_u32_e32 v39, s45, v38
	v_cmp_le_u32_e32 vcc_lo, s42, v44
	v_xor_b32_e32 v17, v17, v18
	v_sub_nc_u32_e32 v52, v16, v52
	v_add_nc_u32_e32 v37, 1, v28
	v_cndmask_b32_e64 v38, v38, v39, s0
	v_cndmask_b32_e32 v32, v32, v45, vcc_lo
	v_mul_hi_u32 v41, v17, v4
	v_mul_hi_u32 v43, v17, v5
	v_subrev_nc_u32_e32 v45, s42, v44
	v_cmp_le_u32_e64 s1, s42, v34
	v_cmp_le_u32_e64 s2, s45, v38
	v_xor_b32_e32 v30, s50, v18
	v_cmp_le_u32_e64 s0, s45, v46
	v_cndmask_b32_e32 v34, v44, v45, vcc_lo
	v_mul_lo_u32 v50, v41, s42
	v_mul_lo_u32 v54, v43, s45
	v_cmp_le_u32_e32 vcc_lo, s42, v48
	v_subrev_nc_u32_e32 v44, s42, v48
	v_add_nc_u32_e32 v47, 1, v33
	v_cndmask_b32_e64 v28, v28, v37, s1
	v_dual_cndmask_b32 v40, v40, v49 :: v_dual_add_nc_u32 v37, 1, v32
	v_sub_nc_u32_e32 v50, v17, v50
	v_sub_nc_u32_e32 v54, v17, v54
	v_add_nc_u32_e32 v39, 1, v31
	v_xor_b32_e32 v28, v28, v25
	s_delay_alu instid0(VALU_DEP_4) | instskip(SKIP_1) | instid1(VALU_DEP_4)
	v_cmp_le_u32_e64 s1, s42, v50
	v_subrev_nc_u32_e32 v45, s42, v50
	v_cndmask_b32_e64 v31, v31, v39, s2
	v_cmp_le_u32_e64 s2, s42, v34
	v_cndmask_b32_e32 v34, v48, v44, vcc_lo
	v_sub_nc_u32_e32 v44, v28, v25
	v_cndmask_b32_e64 v38, v50, v45, s1
	v_cndmask_b32_e64 v33, v33, v47, s0
	;; [unrolled: 1-line block ×3, first 2 shown]
	v_add_nc_u32_e32 v37, 1, v40
	v_cmp_le_u32_e32 vcc_lo, s42, v34
	v_add_nc_u32_e32 v53, 1, v42
	v_mul_lo_u32 v34, v44, s36
	v_xor_b32_e32 v25, v32, v26
	v_subrev_nc_u32_e32 v47, s45, v46
	v_cndmask_b32_e32 v28, v40, v37, vcc_lo
	v_cmp_le_u32_e32 vcc_lo, s42, v38
	v_add_nc_u32_e32 v51, 1, v41
	v_sub_nc_u32_e32 v37, v25, v26
	v_cndmask_b32_e64 v26, v46, v47, s0
	v_xor_b32_e32 v25, v28, v29
	v_add_nc_u32_e32 v28, 1, v33
	v_cndmask_b32_e64 v41, v41, v51, s1
	v_mul_lo_u32 v38, v37, s36
	v_cmp_le_u32_e64 s0, s45, v26
	v_xor_b32_e32 v31, v31, v27
	s_delay_alu instid0(VALU_DEP_4) | instskip(NEXT) | instid1(VALU_DEP_3)
	v_add_nc_u32_e32 v39, 1, v41
	v_cndmask_b32_e64 v33, v33, v28, s0
	s_delay_alu instid0(VALU_DEP_3) | instskip(NEXT) | instid1(VALU_DEP_3)
	v_sub_nc_u32_e32 v45, v31, v27
	v_cndmask_b32_e32 v32, v41, v39, vcc_lo
	v_sub_nc_u32_e32 v39, v25, v29
	v_sub_nc_u32_e32 v25, v12, v34
	v_cmp_le_u32_e32 vcc_lo, s45, v52
	v_subrev_nc_u32_e32 v29, s45, v52
	v_xor_b32_e32 v32, v32, v30
	v_add_nc_u32_e32 v55, 1, v43
	v_add_nc_u32_e32 v25, v1, v25
	v_cndmask_b32_e32 v40, v42, v53, vcc_lo
	v_cndmask_b32_e32 v42, v52, v29, vcc_lo
	v_sub_nc_u32_e32 v41, v32, v30
	v_sub_nc_u32_e32 v32, v2, v38
	v_mul_lo_u32 v30, v39, s36
	v_mul_lo_u32 v25, v25, s23
	v_subrev_nc_u32_e32 v38, s45, v54
	v_mul_lo_u32 v34, v41, s36
	v_add_nc_u32_e32 v32, v1, v32
	v_cmp_le_u32_e64 s0, s45, v42
	v_sub_nc_u32_e32 v30, v13, v30
	s_delay_alu instid0(VALU_DEP_3) | instskip(SKIP_2) | instid1(VALU_DEP_4)
	v_mul_lo_u32 v26, v32, s23
	v_sub_nc_u32_e32 v29, v3, v34
	v_mul_lo_u32 v34, v45, s33
	v_add_nc_u32_e32 v30, v1, v30
	s_delay_alu instid0(VALU_DEP_4) | instskip(NEXT) | instid1(VALU_DEP_4)
	v_mad_u64_u32 v[27:28], null, v44, s22, v[25:26]
	v_add_nc_u32_e32 v28, v1, v29
	s_delay_alu instid0(VALU_DEP_3) | instskip(SKIP_1) | instid1(VALU_DEP_4)
	v_mul_lo_u32 v25, v30, s23
	v_sub_nc_u32_e32 v44, v12, v34
	v_mad_u64_u32 v[29:30], null, v37, s22, v[26:27]
	s_delay_alu instid0(VALU_DEP_4) | instskip(SKIP_2) | instid1(VALU_DEP_2)
	v_mul_lo_u32 v26, v28, s23
	v_ashrrev_i32_e32 v28, 31, v27
	v_add_nc_u32_e32 v37, 1, v40
	v_lshlrev_b64 v[27:28], 1, v[27:28]
	v_ashrrev_i32_e32 v30, 31, v29
	v_mad_u64_u32 v[31:32], null, v39, s22, v[25:26]
	v_xor_b32_e32 v39, v33, v35
	s_delay_alu instid0(VALU_DEP_4) | instskip(NEXT) | instid1(VALU_DEP_4)
	v_mad_u64_u32 v[33:34], null, v41, s22, v[26:27]
	v_lshlrev_b64 v[25:26], 1, v[29:30]
	v_add_co_u32 v27, vcc_lo, s10, v27
	v_ashrrev_i32_e32 v32, 31, v31
	v_add_co_ci_u32_e32 v28, vcc_lo, s11, v28, vcc_lo
	s_delay_alu instid0(VALU_DEP_4) | instskip(NEXT) | instid1(VALU_DEP_3)
	v_add_co_u32 v25, vcc_lo, s10, v25
	v_lshlrev_b64 v[29:30], 1, v[31:32]
	v_add_co_ci_u32_e32 v26, vcc_lo, s11, v26, vcc_lo
	v_sub_nc_u32_e32 v41, v39, v35
	v_xor_b32_e32 v39, s51, v18
	s_delay_alu instid0(VALU_DEP_4)
	v_add_co_u32 v31, vcc_lo, s10, v29
	v_add_co_ci_u32_e32 v32, vcc_lo, s11, v30, vcc_lo
	v_cmp_le_u32_e32 vcc_lo, s45, v54
	v_cndmask_b32_e64 v30, v40, v37, s0
	v_mul_hi_u32 v37, v11, v7
	v_dual_cndmask_b32 v29, v43, v55 :: v_dual_cndmask_b32 v34, v54, v38
	s_delay_alu instid0(VALU_DEP_3) | instskip(SKIP_1) | instid1(VALU_DEP_3)
	v_xor_b32_e32 v30, v30, v36
	v_mul_lo_u32 v38, v41, s33
	v_add_nc_u32_e32 v35, 1, v29
	s_delay_alu instid0(VALU_DEP_4) | instskip(NEXT) | instid1(VALU_DEP_4)
	v_cmp_le_u32_e32 vcc_lo, s45, v34
	v_sub_nc_u32_e32 v43, v30, v36
	v_ashrrev_i32_e32 v34, 31, v33
	v_add_nc_u32_e32 v36, v1, v44
	v_cndmask_b32_e32 v29, v29, v35, vcc_lo
	v_mul_lo_u32 v35, v37, s47
	v_mul_lo_u32 v42, v43, s33
	v_sub_nc_u32_e32 v38, v2, v38
	s_delay_alu instid0(VALU_DEP_4) | instskip(SKIP_2) | instid1(VALU_DEP_4)
	v_xor_b32_e32 v40, v29, v39
	v_lshlrev_b64 v[29:30], 1, v[33:34]
	v_mul_lo_u32 v33, v36, s9
	v_add_nc_u32_e32 v38, v1, v38
	v_sub_nc_u32_e32 v34, v11, v35
	v_sub_nc_u32_e32 v44, v40, v39
	v_add_nc_u32_e32 v35, 1, v37
	v_sub_nc_u32_e32 v39, v13, v42
	s_delay_alu instid0(VALU_DEP_4) | instskip(SKIP_2) | instid1(VALU_DEP_4)
	v_subrev_nc_u32_e32 v42, s47, v34
	v_cmp_le_u32_e32 vcc_lo, s47, v34
	v_mul_lo_u32 v40, v44, s33
	v_add_nc_u32_e32 v39, v1, v39
	v_cndmask_b32_e32 v37, v37, v35, vcc_lo
	v_mad_u64_u32 v[35:36], null, v45, s8, v[33:34]
	v_cndmask_b32_e32 v34, v34, v42, vcc_lo
	v_xor_b32_e32 v42, s53, v10
	s_delay_alu instid0(VALU_DEP_4) | instskip(SKIP_3) | instid1(VALU_DEP_4)
	v_add_nc_u32_e32 v36, 1, v37
	v_mul_lo_u32 v33, v38, s9
	v_sub_nc_u32_e32 v40, v3, v40
	v_cmp_le_u32_e32 vcc_lo, s47, v34
	v_cndmask_b32_e32 v34, v37, v36, vcc_lo
	v_add_co_u32 v37, vcc_lo, s10, v29
	v_add_co_ci_u32_e32 v38, vcc_lo, s11, v30, vcc_lo
	s_delay_alu instid0(VALU_DEP_3) | instskip(SKIP_3) | instid1(VALU_DEP_4)
	v_xor_b32_e32 v30, v34, v42
	v_mul_lo_u32 v29, v39, s9
	v_add_nc_u32_e32 v34, v1, v40
	v_ashrrev_i32_e32 v36, 31, v35
	v_sub_nc_u32_e32 v45, v30, v42
	s_delay_alu instid0(VALU_DEP_3) | instskip(SKIP_2) | instid1(VALU_DEP_4)
	v_mad_u64_u32 v[39:40], null, v41, s8, v[33:34]
	v_mad_u64_u32 v[41:42], null, v43, s8, v[29:30]
	v_mul_lo_u32 v29, v34, s9
	v_mad_u64_u32 v[33:34], null, s58, v45, v[1:2]
	s_clause 0x3
	global_load_u16 v30, v[27:28], off
	global_load_u16 v28, v[25:26], off
	;; [unrolled: 1-line block ×4, first 2 shown]
	v_ashrrev_i32_e32 v40, 31, v39
	v_lshlrev_b64 v[26:27], 1, v[35:36]
	v_ashrrev_i32_e32 v42, 31, v41
	v_mul_lo_u32 v31, v33, s17
	s_delay_alu instid0(VALU_DEP_4) | instskip(NEXT) | instid1(VALU_DEP_4)
	v_lshlrev_b64 v[35:36], 1, v[39:40]
	v_add_co_u32 v26, vcc_lo, s24, v26
	s_delay_alu instid0(VALU_DEP_4) | instskip(SKIP_1) | instid1(VALU_DEP_4)
	v_lshlrev_b64 v[39:40], 1, v[41:42]
	v_add_co_ci_u32_e32 v27, vcc_lo, s25, v27, vcc_lo
	v_add_co_u32 v35, vcc_lo, s24, v35
	v_add_co_ci_u32_e32 v36, vcc_lo, s25, v36, vcc_lo
	s_delay_alu instid0(VALU_DEP_4) | instskip(SKIP_4) | instid1(VALU_DEP_1)
	v_add_co_u32 v39, vcc_lo, s24, v39
	v_add_co_ci_u32_e32 v40, vcc_lo, s25, v40, vcc_lo
	v_mov_b32_e32 v41, 0
	s_waitcnt vmcnt(3)
	v_mad_u64_u32 v[32:33], null, v44, s8, v[29:30]
	v_mad_u64_u32 v[37:38], null, v45, s16, v[31:32]
	v_ashrrev_i32_e32 v33, 31, v32
	s_delay_alu instid0(VALU_DEP_1) | instskip(NEXT) | instid1(VALU_DEP_3)
	v_lshlrev_b64 v[31:32], 1, v[32:33]
	v_ashrrev_i32_e32 v38, 31, v37
	s_delay_alu instid0(VALU_DEP_1) | instskip(NEXT) | instid1(VALU_DEP_3)
	v_lshlrev_b64 v[37:38], 1, v[37:38]
	v_add_co_u32 v31, vcc_lo, s24, v31
	s_delay_alu instid0(VALU_DEP_4) | instskip(NEXT) | instid1(VALU_DEP_3)
	v_add_co_ci_u32_e32 v32, vcc_lo, s25, v32, vcc_lo
	v_add_co_u32 v37, vcc_lo, s14, v37
	s_delay_alu instid0(VALU_DEP_4)
	v_add_co_ci_u32_e32 v38, vcc_lo, s15, v38, vcc_lo
	s_clause 0x3
	global_load_u16 v33, v[26:27], off
	global_load_u16 v29, v[35:36], off
	global_load_u16 v35, v[39:40], off
	global_load_u16 v27, v[31:32], off
	global_load_u16 v26, v[37:38], off
	v_dual_mov_b32 v38, 0 :: v_dual_mov_b32 v31, 0
	v_mov_b32_e32 v40, 0
	v_dual_mov_b32 v36, 0 :: v_dual_mov_b32 v37, 0
	v_dual_mov_b32 v32, 0 :: v_dual_mov_b32 v39, 0
	s_and_not1_b32 vcc_lo, exec_lo, s39
	s_cbranch_vccnz .LBB9_5
; %bb.4:                                ;   in Loop: Header=BB9_3 Depth=1
	v_sub_nc_u32_e32 v31, v22, v23
	v_mad_u64_u32 v[22:23], null, s57, v24, v[1:2]
	s_delay_alu instid0(VALU_DEP_2) | instskip(SKIP_2) | instid1(VALU_DEP_4)
	v_mul_lo_u32 v24, s4, v31
	v_add_nc_u32_e32 v36, 2, v31
	v_add_nc_u32_e32 v38, 3, v31
	v_mul_lo_u32 v23, v22, s37
	s_delay_alu instid0(VALU_DEP_3) | instskip(SKIP_1) | instid1(VALU_DEP_4)
	v_mad_u64_u32 v[31:32], null, s4, v36, v[1:2]
	v_add3_u32 v32, v24, s4, v1
	v_mad_u64_u32 v[36:37], null, s4, v38, v[1:2]
	v_mul_lo_u32 v37, v22, s38
	v_ashrrev_i32_e32 v24, 31, v23
	s_delay_alu instid0(VALU_DEP_4)
	v_mul_lo_u32 v39, v32, s37
	v_mul_lo_u32 v22, v31, s37
	;; [unrolled: 1-line block ×5, first 2 shown]
	v_lshlrev_b64 v[43:44], 1, v[23:24]
	v_ashrrev_i32_e32 v38, 31, v37
	v_mul_lo_u32 v36, v36, s38
	v_ashrrev_i32_e32 v40, 31, v39
	v_ashrrev_i32_e32 v23, 31, v22
	;; [unrolled: 1-line block ×3, first 2 shown]
	v_add_co_u32 v43, vcc_lo, s6, v43
	s_delay_alu instid0(VALU_DEP_4) | instskip(SKIP_4) | instid1(VALU_DEP_4)
	v_lshlrev_b64 v[39:40], 1, v[39:40]
	v_ashrrev_i32_e32 v42, 31, v41
	v_lshlrev_b64 v[22:23], 1, v[22:23]
	v_add_co_ci_u32_e32 v44, vcc_lo, s7, v44, vcc_lo
	v_lshlrev_b64 v[37:38], 1, v[37:38]
	v_lshlrev_b64 v[41:42], 1, v[41:42]
	v_add_co_u32 v47, vcc_lo, s6, v39
	v_add_co_ci_u32_e32 v48, vcc_lo, s7, v40, vcc_lo
	v_add_co_u32 v22, vcc_lo, s6, v22
	v_add_co_ci_u32_e32 v23, vcc_lo, s7, v23, vcc_lo
	v_add_co_u32 v49, vcc_lo, s6, v41
	v_ashrrev_i32_e32 v32, 31, v31
	v_add_co_ci_u32_e32 v50, vcc_lo, s7, v42, vcc_lo
	v_lshlrev_b64 v[39:40], 1, v[45:46]
	v_add_co_u32 v45, vcc_lo, s12, v37
	v_ashrrev_i32_e32 v37, 31, v36
	v_lshlrev_b64 v[31:32], 1, v[31:32]
	v_add_co_ci_u32_e32 v46, vcc_lo, s13, v38, vcc_lo
	v_add_co_u32 v51, vcc_lo, s12, v39
	s_delay_alu instid0(VALU_DEP_4) | instskip(SKIP_3) | instid1(VALU_DEP_4)
	v_lshlrev_b64 v[36:37], 1, v[36:37]
	v_add_co_ci_u32_e32 v52, vcc_lo, s13, v40, vcc_lo
	v_add_co_u32 v53, vcc_lo, s12, v31
	v_add_co_ci_u32_e32 v54, vcc_lo, s13, v32, vcc_lo
	v_add_co_u32 v55, vcc_lo, s12, v36
	v_add_co_ci_u32_e32 v56, vcc_lo, s13, v37, vcc_lo
	s_clause 0x3
	global_load_u16 v39, v[43:44], off
	global_load_u16 v38, v[47:48], off
	;; [unrolled: 1-line block ×4, first 2 shown]
	s_clause 0x3
	global_load_u16 v37, v[45:46], off
	global_load_u16 v36, v[51:52], off
	;; [unrolled: 1-line block ×4, first 2 shown]
.LBB9_5:                                ;   in Loop: Header=BB9_3 Depth=1
	s_waitcnt vmcnt(6)
	v_cvt_f32_f16_e32 v22, v34
	s_waitcnt vmcnt(2)
	v_cvt_f32_f16_e32 v23, v35
	v_cvt_f32_f16_e32 v24, v41
	s_delay_alu instid0(VALU_DEP_2) | instskip(SKIP_2) | instid1(VALU_DEP_2)
	v_add_f32_e32 v22, v22, v23
	s_waitcnt vmcnt(1)
	v_cvt_f32_f16_e32 v23, v40
	v_add_f32_e32 v22, v22, v24
                                        ; implicit-def: $vgpr24
	s_delay_alu instid0(VALU_DEP_1) | instskip(NEXT) | instid1(VALU_DEP_1)
	v_add_f32_e32 v22, v22, v23
	v_cmp_ngt_f32_e64 s0, 0x3f200000, |v22|
	s_delay_alu instid0(VALU_DEP_1) | instskip(NEXT) | instid1(SALU_CYCLE_1)
	s_and_saveexec_b32 s1, s0
	s_xor_b32 s0, exec_lo, s1
	s_cbranch_execz .LBB9_7
; %bb.6:                                ;   in Loop: Header=BB9_3 Depth=1
	v_add_f32_e64 v23, |v22|, |v22|
	s_delay_alu instid0(VALU_DEP_1) | instskip(SKIP_1) | instid1(VALU_DEP_2)
	v_mul_f32_e32 v24, 0x3fb8aa3b, v23
	v_cmp_ngt_f32_e32 vcc_lo, 0xc2ce8ed0, v23
	v_rndne_f32_e32 v34, v24
	v_fma_f32 v35, 0x3fb8aa3b, v23, -v24
	s_delay_alu instid0(VALU_DEP_1) | instskip(SKIP_1) | instid1(VALU_DEP_2)
	v_dual_sub_f32 v24, v24, v34 :: v_dual_fmac_f32 v35, 0x32a5705f, v23
	v_cvt_i32_f32_e32 v34, v34
	v_add_f32_e32 v24, v24, v35
	s_delay_alu instid0(VALU_DEP_1) | instskip(SKIP_2) | instid1(VALU_DEP_1)
	v_exp_f32_e32 v24, v24
	s_waitcnt_depctr 0xfff
	v_ldexp_f32 v24, v24, v34
	v_cndmask_b32_e32 v24, 0, v24, vcc_lo
	v_cmp_nlt_f32_e32 vcc_lo, 0x42b17218, v23
	s_delay_alu instid0(VALU_DEP_2) | instskip(NEXT) | instid1(VALU_DEP_1)
	v_cndmask_b32_e32 v23, 0x7f800000, v24, vcc_lo
	v_add_f32_e32 v23, 1.0, v23
	s_delay_alu instid0(VALU_DEP_1)
	v_rcp_f32_e32 v23, v23
	s_waitcnt_depctr 0xfff
	v_fma_f32 v24, v23, -2.0, 1.0
.LBB9_7:                                ;   in Loop: Header=BB9_3 Depth=1
	s_and_not1_saveexec_b32 s0, s0
; %bb.8:                                ;   in Loop: Header=BB9_3 Depth=1
	v_mul_f32_e32 v23, v22, v22
	s_delay_alu instid0(VALU_DEP_1) | instskip(NEXT) | instid1(VALU_DEP_1)
	v_fmaak_f32 v24, s61, v23, 0x3ca908c9
	v_fmaak_f32 v24, v23, v24, 0xbd5c1c4e
	s_delay_alu instid0(VALU_DEP_1) | instskip(NEXT) | instid1(VALU_DEP_1)
	v_fmaak_f32 v24, v23, v24, 0x3e088382
	v_fmaak_f32 v24, v23, v24, 0xbeaaaa99
	s_delay_alu instid0(VALU_DEP_1) | instskip(NEXT) | instid1(VALU_DEP_1)
	v_mul_f32_e64 v24, |v22|, v24
	v_fma_f32 v24, v23, v24, |v22|
; %bb.9:                                ;   in Loop: Header=BB9_3 Depth=1
	s_or_b32 exec_lo, exec_lo, s0
	v_cvt_f32_f16_e32 v23, v30
	v_cvt_f32_f16_e32 v30, v33
	v_cvt_f32_f16_e32 v28, v28
	v_cvt_f32_f16_e32 v29, v29
	v_cvt_f32_f16_e32 v33, v39
	v_bfi_b32 v22, 0x7fffffff, v24, v22
	v_add_f32_e32 v23, v23, v30
	v_cvt_f32_f16_e32 v30, v38
	v_add_f32_e32 v28, v28, v29
	v_cvt_f32_f16_e32 v29, v37
	s_delay_alu instid0(VALU_DEP_4) | instskip(SKIP_1) | instid1(VALU_DEP_4)
	v_add_f32_e32 v23, v23, v33
	v_cvt_f32_f16_e32 v33, v36
	v_add_f32_e32 v28, v28, v30
	s_delay_alu instid0(VALU_DEP_1) | instskip(NEXT) | instid1(VALU_DEP_1)
	v_add_f32_e32 v28, v28, v33
	v_dual_add_f32 v23, v23, v29 :: v_dual_mul_f32 v30, 0xbfb8aa3b, v28
	s_delay_alu instid0(VALU_DEP_1) | instskip(SKIP_1) | instid1(VALU_DEP_3)
	v_mul_f32_e32 v29, 0xbfb8aa3b, v23
	v_cmp_nlt_f32_e32 vcc_lo, 0x42ce8ed0, v23
	v_fma_f32 v35, 0xbfb8aa3b, v28, -v30
	s_delay_alu instid0(VALU_DEP_3) | instskip(SKIP_2) | instid1(VALU_DEP_4)
	v_fma_f32 v33, 0xbfb8aa3b, v23, -v29
	v_rndne_f32_e32 v34, v29
	v_rndne_f32_e32 v36, v30
	v_fmac_f32_e32 v35, 0xb2a5705f, v28
	s_delay_alu instid0(VALU_DEP_2) | instskip(NEXT) | instid1(VALU_DEP_1)
	v_dual_fmac_f32 v33, 0xb2a5705f, v23 :: v_dual_sub_f32 v30, v30, v36
	v_dual_sub_f32 v29, v29, v34 :: v_dual_add_f32 v30, v30, v35
	s_delay_alu instid0(VALU_DEP_1) | instskip(SKIP_2) | instid1(VALU_DEP_4)
	v_add_f32_e32 v29, v29, v33
	v_cvt_i32_f32_e32 v33, v34
	v_cvt_i32_f32_e32 v34, v36
	v_exp_f32_e32 v30, v30
	s_delay_alu instid0(VALU_DEP_3) | instskip(SKIP_3) | instid1(VALU_DEP_1)
	v_exp_f32_e32 v29, v29
	s_waitcnt_depctr 0xfff
	v_ldexp_f32 v30, v30, v34
	v_ldexp_f32 v29, v29, v33
	v_cndmask_b32_e32 v29, 0, v29, vcc_lo
	v_cmp_nlt_f32_e32 vcc_lo, 0x42ce8ed0, v28
	s_delay_alu instid0(VALU_DEP_4) | instskip(SKIP_1) | instid1(VALU_DEP_4)
	v_cndmask_b32_e32 v30, 0, v30, vcc_lo
	v_cmp_ngt_f32_e32 vcc_lo, 0xc2b17218, v23
	v_cndmask_b32_e32 v23, 0x7f800000, v29, vcc_lo
	v_cmp_ngt_f32_e32 vcc_lo, 0xc2b17218, v28
	s_delay_alu instid0(VALU_DEP_4) | instskip(NEXT) | instid1(VALU_DEP_1)
	v_cndmask_b32_e32 v28, 0x7f800000, v30, vcc_lo
	v_add_f32_e32 v28, 1.0, v28
	s_delay_alu instid0(VALU_DEP_1) | instskip(NEXT) | instid1(VALU_DEP_1)
	v_div_scale_f32 v30, null, v28, v28, 1.0
	v_rcp_f32_e32 v34, v30
	s_waitcnt_depctr 0xfff
	v_fma_f32 v36, -v30, v34, 1.0
	s_delay_alu instid0(VALU_DEP_1) | instskip(NEXT) | instid1(VALU_DEP_1)
	v_dual_fmac_f32 v34, v36, v34 :: v_dual_add_f32 v23, 1.0, v23
	v_div_scale_f32 v29, null, v23, v23, 1.0
	v_div_scale_f32 v37, vcc_lo, 1.0, v23, 1.0
	s_delay_alu instid0(VALU_DEP_2) | instskip(SKIP_2) | instid1(VALU_DEP_1)
	v_rcp_f32_e32 v33, v29
	s_waitcnt_depctr 0xfff
	v_fma_f32 v35, -v29, v33, 1.0
	v_fmac_f32_e32 v33, v35, v33
	v_div_scale_f32 v35, s0, 1.0, v28, 1.0
	s_delay_alu instid0(VALU_DEP_1) | instskip(NEXT) | instid1(VALU_DEP_1)
	v_mul_f32_e32 v38, v35, v34
	v_fma_f32 v40, -v30, v38, v35
	s_delay_alu instid0(VALU_DEP_1) | instskip(SKIP_1) | instid1(VALU_DEP_2)
	v_fmac_f32_e32 v38, v40, v34
	v_mul_f32_e32 v36, v37, v33
	v_fma_f32 v30, -v30, v38, v35
	s_delay_alu instid0(VALU_DEP_2) | instskip(NEXT) | instid1(VALU_DEP_1)
	v_fma_f32 v39, -v29, v36, v37
	v_fmac_f32_e32 v36, v39, v33
	s_delay_alu instid0(VALU_DEP_1) | instskip(NEXT) | instid1(VALU_DEP_1)
	v_fma_f32 v29, -v29, v36, v37
	v_div_fmas_f32 v29, v29, v33, v36
	s_mov_b32 vcc_lo, s0
	v_div_fmas_f32 v30, v30, v34, v38
	s_delay_alu instid0(VALU_DEP_2) | instskip(NEXT) | instid1(VALU_DEP_2)
	v_div_fixup_f32 v23, v29, v23, 1.0
	v_div_fixup_f32 v24, v30, v28, 1.0
	s_delay_alu instid0(VALU_DEP_2) | instskip(SKIP_1) | instid1(VALU_DEP_1)
	v_mul_f32_e32 v28, v23, v22
	s_waitcnt vmcnt(0)
	v_fma_mix_f32 v26, v24, v26, v28 op_sel_hi:[0,1,0]
                                        ; implicit-def: $vgpr28
	s_delay_alu instid0(VALU_DEP_1) | instskip(NEXT) | instid1(VALU_DEP_1)
	v_cmp_ngt_f32_e64 s0, 0x3f200000, |v26|
	s_and_saveexec_b32 s1, s0
	s_delay_alu instid0(SALU_CYCLE_1)
	s_xor_b32 s0, exec_lo, s1
	s_cbranch_execz .LBB9_11
; %bb.10:                               ;   in Loop: Header=BB9_3 Depth=1
	v_add_f32_e64 v28, |v26|, |v26|
	s_delay_alu instid0(VALU_DEP_1) | instskip(SKIP_1) | instid1(VALU_DEP_2)
	v_mul_f32_e32 v29, 0x3fb8aa3b, v28
	v_cmp_ngt_f32_e32 vcc_lo, 0xc2ce8ed0, v28
	v_rndne_f32_e32 v30, v29
	v_fma_f32 v33, 0x3fb8aa3b, v28, -v29
	s_delay_alu instid0(VALU_DEP_2) | instskip(NEXT) | instid1(VALU_DEP_2)
	v_sub_f32_e32 v29, v29, v30
	v_fmac_f32_e32 v33, 0x32a5705f, v28
	v_cvt_i32_f32_e32 v30, v30
	s_delay_alu instid0(VALU_DEP_2) | instskip(NEXT) | instid1(VALU_DEP_1)
	v_add_f32_e32 v29, v29, v33
	v_exp_f32_e32 v29, v29
	s_waitcnt_depctr 0xfff
	v_ldexp_f32 v29, v29, v30
	s_delay_alu instid0(VALU_DEP_1) | instskip(SKIP_1) | instid1(VALU_DEP_2)
	v_cndmask_b32_e32 v29, 0, v29, vcc_lo
	v_cmp_nlt_f32_e32 vcc_lo, 0x42b17218, v28
	v_cndmask_b32_e32 v28, 0x7f800000, v29, vcc_lo
	s_delay_alu instid0(VALU_DEP_1) | instskip(NEXT) | instid1(VALU_DEP_1)
	v_add_f32_e32 v28, 1.0, v28
	v_rcp_f32_e32 v28, v28
	s_waitcnt_depctr 0xfff
	v_fma_f32 v28, v28, -2.0, 1.0
.LBB9_11:                               ;   in Loop: Header=BB9_3 Depth=1
	s_and_not1_saveexec_b32 s0, s0
	s_cbranch_execz .LBB9_2
; %bb.12:                               ;   in Loop: Header=BB9_3 Depth=1
	v_mul_f32_e32 v28, v26, v26
	s_delay_alu instid0(VALU_DEP_1) | instskip(NEXT) | instid1(VALU_DEP_1)
	v_fmaak_f32 v29, s61, v28, 0x3ca908c9
	v_fmaak_f32 v29, v28, v29, 0xbd5c1c4e
	s_delay_alu instid0(VALU_DEP_1) | instskip(NEXT) | instid1(VALU_DEP_1)
	v_fmaak_f32 v29, v28, v29, 0x3e088382
	v_fmaak_f32 v29, v28, v29, 0xbeaaaa99
	s_delay_alu instid0(VALU_DEP_1) | instskip(NEXT) | instid1(VALU_DEP_1)
	v_mul_f32_e64 v29, |v26|, v29
	v_fma_f32 v28, v28, v29, |v26|
	s_branch .LBB9_2
.LBB9_13:
	s_nop 0
	s_sendmsg sendmsg(MSG_DEALLOC_VGPRS)
	s_endpgm
	.section	.rodata,"a",@progbits
	.p2align	6, 0x0
	.amdhsa_kernel _ZN2at6native12_GLOBAL__N_16kernel17lstm_cell_forwardIN3c104HalfEfiLi2EEEvNS_4cuda6detail10TensorInfoIT_T1_EESB_SB_SB_SB_SB_SB_SB_SA_SA_
		.amdhsa_group_segment_fixed_size 0
		.amdhsa_private_segment_fixed_size 0
		.amdhsa_kernarg_size 1992
		.amdhsa_user_sgpr_count 15
		.amdhsa_user_sgpr_dispatch_ptr 0
		.amdhsa_user_sgpr_queue_ptr 0
		.amdhsa_user_sgpr_kernarg_segment_ptr 1
		.amdhsa_user_sgpr_dispatch_id 0
		.amdhsa_user_sgpr_private_segment_size 0
		.amdhsa_wavefront_size32 1
		.amdhsa_uses_dynamic_stack 0
		.amdhsa_enable_private_segment 0
		.amdhsa_system_sgpr_workgroup_id_x 1
		.amdhsa_system_sgpr_workgroup_id_y 0
		.amdhsa_system_sgpr_workgroup_id_z 0
		.amdhsa_system_sgpr_workgroup_info 0
		.amdhsa_system_vgpr_workitem_id 0
		.amdhsa_next_free_vgpr 57
		.amdhsa_next_free_sgpr 62
		.amdhsa_reserve_vcc 1
		.amdhsa_float_round_mode_32 0
		.amdhsa_float_round_mode_16_64 0
		.amdhsa_float_denorm_mode_32 3
		.amdhsa_float_denorm_mode_16_64 3
		.amdhsa_dx10_clamp 1
		.amdhsa_ieee_mode 1
		.amdhsa_fp16_overflow 0
		.amdhsa_workgroup_processor_mode 1
		.amdhsa_memory_ordered 1
		.amdhsa_forward_progress 0
		.amdhsa_shared_vgpr_count 0
		.amdhsa_exception_fp_ieee_invalid_op 0
		.amdhsa_exception_fp_denorm_src 0
		.amdhsa_exception_fp_ieee_div_zero 0
		.amdhsa_exception_fp_ieee_overflow 0
		.amdhsa_exception_fp_ieee_underflow 0
		.amdhsa_exception_fp_ieee_inexact 0
		.amdhsa_exception_int_div_zero 0
	.end_amdhsa_kernel
	.section	.text._ZN2at6native12_GLOBAL__N_16kernel17lstm_cell_forwardIN3c104HalfEfiLi2EEEvNS_4cuda6detail10TensorInfoIT_T1_EESB_SB_SB_SB_SB_SB_SB_SA_SA_,"axG",@progbits,_ZN2at6native12_GLOBAL__N_16kernel17lstm_cell_forwardIN3c104HalfEfiLi2EEEvNS_4cuda6detail10TensorInfoIT_T1_EESB_SB_SB_SB_SB_SB_SB_SA_SA_,comdat
.Lfunc_end9:
	.size	_ZN2at6native12_GLOBAL__N_16kernel17lstm_cell_forwardIN3c104HalfEfiLi2EEEvNS_4cuda6detail10TensorInfoIT_T1_EESB_SB_SB_SB_SB_SB_SB_SA_SA_, .Lfunc_end9-_ZN2at6native12_GLOBAL__N_16kernel17lstm_cell_forwardIN3c104HalfEfiLi2EEEvNS_4cuda6detail10TensorInfoIT_T1_EESB_SB_SB_SB_SB_SB_SB_SA_SA_
                                        ; -- End function
	.section	.AMDGPU.csdata,"",@progbits
; Kernel info:
; codeLenInByte = 5000
; NumSgprs: 64
; NumVgprs: 57
; ScratchSize: 0
; MemoryBound: 0
; FloatMode: 240
; IeeeMode: 1
; LDSByteSize: 0 bytes/workgroup (compile time only)
; SGPRBlocks: 7
; VGPRBlocks: 7
; NumSGPRsForWavesPerEU: 64
; NumVGPRsForWavesPerEU: 57
; Occupancy: 16
; WaveLimiterHint : 1
; COMPUTE_PGM_RSRC2:SCRATCH_EN: 0
; COMPUTE_PGM_RSRC2:USER_SGPR: 15
; COMPUTE_PGM_RSRC2:TRAP_HANDLER: 0
; COMPUTE_PGM_RSRC2:TGID_X_EN: 1
; COMPUTE_PGM_RSRC2:TGID_Y_EN: 0
; COMPUTE_PGM_RSRC2:TGID_Z_EN: 0
; COMPUTE_PGM_RSRC2:TIDIG_COMP_CNT: 0
	.section	.text._ZN2at6native12_GLOBAL__N_16kernel17lstm_cell_forwardIN3c104HalfEflLi1EEEvNS_4cuda6detail10TensorInfoIT_T1_EESB_SB_SB_SB_SB_SB_SB_SA_SA_,"axG",@progbits,_ZN2at6native12_GLOBAL__N_16kernel17lstm_cell_forwardIN3c104HalfEflLi1EEEvNS_4cuda6detail10TensorInfoIT_T1_EESB_SB_SB_SB_SB_SB_SB_SA_SA_,comdat
	.globl	_ZN2at6native12_GLOBAL__N_16kernel17lstm_cell_forwardIN3c104HalfEflLi1EEEvNS_4cuda6detail10TensorInfoIT_T1_EESB_SB_SB_SB_SB_SB_SB_SA_SA_ ; -- Begin function _ZN2at6native12_GLOBAL__N_16kernel17lstm_cell_forwardIN3c104HalfEflLi1EEEvNS_4cuda6detail10TensorInfoIT_T1_EESB_SB_SB_SB_SB_SB_SB_SA_SA_
	.p2align	8
	.type	_ZN2at6native12_GLOBAL__N_16kernel17lstm_cell_forwardIN3c104HalfEflLi1EEEvNS_4cuda6detail10TensorInfoIT_T1_EESB_SB_SB_SB_SB_SB_SB_SA_SA_,@function
_ZN2at6native12_GLOBAL__N_16kernel17lstm_cell_forwardIN3c104HalfEflLi1EEEvNS_4cuda6detail10TensorInfoIT_T1_EESB_SB_SB_SB_SB_SB_SB_SA_SA_: ; @_ZN2at6native12_GLOBAL__N_16kernel17lstm_cell_forwardIN3c104HalfEflLi1EEEvNS_4cuda6detail10TensorInfoIT_T1_EESB_SB_SB_SB_SB_SB_SB_SA_SA_
; %bb.0:
	s_clause 0x1
	s_load_b32 s2, s[0:1], 0xd1c
	s_load_b128 s[4:7], s[0:1], 0xd00
	v_mov_b32_e32 v1, 0
	s_add_u32 s8, s0, 0xd10
	s_addc_u32 s9, s1, 0
	s_waitcnt lgkmcnt(0)
	s_and_b32 s26, s2, 0xffff
	s_mov_b32 s2, exec_lo
	v_mad_u64_u32 v[3:4], null, s15, s26, v[0:1]
	v_mov_b32_e32 v4, v1
	s_delay_alu instid0(VALU_DEP_1)
	v_cmpx_gt_i64_e64 s[6:7], v[3:4]
	s_cbranch_execz .LBB10_17
; %bb.1:
	s_clause 0x2
	s_load_b64 s[2:3], s[0:1], 0x340
	s_load_b64 s[28:29], s[0:1], 0x750
	;; [unrolled: 1-line block ×3, first 2 shown]
	s_load_b32 s27, s[8:9], 0x0
	s_clause 0xc
	s_load_b64 s[8:9], s[0:1], 0x0
	s_load_b64 s[10:11], s[0:1], 0xd0
	;; [unrolled: 1-line block ×13, first 2 shown]
	v_cvt_f32_u32_e32 v11, s4
	s_mul_i32 s0, s5, 3
	s_mul_hi_u32 s1, s4, 3
	s_waitcnt lgkmcnt(0)
	s_cmp_lg_u64 s[2:3], 0
	v_mul_lo_u32 v0, 0, s28
	v_mul_lo_u32 v2, v3, s29
	v_mad_u64_u32 v[5:6], null, v3, s28, 0
	s_mul_i32 s38, s27, s26
	s_cselect_b32 s33, -1, 0
	s_add_i32 s40, s1, s0
	s_mul_i32 s0, s38, s29
	v_mad_u64_u32 v[7:8], null, v3, s46, 0
	s_delay_alu instid0(VALU_DEP_2) | instskip(SKIP_3) | instid1(VALU_DEP_4)
	v_add3_u32 v6, v6, v2, v0
	v_mul_lo_u32 v0, 0, s46
	v_mul_lo_u32 v2, v3, s47
	v_mad_u64_u32 v[9:10], null, v3, s30, 0
	v_lshlrev_b64 v[5:6], 1, v[5:6]
	s_mul_hi_u32 s1, s38, s28
	s_sub_u32 s42, 0, s4
	s_subb_u32 s43, 0, s5
	s_add_i32 s1, s1, s0
	s_delay_alu instid0(VALU_DEP_3) | instskip(SKIP_3) | instid1(VALU_DEP_4)
	v_add3_u32 v8, v8, v2, v0
	v_mul_lo_u32 v0, 0, s30
	v_mul_lo_u32 v2, v3, s31
	v_add_co_u32 v5, vcc_lo, s36, v5
	v_lshlrev_b64 v[7:8], 1, v[7:8]
	s_mul_i32 s0, s38, s28
	v_add_co_ci_u32_e32 v6, vcc_lo, s37, v6, vcc_lo
	s_lshl_b64 s[26:27], s[0:1], 1
	s_delay_alu instid0(VALU_DEP_4)
	v_add3_u32 v10, v10, v2, v0
	v_rcp_iflag_f32_e32 v0, v11
	s_mul_i32 s0, s38, s47
	s_mul_hi_u32 s1, s38, s46
	v_add_co_u32 v7, vcc_lo, s44, v7
	v_lshlrev_b64 v[9:10], 1, v[9:10]
	v_add_co_ci_u32_e32 v8, vcc_lo, s45, v8, vcc_lo
	s_add_i32 s1, s1, s0
	s_mul_i32 s0, s38, s46
	s_waitcnt_depctr 0xfff
	v_mul_f32_e32 v0, 0x4f7ffffe, v0
	v_add_co_u32 v9, vcc_lo, s34, v9
	s_lshl_b64 s[28:29], s[0:1], 1
	s_mul_i32 s0, s38, s31
	s_mul_hi_u32 s1, s38, s30
	v_add_co_ci_u32_e32 v10, vcc_lo, s35, v10, vcc_lo
	v_cvt_u32_f32_e32 v0, v0
	s_add_i32 s1, s1, s0
	s_mul_i32 s0, s38, s30
	s_mov_b32 s39, 0
	s_mul_i32 s41, s4, 3
	s_lshl_b64 s[30:31], s[0:1], 1
	s_ashr_i32 s34, s5, 31
	s_mov_b32 s44, 0xbbbac73d
	s_branch .LBB10_3
.LBB10_2:                               ;   in Loop: Header=BB10_3 Depth=1
	s_or_b32 exec_lo, exec_lo, s0
	v_cvt_f32_f16_e32 v20, v20
	v_cvt_f32_f16_e32 v21, v21
	;; [unrolled: 1-line block ×3, first 2 shown]
	v_mul_lo_u32 v29, v12, s25
	v_mul_lo_u32 v31, v15, s25
	;; [unrolled: 1-line block ×3, first 2 shown]
	v_add_f32_e32 v20, v20, v21
	v_cvt_f32_f16_e32 v21, v27
	v_mul_lo_u32 v27, v11, s25
	v_mul_lo_u32 v34, v13, s25
	;; [unrolled: 1-line block ×3, first 2 shown]
	v_add_f32_e32 v20, v20, v25
	v_mul_lo_u32 v19, v19, s24
	v_mul_lo_u32 v16, v16, s24
	v_cvt_f16_f32_e32 v36, v17
	v_cvt_f16_f32_e32 v35, v18
	v_add_f32_e32 v20, v20, v21
	v_bfi_b32 v24, 0x7fffffff, v24, v22
	v_add_co_u32 v3, s0, v3, s38
	v_cvt_f16_f32_e32 v22, v22
	s_delay_alu instid0(VALU_DEP_4) | instskip(SKIP_3) | instid1(VALU_DEP_4)
	v_mul_f32_e32 v21, 0xbfb8aa3b, v20
	v_cmp_nlt_f32_e32 vcc_lo, 0x42ce8ed0, v20
	v_add_co_ci_u32_e64 v4, s0, 0, v4, s0
	v_add_co_u32 v5, s0, v5, s26
	v_fma_f32 v25, 0xbfb8aa3b, v20, -v21
	v_rndne_f32_e32 v26, v21
	v_add_co_ci_u32_e64 v6, s0, s27, v6, s0
	v_cmp_le_i64_e64 s0, s[6:7], v[3:4]
	s_delay_alu instid0(VALU_DEP_4) | instskip(NEXT) | instid1(VALU_DEP_4)
	v_fmac_f32_e32 v25, 0xb2a5705f, v20
	v_sub_f32_e32 v21, v21, v26
	v_cvt_f16_f32_e32 v23, v23
	s_delay_alu instid0(VALU_DEP_4) | instskip(NEXT) | instid1(VALU_DEP_2)
	s_or_b32 s39, s0, s39
	v_add_f32_e32 v21, v21, v25
	v_cvt_i32_f32_e32 v25, v26
	s_delay_alu instid0(VALU_DEP_2) | instskip(SKIP_3) | instid1(VALU_DEP_2)
	v_exp_f32_e32 v21, v21
	s_waitcnt_depctr 0xfff
	v_ldexp_f32 v21, v21, v25
	v_mad_u64_u32 v[25:26], null, v12, s24, 0
	v_cndmask_b32_e32 v21, 0, v21, vcc_lo
	v_cmp_ngt_f32_e32 vcc_lo, 0xc2b17218, v20
	s_delay_alu instid0(VALU_DEP_3) | instskip(NEXT) | instid1(VALU_DEP_3)
	v_add3_u32 v26, v26, v29, v19
	v_cndmask_b32_e32 v20, 0x7f800000, v21, vcc_lo
	s_delay_alu instid0(VALU_DEP_2) | instskip(NEXT) | instid1(VALU_DEP_2)
	v_lshlrev_b64 v[18:19], 1, v[25:26]
	v_add_f32_e32 v28, 1.0, v20
	v_mad_u64_u32 v[20:21], null, v11, s24, 0
	v_mad_u64_u32 v[11:12], null, v15, s24, 0
	s_delay_alu instid0(VALU_DEP_3) | instskip(SKIP_2) | instid1(VALU_DEP_3)
	v_div_scale_f32 v30, null, v28, v28, 1.0
	v_mad_u64_u32 v[14:15], null, v13, s24, 0
	v_div_scale_f32 v37, vcc_lo, 1.0, v28, 1.0
	v_rcp_f32_e32 v32, v30
	v_add3_u32 v21, v21, v27, v2
	v_add3_u32 v12, v12, v31, v16
	s_delay_alu instid0(VALU_DEP_4) | instskip(NEXT) | instid1(VALU_DEP_3)
	v_add3_u32 v15, v15, v34, v33
	v_lshlrev_b64 v[16:17], 1, v[20:21]
	s_delay_alu instid0(VALU_DEP_3) | instskip(SKIP_2) | instid1(VALU_DEP_1)
	v_lshlrev_b64 v[11:12], 1, v[11:12]
	s_waitcnt_depctr 0xfff
	v_fma_f32 v13, -v30, v32, 1.0
	v_fmac_f32_e32 v32, v13, v32
	s_delay_alu instid0(VALU_DEP_1) | instskip(NEXT) | instid1(VALU_DEP_1)
	v_mul_f32_e32 v38, v37, v32
	v_fma_f32 v13, -v30, v38, v37
	s_delay_alu instid0(VALU_DEP_1) | instskip(SKIP_2) | instid1(VALU_DEP_1)
	v_fmac_f32_e32 v38, v13, v32
	v_lshlrev_b64 v[13:14], 1, v[14:15]
	v_add_co_u32 v15, s1, s22, v16
	v_add_co_ci_u32_e64 v16, s1, s23, v17, s1
	s_delay_alu instid0(VALU_DEP_4) | instskip(NEXT) | instid1(VALU_DEP_1)
	v_fma_f32 v2, -v30, v38, v37
	v_div_fmas_f32 v2, v2, v32, v38
	v_add_co_u32 v17, vcc_lo, s22, v18
	v_add_co_ci_u32_e32 v18, vcc_lo, s23, v19, vcc_lo
	s_delay_alu instid0(VALU_DEP_3) | instskip(SKIP_2) | instid1(VALU_DEP_3)
	v_div_fixup_f32 v2, v2, v28, 1.0
	v_add_co_u32 v11, vcc_lo, s22, v11
	v_add_co_ci_u32_e32 v12, vcc_lo, s23, v12, vcc_lo
	v_fma_mixlo_f16 v19, v2, v24, 0
	v_add_co_u32 v13, vcc_lo, s22, v13
	v_add_co_ci_u32_e32 v14, vcc_lo, s23, v14, vcc_lo
	global_store_b16 v[7:8], v19, off
	global_store_b16 v[9:10], v22, off
	;; [unrolled: 1-line block ×3, first 2 shown]
	v_add_co_u32 v7, vcc_lo, v7, s28
	v_add_co_ci_u32_e32 v8, vcc_lo, s29, v8, vcc_lo
	v_add_co_u32 v9, vcc_lo, v9, s30
	v_add_co_ci_u32_e32 v10, vcc_lo, s31, v10, vcc_lo
	v_cvt_f16_f32_e32 v2, v2
	s_clause 0x2
	global_store_b16 v[17:18], v23, off
	global_store_b16 v[11:12], v36, off
	;; [unrolled: 1-line block ×3, first 2 shown]
	s_and_not1_b32 exec_lo, exec_lo, s39
	s_cbranch_execz .LBB10_17
.LBB10_3:                               ; =>This Inner Loop Header: Depth=1
	v_or_b32_e32 v2, s5, v4
                                        ; implicit-def: $vgpr17_vgpr18
	s_mov_b32 s0, exec_lo
	s_delay_alu instid0(VALU_DEP_1)
	v_cmpx_ne_u64_e32 0, v[1:2]
	s_xor_b32 s1, exec_lo, s0
	s_cbranch_execz .LBB10_5
; %bb.4:                                ;   in Loop: Header=BB10_3 Depth=1
	s_add_u32 s36, s4, s34
	s_mov_b32 s35, s34
	s_addc_u32 s37, s5, s34
	s_delay_alu instid0(SALU_CYCLE_1) | instskip(NEXT) | instid1(SALU_CYCLE_1)
	s_xor_b64 s[36:37], s[36:37], s[34:35]
	v_cvt_f32_u32_e32 v2, s36
	v_cvt_f32_u32_e32 v11, s37
	s_sub_u32 s0, 0, s36
	s_subb_u32 s35, 0, s37
	s_delay_alu instid0(VALU_DEP_1) | instskip(NEXT) | instid1(VALU_DEP_1)
	v_fmac_f32_e32 v2, 0x4f800000, v11
	v_rcp_f32_e32 v2, v2
	s_waitcnt_depctr 0xfff
	v_mul_f32_e32 v2, 0x5f7ffffc, v2
	s_delay_alu instid0(VALU_DEP_1) | instskip(NEXT) | instid1(VALU_DEP_1)
	v_mul_f32_e32 v11, 0x2f800000, v2
	v_trunc_f32_e32 v11, v11
	s_delay_alu instid0(VALU_DEP_1) | instskip(SKIP_1) | instid1(VALU_DEP_2)
	v_fmac_f32_e32 v2, 0xcf800000, v11
	v_cvt_u32_f32_e32 v11, v11
	v_cvt_u32_f32_e32 v2, v2
	s_delay_alu instid0(VALU_DEP_2) | instskip(NEXT) | instid1(VALU_DEP_2)
	v_mul_lo_u32 v12, s0, v11
	v_mul_hi_u32 v13, s0, v2
	v_mul_lo_u32 v14, s35, v2
	s_delay_alu instid0(VALU_DEP_2) | instskip(SKIP_1) | instid1(VALU_DEP_2)
	v_add_nc_u32_e32 v12, v13, v12
	v_mul_lo_u32 v13, s0, v2
	v_add_nc_u32_e32 v12, v12, v14
	s_delay_alu instid0(VALU_DEP_2) | instskip(NEXT) | instid1(VALU_DEP_2)
	v_mul_hi_u32 v14, v2, v13
	v_mul_lo_u32 v15, v2, v12
	v_mul_hi_u32 v16, v2, v12
	v_mul_hi_u32 v17, v11, v13
	v_mul_lo_u32 v13, v11, v13
	v_mul_hi_u32 v18, v11, v12
	v_mul_lo_u32 v12, v11, v12
	v_add_co_u32 v14, vcc_lo, v14, v15
	v_add_co_ci_u32_e32 v15, vcc_lo, 0, v16, vcc_lo
	s_delay_alu instid0(VALU_DEP_2) | instskip(NEXT) | instid1(VALU_DEP_2)
	v_add_co_u32 v13, vcc_lo, v14, v13
	v_add_co_ci_u32_e32 v13, vcc_lo, v15, v17, vcc_lo
	v_add_co_ci_u32_e32 v14, vcc_lo, 0, v18, vcc_lo
	v_ashrrev_i32_e32 v17, 31, v4
	s_delay_alu instid0(VALU_DEP_3) | instskip(NEXT) | instid1(VALU_DEP_3)
	v_add_co_u32 v12, vcc_lo, v13, v12
	v_add_co_ci_u32_e32 v13, vcc_lo, 0, v14, vcc_lo
	s_delay_alu instid0(VALU_DEP_2) | instskip(NEXT) | instid1(VALU_DEP_2)
	v_add_co_u32 v2, vcc_lo, v2, v12
	v_add_co_ci_u32_e32 v11, vcc_lo, v11, v13, vcc_lo
	s_delay_alu instid0(VALU_DEP_2) | instskip(SKIP_1) | instid1(VALU_DEP_3)
	v_mul_hi_u32 v12, s0, v2
	v_mul_lo_u32 v14, s35, v2
	v_mul_lo_u32 v13, s0, v11
	s_delay_alu instid0(VALU_DEP_1) | instskip(SKIP_1) | instid1(VALU_DEP_2)
	v_add_nc_u32_e32 v12, v12, v13
	v_mul_lo_u32 v13, s0, v2
	v_add_nc_u32_e32 v12, v12, v14
	s_delay_alu instid0(VALU_DEP_2) | instskip(NEXT) | instid1(VALU_DEP_2)
	v_mul_hi_u32 v14, v2, v13
	v_mul_lo_u32 v15, v2, v12
	v_mul_hi_u32 v16, v2, v12
	v_mul_hi_u32 v18, v11, v13
	v_mul_lo_u32 v13, v11, v13
	v_mul_hi_u32 v19, v11, v12
	v_mul_lo_u32 v12, v11, v12
	v_add_co_u32 v14, vcc_lo, v14, v15
	v_add_co_ci_u32_e32 v15, vcc_lo, 0, v16, vcc_lo
	s_delay_alu instid0(VALU_DEP_2) | instskip(NEXT) | instid1(VALU_DEP_2)
	v_add_co_u32 v13, vcc_lo, v14, v13
	v_add_co_ci_u32_e32 v13, vcc_lo, v15, v18, vcc_lo
	v_add_co_ci_u32_e32 v14, vcc_lo, 0, v19, vcc_lo
	v_add_co_u32 v15, vcc_lo, v3, v17
	v_add_co_ci_u32_e32 v16, vcc_lo, v4, v17, vcc_lo
	s_delay_alu instid0(VALU_DEP_4) | instskip(NEXT) | instid1(VALU_DEP_4)
	v_add_co_u32 v12, vcc_lo, v13, v12
	v_add_co_ci_u32_e32 v13, vcc_lo, 0, v14, vcc_lo
	s_delay_alu instid0(VALU_DEP_4) | instskip(NEXT) | instid1(VALU_DEP_3)
	v_xor_b32_e32 v18, v15, v17
	v_add_co_u32 v2, vcc_lo, v2, v12
	s_delay_alu instid0(VALU_DEP_3) | instskip(SKIP_1) | instid1(VALU_DEP_3)
	v_add_co_ci_u32_e32 v19, vcc_lo, v11, v13, vcc_lo
	v_xor_b32_e32 v20, v16, v17
	v_mul_hi_u32 v21, v18, v2
	s_delay_alu instid0(VALU_DEP_3) | instskip(NEXT) | instid1(VALU_DEP_3)
	v_mad_u64_u32 v[11:12], null, v18, v19, 0
	v_mad_u64_u32 v[13:14], null, v20, v2, 0
	v_mad_u64_u32 v[15:16], null, v20, v19, 0
	s_delay_alu instid0(VALU_DEP_3) | instskip(NEXT) | instid1(VALU_DEP_4)
	v_add_co_u32 v2, vcc_lo, v21, v11
	v_add_co_ci_u32_e32 v11, vcc_lo, 0, v12, vcc_lo
	s_delay_alu instid0(VALU_DEP_2) | instskip(NEXT) | instid1(VALU_DEP_2)
	v_add_co_u32 v2, vcc_lo, v2, v13
	v_add_co_ci_u32_e32 v2, vcc_lo, v11, v14, vcc_lo
	v_add_co_ci_u32_e32 v11, vcc_lo, 0, v16, vcc_lo
	s_delay_alu instid0(VALU_DEP_2) | instskip(NEXT) | instid1(VALU_DEP_2)
	v_add_co_u32 v2, vcc_lo, v2, v15
	v_add_co_ci_u32_e32 v13, vcc_lo, 0, v11, vcc_lo
	s_delay_alu instid0(VALU_DEP_2) | instskip(SKIP_1) | instid1(VALU_DEP_3)
	v_mul_lo_u32 v14, s37, v2
	v_mad_u64_u32 v[11:12], null, s36, v2, 0
	v_mul_lo_u32 v15, s36, v13
	s_delay_alu instid0(VALU_DEP_2) | instskip(NEXT) | instid1(VALU_DEP_2)
	v_sub_co_u32 v11, vcc_lo, v18, v11
	v_add3_u32 v12, v12, v15, v14
	s_delay_alu instid0(VALU_DEP_1) | instskip(NEXT) | instid1(VALU_DEP_1)
	v_sub_nc_u32_e32 v14, v20, v12
	v_subrev_co_ci_u32_e64 v14, s0, s37, v14, vcc_lo
	v_add_co_u32 v15, s0, v2, 2
	s_delay_alu instid0(VALU_DEP_1) | instskip(SKIP_3) | instid1(VALU_DEP_3)
	v_add_co_ci_u32_e64 v16, s0, 0, v13, s0
	v_sub_co_u32 v18, s0, v11, s36
	v_sub_co_ci_u32_e32 v12, vcc_lo, v20, v12, vcc_lo
	v_subrev_co_ci_u32_e64 v14, s0, 0, v14, s0
	v_cmp_le_u32_e32 vcc_lo, s36, v18
	s_delay_alu instid0(VALU_DEP_3) | instskip(SKIP_1) | instid1(VALU_DEP_4)
	v_cmp_eq_u32_e64 s0, s37, v12
	v_cndmask_b32_e64 v18, 0, -1, vcc_lo
	v_cmp_le_u32_e32 vcc_lo, s37, v14
	v_cndmask_b32_e64 v19, 0, -1, vcc_lo
	v_cmp_le_u32_e32 vcc_lo, s36, v11
	v_cndmask_b32_e64 v11, 0, -1, vcc_lo
	v_cmp_le_u32_e32 vcc_lo, s37, v12
	v_cndmask_b32_e64 v20, 0, -1, vcc_lo
	v_cmp_eq_u32_e32 vcc_lo, s37, v14
	s_delay_alu instid0(VALU_DEP_2) | instskip(SKIP_3) | instid1(VALU_DEP_3)
	v_cndmask_b32_e64 v11, v20, v11, s0
	v_cndmask_b32_e32 v14, v19, v18, vcc_lo
	v_add_co_u32 v18, vcc_lo, v2, 1
	v_add_co_ci_u32_e32 v19, vcc_lo, 0, v13, vcc_lo
	v_cmp_ne_u32_e32 vcc_lo, 0, v14
	s_delay_alu instid0(VALU_DEP_2) | instskip(NEXT) | instid1(VALU_DEP_4)
	v_cndmask_b32_e32 v12, v19, v16, vcc_lo
	v_cndmask_b32_e32 v14, v18, v15, vcc_lo
	v_cmp_ne_u32_e32 vcc_lo, 0, v11
	v_xor_b32_e32 v11, s34, v17
	s_delay_alu instid0(VALU_DEP_3) | instskip(SKIP_1) | instid1(VALU_DEP_2)
	v_cndmask_b32_e32 v2, v2, v14, vcc_lo
	v_cndmask_b32_e32 v12, v13, v12, vcc_lo
	v_xor_b32_e32 v2, v2, v11
	s_delay_alu instid0(VALU_DEP_2) | instskip(NEXT) | instid1(VALU_DEP_2)
	v_xor_b32_e32 v12, v12, v11
	v_sub_co_u32 v17, vcc_lo, v2, v11
	s_delay_alu instid0(VALU_DEP_2)
	v_sub_co_ci_u32_e32 v18, vcc_lo, v12, v11, vcc_lo
.LBB10_5:                               ;   in Loop: Header=BB10_3 Depth=1
	s_and_not1_saveexec_b32 s0, s1
	s_cbranch_execz .LBB10_7
; %bb.6:                                ;   in Loop: Header=BB10_3 Depth=1
	s_sub_i32 s1, 0, s4
	v_mov_b32_e32 v18, v1
	v_mul_lo_u32 v2, s1, v0
	s_delay_alu instid0(VALU_DEP_1) | instskip(NEXT) | instid1(VALU_DEP_1)
	v_mul_hi_u32 v2, v0, v2
	v_add_nc_u32_e32 v2, v0, v2
	s_delay_alu instid0(VALU_DEP_1) | instskip(NEXT) | instid1(VALU_DEP_1)
	v_mul_hi_u32 v2, v3, v2
	v_mul_lo_u32 v11, v2, s4
	v_add_nc_u32_e32 v12, 1, v2
	s_delay_alu instid0(VALU_DEP_2) | instskip(NEXT) | instid1(VALU_DEP_1)
	v_sub_nc_u32_e32 v11, v3, v11
	v_subrev_nc_u32_e32 v13, s4, v11
	v_cmp_le_u32_e32 vcc_lo, s4, v11
	s_delay_alu instid0(VALU_DEP_2) | instskip(NEXT) | instid1(VALU_DEP_1)
	v_dual_cndmask_b32 v11, v11, v13 :: v_dual_cndmask_b32 v2, v2, v12
	v_cmp_le_u32_e32 vcc_lo, s4, v11
	s_delay_alu instid0(VALU_DEP_2) | instskip(NEXT) | instid1(VALU_DEP_1)
	v_add_nc_u32_e32 v12, 1, v2
	v_cndmask_b32_e32 v17, v2, v12, vcc_lo
.LBB10_7:                               ;   in Loop: Header=BB10_3 Depth=1
	s_or_b32 exec_lo, exec_lo, s0
	s_delay_alu instid0(VALU_DEP_1) | instskip(SKIP_3) | instid1(VALU_DEP_4)
	v_mad_u64_u32 v[14:15], null, v17, 3, 0
	v_mad_u64_u32 v[11:12], null, s41, v17, v[3:4]
	v_mul_lo_u32 v2, s41, v18
	v_mul_lo_u32 v16, s40, v17
	v_mov_b32_e32 v13, v15
	s_delay_alu instid0(VALU_DEP_4) | instskip(SKIP_1) | instid1(VALU_DEP_4)
	v_mad_u64_u32 v[20:21], null, v11, s10, 0
	v_mul_lo_u32 v34, v11, s15
	v_add3_u32 v2, v16, v12, v2
	s_delay_alu instid0(VALU_DEP_4) | instskip(SKIP_1) | instid1(VALU_DEP_3)
	v_mad_u64_u32 v[15:16], null, v18, 3, v[13:14]
	v_mul_lo_u32 v12, v11, s11
	v_mul_lo_u32 v13, v2, s10
	;; [unrolled: 1-line block ×3, first 2 shown]
	s_delay_alu instid0(VALU_DEP_4) | instskip(SKIP_1) | instid1(VALU_DEP_4)
	v_mov_b32_e32 v19, v15
	v_add_co_u32 v15, vcc_lo, v14, 1
	v_add3_u32 v21, v21, v12, v13
	s_delay_alu instid0(VALU_DEP_3)
	v_add_co_ci_u32_e32 v16, vcc_lo, 0, v19, vcc_lo
	v_add_co_u32 v23, vcc_lo, v14, 2
	v_add_co_ci_u32_e32 v24, vcc_lo, 0, v19, vcc_lo
	v_mul_lo_u32 v22, s5, v15
	v_mad_u64_u32 v[12:13], null, s4, v15, v[3:4]
	v_mul_lo_u32 v26, s4, v16
	v_mul_lo_u32 v25, s5, v23
	v_mad_u64_u32 v[15:16], null, s4, v23, v[3:4]
	v_mul_lo_u32 v23, s4, v24
	v_add_co_u32 v27, vcc_lo, v14, 3
	v_add_co_ci_u32_e32 v24, vcc_lo, 0, v19, vcc_lo
	v_add3_u32 v19, v22, v13, v26
	s_delay_alu instid0(VALU_DEP_3) | instskip(SKIP_1) | instid1(VALU_DEP_4)
	v_mul_lo_u32 v28, s5, v27
	v_mad_u64_u32 v[13:14], null, s4, v27, v[3:4]
	v_mul_lo_u32 v26, s4, v24
	v_add3_u32 v16, v25, v16, v23
	v_mul_lo_u32 v27, v12, s11
	v_mul_lo_u32 v29, v19, s10
	v_mad_u64_u32 v[22:23], null, v12, s10, 0
	v_mul_lo_u32 v30, v15, s11
	v_mad_u64_u32 v[24:25], null, v15, s10, 0
	v_mul_lo_u32 v31, v16, s10
	v_add3_u32 v14, v28, v14, v26
	v_lshlrev_b64 v[20:21], 1, v[20:21]
	v_add3_u32 v23, v23, v27, v29
	v_mul_lo_u32 v28, v13, s11
	v_mad_u64_u32 v[26:27], null, v13, s10, 0
	v_mul_lo_u32 v29, v14, s10
	v_add3_u32 v25, v25, v30, v31
	v_lshlrev_b64 v[22:23], 1, v[22:23]
	v_add_co_u32 v20, vcc_lo, s8, v20
	v_add_co_ci_u32_e32 v21, vcc_lo, s9, v21, vcc_lo
	s_delay_alu instid0(VALU_DEP_4) | instskip(NEXT) | instid1(VALU_DEP_4)
	v_lshlrev_b64 v[24:25], 1, v[24:25]
	v_add_co_u32 v22, vcc_lo, s8, v22
	v_add3_u32 v27, v27, v28, v29
	v_add_co_ci_u32_e32 v23, vcc_lo, s9, v23, vcc_lo
	s_delay_alu instid0(VALU_DEP_4) | instskip(SKIP_1) | instid1(VALU_DEP_4)
	v_add_co_u32 v28, vcc_lo, s8, v24
	v_add_co_ci_u32_e32 v29, vcc_lo, s9, v25, vcc_lo
	v_lshlrev_b64 v[24:25], 1, v[26:27]
	v_mad_u64_u32 v[26:27], null, v11, s14, 0
	v_mul_lo_u32 v36, v19, s14
	v_mul_lo_u32 v37, v12, s15
	v_mad_u64_u32 v[30:31], null, v12, s14, 0
	v_add_co_u32 v32, vcc_lo, s8, v24
	v_add_co_ci_u32_e32 v33, vcc_lo, s9, v25, vcc_lo
	v_mul_lo_u32 v38, v16, s14
	v_mul_lo_u32 v39, v15, s15
	v_mad_u64_u32 v[24:25], null, v15, s14, 0
	v_add3_u32 v27, v27, v34, v35
	v_add3_u32 v31, v31, v37, v36
	v_mul_lo_u32 v36, v14, s14
	v_mul_lo_u32 v37, v13, s15
	v_mad_u64_u32 v[34:35], null, v13, s14, 0
	v_lshlrev_b64 v[26:27], 1, v[26:27]
	v_add3_u32 v25, v25, v39, v38
	v_lshlrev_b64 v[30:31], 1, v[30:31]
	s_delay_alu instid0(VALU_DEP_4) | instskip(NEXT) | instid1(VALU_DEP_4)
	v_add3_u32 v35, v35, v37, v36
	v_add_co_u32 v26, vcc_lo, s12, v26
	s_delay_alu instid0(VALU_DEP_4)
	v_lshlrev_b64 v[24:25], 1, v[24:25]
	v_add_co_ci_u32_e32 v27, vcc_lo, s13, v27, vcc_lo
	v_add_co_u32 v30, vcc_lo, s12, v30
	v_lshlrev_b64 v[34:35], 1, v[34:35]
	v_add_co_ci_u32_e32 v31, vcc_lo, s13, v31, vcc_lo
	v_add_co_u32 v36, vcc_lo, s12, v24
	v_add_co_ci_u32_e32 v37, vcc_lo, s13, v25, vcc_lo
	s_delay_alu instid0(VALU_DEP_4)
	v_add_co_u32 v34, vcc_lo, s12, v34
	v_add_co_ci_u32_e32 v35, vcc_lo, s13, v35, vcc_lo
	s_clause 0x3
	global_load_u16 v25, v[20:21], off
	global_load_u16 v23, v[22:23], off
	;; [unrolled: 1-line block ×4, first 2 shown]
	s_clause 0x3
	global_load_u16 v26, v[26:27], off
	global_load_u16 v24, v[30:31], off
	;; [unrolled: 1-line block ×5, first 2 shown]
	v_dual_mov_b32 v28, 0 :: v_dual_mov_b32 v27, 0
	v_dual_mov_b32 v36, 0 :: v_dual_mov_b32 v35, 0
	;; [unrolled: 1-line block ×4, first 2 shown]
	s_and_not1_b32 vcc_lo, exec_lo, s33
	s_cbranch_vccnz .LBB10_9
; %bb.8:                                ;   in Loop: Header=BB10_3 Depth=1
	v_sub_co_u32 v33, vcc_lo, 1, v17
	v_sub_co_ci_u32_e32 v31, vcc_lo, 0, v18, vcc_lo
	v_mad_u64_u32 v[27:28], null, s42, v17, v[3:4]
	s_delay_alu instid0(VALU_DEP_3) | instskip(NEXT) | instid1(VALU_DEP_3)
	v_mul_lo_u32 v37, s5, v33
	v_mul_lo_u32 v36, s4, v31
	v_mad_u64_u32 v[31:32], null, s4, v33, v[3:4]
	v_mul_lo_u32 v34, s42, v18
	v_mul_lo_u32 v35, s43, v17
	;; [unrolled: 1-line block ×3, first 2 shown]
	s_delay_alu instid0(VALU_DEP_4) | instskip(SKIP_1) | instid1(VALU_DEP_4)
	v_add3_u32 v42, v37, v32, v36
	v_sub_co_u32 v36, vcc_lo, 2, v17
	v_add3_u32 v28, v35, v28, v34
	v_sub_co_ci_u32_e32 v34, vcc_lo, 0, v18, vcc_lo
	s_delay_alu instid0(VALU_DEP_3) | instskip(SKIP_1) | instid1(VALU_DEP_3)
	v_mul_lo_u32 v38, s5, v36
	v_sub_co_u32 v43, vcc_lo, 3, v17
	v_mul_lo_u32 v37, s4, v34
	v_mad_u64_u32 v[34:35], null, s4, v36, v[3:4]
	v_sub_co_ci_u32_e32 v36, vcc_lo, 0, v18, vcc_lo
	v_mul_lo_u32 v41, v42, s16
	v_mul_lo_u32 v44, v31, s17
	v_mad_u64_u32 v[17:18], null, v31, s16, 0
	v_add3_u32 v45, v38, v35, v37
	v_mul_lo_u32 v46, s4, v36
	v_mul_lo_u32 v47, s5, v43
	v_mad_u64_u32 v[35:36], null, s4, v43, v[3:4]
	v_mul_lo_u32 v40, v28, s16
	v_mad_u64_u32 v[32:33], null, v27, s16, 0
	v_mul_lo_u32 v43, v45, s16
	v_mul_lo_u32 v48, v34, s17
	v_mad_u64_u32 v[37:38], null, v34, s16, 0
	v_add3_u32 v18, v18, v44, v41
	v_add3_u32 v44, v47, v36, v46
	;; [unrolled: 1-line block ×3, first 2 shown]
	v_mad_u64_u32 v[39:40], null, v35, s16, 0
	v_mul_lo_u32 v46, v28, s20
	v_add3_u32 v38, v38, v48, v43
	v_mul_lo_u32 v41, v44, s16
	v_mul_lo_u32 v43, v35, s17
	v_lshlrev_b64 v[32:33], 1, v[32:33]
	v_mul_lo_u32 v47, v42, s20
	v_lshlrev_b64 v[36:37], 1, v[37:38]
	;; [unrolled: 2-line block ×3, first 2 shown]
	v_add_co_u32 v32, vcc_lo, s2, v32
	v_add3_u32 v40, v40, v43, v41
	v_mul_lo_u32 v43, v27, s21
	v_add_co_ci_u32_e32 v33, vcc_lo, s3, v33, vcc_lo
	v_add_co_u32 v17, vcc_lo, s2, v17
	s_delay_alu instid0(VALU_DEP_4)
	v_lshlrev_b64 v[38:39], 1, v[39:40]
	v_mad_u64_u32 v[40:41], null, v27, s20, 0
	v_mad_u64_u32 v[27:28], null, v31, s20, 0
	v_mul_lo_u32 v31, v45, s20
	v_add_co_ci_u32_e32 v18, vcc_lo, s3, v18, vcc_lo
	v_add_co_u32 v36, vcc_lo, s2, v36
	v_add3_u32 v41, v41, v43, v46
	v_mul_lo_u32 v46, v34, s21
	v_mad_u64_u32 v[42:43], null, v34, s20, 0
	v_add3_u32 v28, v28, v48, v47
	v_mul_lo_u32 v47, v44, s20
	v_mul_lo_u32 v48, v35, s21
	v_mad_u64_u32 v[44:45], null, v35, s20, 0
	v_lshlrev_b64 v[40:41], 1, v[40:41]
	v_add_co_ci_u32_e32 v37, vcc_lo, s3, v37, vcc_lo
	v_add_co_u32 v38, vcc_lo, s2, v38
	v_lshlrev_b64 v[27:28], 1, v[27:28]
	v_add3_u32 v43, v43, v46, v31
	v_add_co_ci_u32_e32 v39, vcc_lo, s3, v39, vcc_lo
	v_add_co_u32 v40, vcc_lo, s18, v40
	v_add3_u32 v45, v45, v48, v47
	v_add_co_ci_u32_e32 v41, vcc_lo, s19, v41, vcc_lo
	v_lshlrev_b64 v[34:35], 1, v[42:43]
	v_add_co_u32 v42, vcc_lo, s18, v27
	v_add_co_ci_u32_e32 v43, vcc_lo, s19, v28, vcc_lo
	v_lshlrev_b64 v[27:28], 1, v[44:45]
	s_delay_alu instid0(VALU_DEP_4) | instskip(SKIP_1) | instid1(VALU_DEP_3)
	v_add_co_u32 v44, vcc_lo, s18, v34
	v_add_co_ci_u32_e32 v45, vcc_lo, s19, v35, vcc_lo
	v_add_co_u32 v46, vcc_lo, s18, v27
	s_delay_alu instid0(VALU_DEP_4)
	v_add_co_ci_u32_e32 v47, vcc_lo, s19, v28, vcc_lo
	s_clause 0x3
	global_load_u16 v34, v[32:33], off
	global_load_u16 v33, v[17:18], off
	global_load_u16 v36, v[36:37], off
	global_load_u16 v28, v[38:39], off
	s_clause 0x3
	global_load_u16 v32, v[40:41], off
	global_load_u16 v31, v[42:43], off
	;; [unrolled: 1-line block ×4, first 2 shown]
.LBB10_9:                               ;   in Loop: Header=BB10_3 Depth=1
	s_waitcnt vmcnt(6)
	v_cvt_f32_f16_e32 v17, v29
	s_waitcnt vmcnt(2)
	v_cvt_f32_f16_e32 v18, v30
	v_cvt_f32_f16_e32 v29, v36
	s_delay_alu instid0(VALU_DEP_2) | instskip(SKIP_2) | instid1(VALU_DEP_2)
	v_add_f32_e32 v17, v17, v18
	s_waitcnt vmcnt(1)
	v_cvt_f32_f16_e32 v18, v35
	v_add_f32_e32 v17, v17, v29
                                        ; implicit-def: $vgpr29
	s_delay_alu instid0(VALU_DEP_1) | instskip(NEXT) | instid1(VALU_DEP_1)
	v_add_f32_e32 v17, v17, v18
	v_cmp_ngt_f32_e64 s0, 0x3f200000, |v17|
	s_delay_alu instid0(VALU_DEP_1) | instskip(NEXT) | instid1(SALU_CYCLE_1)
	s_and_saveexec_b32 s1, s0
	s_xor_b32 s0, exec_lo, s1
	s_cbranch_execz .LBB10_11
; %bb.10:                               ;   in Loop: Header=BB10_3 Depth=1
	v_add_f32_e64 v18, |v17|, |v17|
	s_delay_alu instid0(VALU_DEP_1) | instskip(SKIP_1) | instid1(VALU_DEP_2)
	v_mul_f32_e32 v29, 0x3fb8aa3b, v18
	v_cmp_ngt_f32_e32 vcc_lo, 0xc2ce8ed0, v18
	v_rndne_f32_e32 v30, v29
	v_fma_f32 v35, 0x3fb8aa3b, v18, -v29
	s_delay_alu instid0(VALU_DEP_2) | instskip(NEXT) | instid1(VALU_DEP_2)
	v_sub_f32_e32 v29, v29, v30
	v_fmac_f32_e32 v35, 0x32a5705f, v18
	v_cvt_i32_f32_e32 v30, v30
	s_delay_alu instid0(VALU_DEP_2) | instskip(NEXT) | instid1(VALU_DEP_1)
	v_add_f32_e32 v29, v29, v35
	v_exp_f32_e32 v29, v29
	s_waitcnt_depctr 0xfff
	v_ldexp_f32 v29, v29, v30
	s_delay_alu instid0(VALU_DEP_1) | instskip(SKIP_1) | instid1(VALU_DEP_2)
	v_cndmask_b32_e32 v29, 0, v29, vcc_lo
	v_cmp_nlt_f32_e32 vcc_lo, 0x42b17218, v18
	v_cndmask_b32_e32 v18, 0x7f800000, v29, vcc_lo
	s_delay_alu instid0(VALU_DEP_1) | instskip(NEXT) | instid1(VALU_DEP_1)
	v_add_f32_e32 v18, 1.0, v18
	v_rcp_f32_e32 v18, v18
	s_waitcnt_depctr 0xfff
	v_fma_f32 v29, v18, -2.0, 1.0
.LBB10_11:                              ;   in Loop: Header=BB10_3 Depth=1
	s_and_not1_saveexec_b32 s0, s0
; %bb.12:                               ;   in Loop: Header=BB10_3 Depth=1
	v_mul_f32_e32 v18, v17, v17
	s_delay_alu instid0(VALU_DEP_1) | instskip(NEXT) | instid1(VALU_DEP_1)
	v_fmaak_f32 v29, s44, v18, 0x3ca908c9
	v_fmaak_f32 v29, v18, v29, 0xbd5c1c4e
	s_delay_alu instid0(VALU_DEP_1) | instskip(NEXT) | instid1(VALU_DEP_1)
	v_fmaak_f32 v29, v18, v29, 0x3e088382
	v_fmaak_f32 v29, v18, v29, 0xbeaaaa99
	s_delay_alu instid0(VALU_DEP_1) | instskip(NEXT) | instid1(VALU_DEP_1)
	v_mul_f32_e64 v29, |v17|, v29
	v_fma_f32 v29, v18, v29, |v17|
; %bb.13:                               ;   in Loop: Header=BB10_3 Depth=1
	s_or_b32 exec_lo, exec_lo, s0
	v_cvt_f32_f16_e32 v18, v25
	v_cvt_f32_f16_e32 v25, v26
	v_cvt_f32_f16_e32 v23, v23
	v_cvt_f32_f16_e32 v24, v24
	v_cvt_f32_f16_e32 v26, v34
	v_bfi_b32 v17, 0x7fffffff, v29, v17
	v_add_f32_e32 v18, v18, v25
	v_cvt_f32_f16_e32 v25, v33
	v_add_f32_e32 v23, v23, v24
	v_cvt_f32_f16_e32 v24, v32
	s_delay_alu instid0(VALU_DEP_4) | instskip(SKIP_1) | instid1(VALU_DEP_2)
	v_add_f32_e32 v18, v18, v26
	v_cvt_f32_f16_e32 v26, v31
	v_dual_add_f32 v23, v23, v25 :: v_dual_add_f32 v18, v18, v24
	s_delay_alu instid0(VALU_DEP_1) | instskip(NEXT) | instid1(VALU_DEP_2)
	v_add_f32_e32 v23, v23, v26
	v_mul_f32_e32 v24, 0xbfb8aa3b, v18
	v_cmp_nlt_f32_e32 vcc_lo, 0x42ce8ed0, v18
	s_delay_alu instid0(VALU_DEP_3) | instskip(NEXT) | instid1(VALU_DEP_3)
	v_mul_f32_e32 v25, 0xbfb8aa3b, v23
	v_fma_f32 v26, 0xbfb8aa3b, v18, -v24
	v_rndne_f32_e32 v30, v24
	s_delay_alu instid0(VALU_DEP_3) | instskip(SKIP_1) | instid1(VALU_DEP_4)
	v_fma_f32 v31, 0xbfb8aa3b, v23, -v25
	v_rndne_f32_e32 v32, v25
	v_fmac_f32_e32 v26, 0xb2a5705f, v18
	s_delay_alu instid0(VALU_DEP_3) | instskip(NEXT) | instid1(VALU_DEP_1)
	v_dual_sub_f32 v24, v24, v30 :: v_dual_fmac_f32 v31, 0xb2a5705f, v23
	v_dual_sub_f32 v25, v25, v32 :: v_dual_add_f32 v24, v24, v26
	v_cvt_i32_f32_e32 v26, v30
	s_delay_alu instid0(VALU_DEP_2) | instskip(SKIP_1) | instid1(VALU_DEP_4)
	v_add_f32_e32 v25, v25, v31
	v_cvt_i32_f32_e32 v30, v32
	v_exp_f32_e32 v24, v24
	s_delay_alu instid0(VALU_DEP_2) | instskip(SKIP_3) | instid1(VALU_DEP_2)
	v_exp_f32_e32 v25, v25
	s_waitcnt_depctr 0xfff
	v_ldexp_f32 v24, v24, v26
	v_ldexp_f32 v25, v25, v30
	v_cndmask_b32_e32 v24, 0, v24, vcc_lo
	v_cmp_nlt_f32_e32 vcc_lo, 0x42ce8ed0, v23
	s_delay_alu instid0(VALU_DEP_3) | instskip(SKIP_1) | instid1(VALU_DEP_4)
	v_cndmask_b32_e32 v25, 0, v25, vcc_lo
	v_cmp_ngt_f32_e32 vcc_lo, 0xc2b17218, v18
	v_cndmask_b32_e32 v18, 0x7f800000, v24, vcc_lo
	v_cmp_ngt_f32_e32 vcc_lo, 0xc2b17218, v23
	s_delay_alu instid0(VALU_DEP_4) | instskip(NEXT) | instid1(VALU_DEP_1)
	v_cndmask_b32_e32 v23, 0x7f800000, v25, vcc_lo
	v_dual_add_f32 v23, 1.0, v23 :: v_dual_add_f32 v18, 1.0, v18
	s_delay_alu instid0(VALU_DEP_1) | instskip(NEXT) | instid1(VALU_DEP_2)
	v_div_scale_f32 v25, null, v23, v23, 1.0
	v_div_scale_f32 v24, null, v18, v18, 1.0
	v_div_scale_f32 v33, vcc_lo, 1.0, v18, 1.0
	s_delay_alu instid0(VALU_DEP_3) | instskip(NEXT) | instid1(VALU_DEP_2)
	v_rcp_f32_e32 v30, v25
	v_rcp_f32_e32 v26, v24
	s_waitcnt_depctr 0xfff
	v_fma_f32 v32, -v25, v30, 1.0
	v_fma_f32 v31, -v24, v26, 1.0
	s_delay_alu instid0(VALU_DEP_2) | instskip(NEXT) | instid1(VALU_DEP_2)
	v_fmac_f32_e32 v30, v32, v30
	v_fmac_f32_e32 v26, v31, v26
	v_div_scale_f32 v31, s0, 1.0, v23, 1.0
	s_delay_alu instid0(VALU_DEP_2) | instskip(NEXT) | instid1(VALU_DEP_2)
	v_mul_f32_e32 v32, v33, v26
	v_mul_f32_e32 v34, v31, v30
	s_delay_alu instid0(VALU_DEP_2) | instskip(NEXT) | instid1(VALU_DEP_2)
	v_fma_f32 v35, -v24, v32, v33
	v_fma_f32 v36, -v25, v34, v31
	s_delay_alu instid0(VALU_DEP_2) | instskip(NEXT) | instid1(VALU_DEP_2)
	v_fmac_f32_e32 v32, v35, v26
	v_fmac_f32_e32 v34, v36, v30
	s_delay_alu instid0(VALU_DEP_2) | instskip(NEXT) | instid1(VALU_DEP_2)
	v_fma_f32 v24, -v24, v32, v33
	v_fma_f32 v25, -v25, v34, v31
	s_delay_alu instid0(VALU_DEP_2) | instskip(SKIP_1) | instid1(VALU_DEP_2)
	v_div_fmas_f32 v24, v24, v26, v32
	s_mov_b32 vcc_lo, s0
	v_div_fmas_f32 v25, v25, v30, v34
	s_delay_alu instid0(VALU_DEP_2) | instskip(NEXT) | instid1(VALU_DEP_2)
	v_div_fixup_f32 v18, v24, v18, 1.0
	v_div_fixup_f32 v23, v25, v23, 1.0
	s_delay_alu instid0(VALU_DEP_2) | instskip(SKIP_1) | instid1(VALU_DEP_1)
	v_mul_f32_e32 v24, v18, v17
	s_waitcnt vmcnt(0)
	v_fma_mix_f32 v22, v23, v22, v24 op_sel_hi:[0,1,0]
                                        ; implicit-def: $vgpr24
	s_delay_alu instid0(VALU_DEP_1) | instskip(NEXT) | instid1(VALU_DEP_1)
	v_cmp_ngt_f32_e64 s0, 0x3f200000, |v22|
	s_and_saveexec_b32 s1, s0
	s_delay_alu instid0(SALU_CYCLE_1)
	s_xor_b32 s0, exec_lo, s1
	s_cbranch_execz .LBB10_15
; %bb.14:                               ;   in Loop: Header=BB10_3 Depth=1
	v_add_f32_e64 v24, |v22|, |v22|
	s_delay_alu instid0(VALU_DEP_1) | instskip(SKIP_1) | instid1(VALU_DEP_2)
	v_mul_f32_e32 v25, 0x3fb8aa3b, v24
	v_cmp_ngt_f32_e32 vcc_lo, 0xc2ce8ed0, v24
	v_rndne_f32_e32 v26, v25
	v_fma_f32 v29, 0x3fb8aa3b, v24, -v25
	s_delay_alu instid0(VALU_DEP_2) | instskip(NEXT) | instid1(VALU_DEP_2)
	v_sub_f32_e32 v25, v25, v26
	v_fmac_f32_e32 v29, 0x32a5705f, v24
	v_cvt_i32_f32_e32 v26, v26
	s_delay_alu instid0(VALU_DEP_2) | instskip(NEXT) | instid1(VALU_DEP_1)
	v_add_f32_e32 v25, v25, v29
	v_exp_f32_e32 v25, v25
	s_waitcnt_depctr 0xfff
	v_ldexp_f32 v25, v25, v26
	s_delay_alu instid0(VALU_DEP_1) | instskip(SKIP_1) | instid1(VALU_DEP_2)
	v_cndmask_b32_e32 v25, 0, v25, vcc_lo
	v_cmp_nlt_f32_e32 vcc_lo, 0x42b17218, v24
	v_cndmask_b32_e32 v24, 0x7f800000, v25, vcc_lo
	s_delay_alu instid0(VALU_DEP_1) | instskip(NEXT) | instid1(VALU_DEP_1)
	v_add_f32_e32 v24, 1.0, v24
	v_rcp_f32_e32 v24, v24
	s_waitcnt_depctr 0xfff
	v_fma_f32 v24, v24, -2.0, 1.0
.LBB10_15:                              ;   in Loop: Header=BB10_3 Depth=1
	s_and_not1_saveexec_b32 s0, s0
	s_cbranch_execz .LBB10_2
; %bb.16:                               ;   in Loop: Header=BB10_3 Depth=1
	v_mul_f32_e32 v24, v22, v22
	s_delay_alu instid0(VALU_DEP_1) | instskip(NEXT) | instid1(VALU_DEP_1)
	v_fmaak_f32 v25, s44, v24, 0x3ca908c9
	v_fmaak_f32 v25, v24, v25, 0xbd5c1c4e
	s_delay_alu instid0(VALU_DEP_1) | instskip(NEXT) | instid1(VALU_DEP_1)
	v_fmaak_f32 v25, v24, v25, 0x3e088382
	v_fmaak_f32 v25, v24, v25, 0xbeaaaa99
	s_delay_alu instid0(VALU_DEP_1) | instskip(NEXT) | instid1(VALU_DEP_1)
	v_mul_f32_e64 v25, |v22|, v25
	v_fma_f32 v24, v24, v25, |v22|
	s_branch .LBB10_2
.LBB10_17:
	s_nop 0
	s_sendmsg sendmsg(MSG_DEALLOC_VGPRS)
	s_endpgm
	.section	.rodata,"a",@progbits
	.p2align	6, 0x0
	.amdhsa_kernel _ZN2at6native12_GLOBAL__N_16kernel17lstm_cell_forwardIN3c104HalfEflLi1EEEvNS_4cuda6detail10TensorInfoIT_T1_EESB_SB_SB_SB_SB_SB_SB_SA_SA_
		.amdhsa_group_segment_fixed_size 0
		.amdhsa_private_segment_fixed_size 0
		.amdhsa_kernarg_size 3600
		.amdhsa_user_sgpr_count 15
		.amdhsa_user_sgpr_dispatch_ptr 0
		.amdhsa_user_sgpr_queue_ptr 0
		.amdhsa_user_sgpr_kernarg_segment_ptr 1
		.amdhsa_user_sgpr_dispatch_id 0
		.amdhsa_user_sgpr_private_segment_size 0
		.amdhsa_wavefront_size32 1
		.amdhsa_uses_dynamic_stack 0
		.amdhsa_enable_private_segment 0
		.amdhsa_system_sgpr_workgroup_id_x 1
		.amdhsa_system_sgpr_workgroup_id_y 0
		.amdhsa_system_sgpr_workgroup_id_z 0
		.amdhsa_system_sgpr_workgroup_info 0
		.amdhsa_system_vgpr_workitem_id 0
		.amdhsa_next_free_vgpr 49
		.amdhsa_next_free_sgpr 48
		.amdhsa_reserve_vcc 1
		.amdhsa_float_round_mode_32 0
		.amdhsa_float_round_mode_16_64 0
		.amdhsa_float_denorm_mode_32 3
		.amdhsa_float_denorm_mode_16_64 3
		.amdhsa_dx10_clamp 1
		.amdhsa_ieee_mode 1
		.amdhsa_fp16_overflow 0
		.amdhsa_workgroup_processor_mode 1
		.amdhsa_memory_ordered 1
		.amdhsa_forward_progress 0
		.amdhsa_shared_vgpr_count 0
		.amdhsa_exception_fp_ieee_invalid_op 0
		.amdhsa_exception_fp_denorm_src 0
		.amdhsa_exception_fp_ieee_div_zero 0
		.amdhsa_exception_fp_ieee_overflow 0
		.amdhsa_exception_fp_ieee_underflow 0
		.amdhsa_exception_fp_ieee_inexact 0
		.amdhsa_exception_int_div_zero 0
	.end_amdhsa_kernel
	.section	.text._ZN2at6native12_GLOBAL__N_16kernel17lstm_cell_forwardIN3c104HalfEflLi1EEEvNS_4cuda6detail10TensorInfoIT_T1_EESB_SB_SB_SB_SB_SB_SB_SA_SA_,"axG",@progbits,_ZN2at6native12_GLOBAL__N_16kernel17lstm_cell_forwardIN3c104HalfEflLi1EEEvNS_4cuda6detail10TensorInfoIT_T1_EESB_SB_SB_SB_SB_SB_SB_SA_SA_,comdat
.Lfunc_end10:
	.size	_ZN2at6native12_GLOBAL__N_16kernel17lstm_cell_forwardIN3c104HalfEflLi1EEEvNS_4cuda6detail10TensorInfoIT_T1_EESB_SB_SB_SB_SB_SB_SB_SA_SA_, .Lfunc_end10-_ZN2at6native12_GLOBAL__N_16kernel17lstm_cell_forwardIN3c104HalfEflLi1EEEvNS_4cuda6detail10TensorInfoIT_T1_EESB_SB_SB_SB_SB_SB_SB_SA_SA_
                                        ; -- End function
	.section	.AMDGPU.csdata,"",@progbits
; Kernel info:
; codeLenInByte = 4600
; NumSgprs: 50
; NumVgprs: 49
; ScratchSize: 0
; MemoryBound: 0
; FloatMode: 240
; IeeeMode: 1
; LDSByteSize: 0 bytes/workgroup (compile time only)
; SGPRBlocks: 6
; VGPRBlocks: 6
; NumSGPRsForWavesPerEU: 50
; NumVGPRsForWavesPerEU: 49
; Occupancy: 16
; WaveLimiterHint : 1
; COMPUTE_PGM_RSRC2:SCRATCH_EN: 0
; COMPUTE_PGM_RSRC2:USER_SGPR: 15
; COMPUTE_PGM_RSRC2:TRAP_HANDLER: 0
; COMPUTE_PGM_RSRC2:TGID_X_EN: 1
; COMPUTE_PGM_RSRC2:TGID_Y_EN: 0
; COMPUTE_PGM_RSRC2:TGID_Z_EN: 0
; COMPUTE_PGM_RSRC2:TIDIG_COMP_CNT: 0
	.section	.text._ZN2at6native12_GLOBAL__N_16kernel17lstm_cell_forwardIN3c104HalfEflLi2EEEvNS_4cuda6detail10TensorInfoIT_T1_EESB_SB_SB_SB_SB_SB_SB_SA_SA_,"axG",@progbits,_ZN2at6native12_GLOBAL__N_16kernel17lstm_cell_forwardIN3c104HalfEflLi2EEEvNS_4cuda6detail10TensorInfoIT_T1_EESB_SB_SB_SB_SB_SB_SB_SA_SA_,comdat
	.globl	_ZN2at6native12_GLOBAL__N_16kernel17lstm_cell_forwardIN3c104HalfEflLi2EEEvNS_4cuda6detail10TensorInfoIT_T1_EESB_SB_SB_SB_SB_SB_SB_SA_SA_ ; -- Begin function _ZN2at6native12_GLOBAL__N_16kernel17lstm_cell_forwardIN3c104HalfEflLi2EEEvNS_4cuda6detail10TensorInfoIT_T1_EESB_SB_SB_SB_SB_SB_SB_SA_SA_
	.p2align	8
	.type	_ZN2at6native12_GLOBAL__N_16kernel17lstm_cell_forwardIN3c104HalfEflLi2EEEvNS_4cuda6detail10TensorInfoIT_T1_EESB_SB_SB_SB_SB_SB_SB_SA_SA_,@function
_ZN2at6native12_GLOBAL__N_16kernel17lstm_cell_forwardIN3c104HalfEflLi2EEEvNS_4cuda6detail10TensorInfoIT_T1_EESB_SB_SB_SB_SB_SB_SB_SA_SA_: ; @_ZN2at6native12_GLOBAL__N_16kernel17lstm_cell_forwardIN3c104HalfEflLi2EEEvNS_4cuda6detail10TensorInfoIT_T1_EESB_SB_SB_SB_SB_SB_SB_SA_SA_
; %bb.0:
	s_clause 0x1
	s_load_b32 s2, s[0:1], 0xd1c
	s_load_b128 s[4:7], s[0:1], 0xd00
	v_mov_b32_e32 v1, 0
	s_add_u32 s16, s0, 0xd10
	s_addc_u32 s17, s1, 0
	s_waitcnt lgkmcnt(0)
	s_and_b32 s64, s2, 0xffff
	s_mov_b32 s2, exec_lo
	v_mad_u64_u32 v[3:4], null, s15, s64, v[0:1]
	v_mov_b32_e32 v4, v1
	s_delay_alu instid0(VALU_DEP_1)
	v_cmpx_gt_i64_e64 s[6:7], v[3:4]
	s_cbranch_execz .LBB11_77
; %bb.1:
	v_cvt_f32_u32_e32 v0, s4
	s_clause 0x6
	s_load_b64 s[2:3], s[0:1], 0x0
	s_load_b64 s[34:35], s[0:1], 0x10
	s_load_b128 s[8:11], s[0:1], 0xd0
	s_load_b64 s[36:37], s[0:1], 0x1a0
	s_load_b64 s[38:39], s[0:1], 0x340
	;; [unrolled: 1-line block ×3, first 2 shown]
	s_load_b128 s[12:15], s[0:1], 0x270
	s_load_b32 s65, s[16:17], 0x0
	s_clause 0xe
	s_load_b64 s[42:43], s[0:1], 0x410
	s_load_b64 s[44:45], s[0:1], 0x4e0
	;; [unrolled: 1-line block ×5, first 2 shown]
	s_load_b128 s[16:19], s[0:1], 0x750
	s_load_b64 s[52:53], s[0:1], 0x820
	s_load_b64 s[54:55], s[0:1], 0x830
	s_load_b128 s[20:23], s[0:1], 0x8f0
	s_load_b64 s[56:57], s[0:1], 0x9c0
	s_load_b64 s[58:59], s[0:1], 0x9d0
	;; [unrolled: 3-line block ×3, first 2 shown]
	s_load_b128 s[28:31], s[0:1], 0xc30
	s_mul_i32 s0, s5, 3
	s_mul_hi_u32 s1, s4, 3
	v_rcp_iflag_f32_e32 v0, v0
	s_mov_b32 s69, 0
	s_waitcnt lgkmcnt(0)
	s_cmp_lg_u64 s[38:39], 0
	s_mul_i32 s71, s4, 3
	s_cselect_b32 s33, -1, 0
	s_add_i32 s70, s1, s0
	s_sub_u32 s72, 0, s4
	s_subb_u32 s73, 0, s5
	s_mul_i32 s68, s65, s64
	s_mov_b32 s80, 0xbbbac73d
	s_waitcnt_depctr 0xfff
	v_mul_f32_e32 v0, 0x4f7ffffe, v0
	s_sub_u32 s74, 0, s50
	s_subb_u32 s75, 0, s51
	s_sub_u32 s76, 0, s54
	s_subb_u32 s77, 0, s55
	v_cvt_u32_f32_e32 v0, v0
	s_sub_u32 s78, 0, s58
	s_subb_u32 s79, 0, s59
	s_branch .LBB11_3
.LBB11_2:                               ;   in Loop: Header=BB11_3 Depth=1
	s_or_b32 exec_lo, exec_lo, s0
	v_cvt_f32_f16_e32 v29, v31
	v_cvt_f32_f16_e32 v30, v37
	;; [unrolled: 1-line block ×3, first 2 shown]
	v_mul_lo_u32 v46, v22, s62
	v_mul_lo_u32 v48, v22, s28
	;; [unrolled: 1-line block ×3, first 2 shown]
	v_add_f32_e32 v29, v29, v30
	v_cvt_f32_f16_e32 v30, v35
	v_mul_lo_u32 v41, v25, s25
	v_mul_lo_u32 v38, s78, v26
	v_mul_lo_u32 v39, s79, v25
	v_add_f32_e32 v29, v29, v31
	v_mul_lo_u32 v42, s76, v24
	v_mul_lo_u32 v43, s77, v23
	;; [unrolled: 1-line block ×4, first 2 shown]
	v_add_f32_e32 v37, v29, v30
	v_mad_u64_u32 v[29:30], null, s78, v25, v[3:4]
	v_mul_lo_u32 v47, v21, s63
	v_mul_lo_u32 v49, v21, s29
	s_delay_alu instid0(VALU_DEP_4)
	v_mul_f32_e32 v31, 0xbfb8aa3b, v37
	v_cmp_nlt_f32_e32 vcc_lo, 0x42ce8ed0, v37
	v_mul_lo_u32 v50, v20, s62
	v_mul_lo_u32 v52, v19, s63
	v_add3_u32 v39, v39, v30, v38
	v_fma_f32 v33, 0xbfb8aa3b, v37, -v31
	v_rndne_f32_e32 v35, v31
	v_mul_lo_u32 v53, v29, s27
	v_mul_lo_u32 v20, v20, s28
	;; [unrolled: 1-line block ×3, first 2 shown]
	s_delay_alu instid0(VALU_DEP_4) | instskip(SKIP_3) | instid1(VALU_DEP_4)
	v_dual_fmac_f32 v33, 0xb2a5705f, v37 :: v_dual_sub_f32 v34, v31, v35
	v_cvt_i32_f32_e32 v35, v35
	v_mad_u64_u32 v[31:32], null, v25, s24, 0
	v_mad_u64_u32 v[25:26], null, s76, v23, v[3:4]
	v_add_f32_e32 v33, v34, v33
	v_cvt_f16_f32_e32 v9, v9
	v_cvt_f16_f32_e32 v2, v2
	v_cvt_f16_f32_e32 v10, v10
	v_add3_u32 v32, v32, v41, v40
	v_exp_f32_e32 v36, v33
	v_mad_u64_u32 v[33:34], null, v23, s20, 0
	v_add3_u32 v26, v43, v26, v42
	v_mad_u64_u32 v[23:24], null, v21, s62, 0
	v_mul_lo_u32 v40, v25, s23
	s_delay_alu instid0(VALU_DEP_3) | instskip(SKIP_1) | instid1(TRANS32_DEP_1)
	v_mul_lo_u32 v26, v26, s22
	v_add3_u32 v34, v34, v45, v44
	v_ldexp_f32 v22, v36, v35
	v_mad_u64_u32 v[35:36], null, v21, s28, 0
	v_add3_u32 v42, v24, v47, v46
	s_delay_alu instid0(VALU_DEP_3) | instskip(SKIP_3) | instid1(VALU_DEP_4)
	v_cndmask_b32_e32 v51, 0, v22, vcc_lo
	v_cmp_ngt_f32_e32 vcc_lo, 0xc2b17218, v37
	v_mad_u64_u32 v[37:38], null, v29, s26, 0
	v_mad_u64_u32 v[29:30], null, v25, s22, 0
	v_cndmask_b32_e32 v51, 0x7f800000, v51, vcc_lo
	v_add3_u32 v36, v36, v49, v48
	v_lshlrev_b64 v[24:25], 1, v[31:32]
	v_lshlrev_b64 v[31:32], 1, v[33:34]
	v_sub_co_u32 v13, vcc_lo, v13, v23
	v_add_f32_e32 v51, 1.0, v51
	v_mad_u64_u32 v[21:22], null, v19, s62, 0
	v_sub_co_ci_u32_e32 v23, vcc_lo, v14, v42, vcc_lo
	s_delay_alu instid0(VALU_DEP_3) | instskip(SKIP_2) | instid1(VALU_DEP_3)
	v_div_scale_f32 v41, null, v51, v51, 1.0
	v_add_co_u32 v34, vcc_lo, v3, v13
	v_lshlrev_b64 v[13:14], 1, v[35:36]
	v_rcp_f32_e32 v43, v41
	v_div_scale_f32 v35, s0, 1.0, v51, 1.0
	v_add3_u32 v22, v22, v52, v50
	v_add3_u32 v38, v38, v53, v39
	v_mul_lo_u32 v44, v34, s31
	v_add3_u32 v30, v30, v40, v26
	s_waitcnt_depctr 0xfff
	v_fma_f32 v33, -v41, v43, 1.0
	s_delay_alu instid0(VALU_DEP_1) | instskip(SKIP_2) | instid1(VALU_DEP_3)
	v_fmac_f32_e32 v43, v33, v43
	v_sub_co_u32 v33, s1, v11, v21
	v_add_co_ci_u32_e32 v21, vcc_lo, v4, v23, vcc_lo
	v_mul_f32_e32 v42, v35, v43
	v_sub_co_ci_u32_e64 v36, s1, v12, v22, s1
	v_mad_u64_u32 v[11:12], null, v34, s30, 0
	s_delay_alu instid0(VALU_DEP_3) | instskip(SKIP_3) | instid1(VALU_DEP_4)
	v_fma_f32 v23, -v41, v42, v35
	v_mul_lo_u32 v26, v21, s30
	v_add_co_u32 v34, vcc_lo, s56, v24
	v_lshlrev_b64 v[21:22], 1, v[37:38]
	v_fmac_f32_e32 v42, v23, v43
	v_add_co_ci_u32_e32 v25, vcc_lo, s57, v25, vcc_lo
	v_add_co_u32 v31, vcc_lo, s52, v31
	v_add_co_ci_u32_e32 v32, vcc_lo, s53, v32, vcc_lo
	v_add3_u32 v12, v12, v44, v26
	v_fma_f32 v26, -v41, v42, v35
	v_add_co_u32 v21, vcc_lo, v34, v21
	v_lshlrev_b64 v[23:24], 1, v[29:30]
	v_add_co_ci_u32_e32 v22, vcc_lo, v25, v22, vcc_lo
	s_mov_b32 vcc_lo, s0
	v_mul_lo_u32 v37, v17, s63
	v_div_fmas_f32 v25, v26, v43, v42
	s_delay_alu instid0(VALU_DEP_4) | instskip(SKIP_1) | instid1(VALU_DEP_3)
	v_add_co_u32 v23, vcc_lo, v31, v23
	v_add_co_ci_u32_e32 v24, vcc_lo, v32, v24, vcc_lo
	v_div_fixup_f32 v31, v25, v51, 1.0
	v_add_co_u32 v25, vcc_lo, v3, v33
	v_add_co_ci_u32_e32 v26, vcc_lo, v4, v36, vcc_lo
	v_add_co_u32 v32, vcc_lo, s60, v13
	v_add_co_ci_u32_e32 v33, vcc_lo, s61, v14, vcc_lo
	s_delay_alu instid0(VALU_DEP_3)
	v_mul_lo_u32 v34, v26, s30
	v_mul_lo_u32 v35, v25, s31
	v_mad_u64_u32 v[13:14], null, v25, s30, 0
	v_mul_lo_u32 v36, v18, s62
	v_mad_u64_u32 v[25:26], null, v17, s62, 0
	v_lshlrev_b64 v[11:12], 1, v[11:12]
	v_mul_lo_u32 v38, v19, s29
	v_mad_u64_u32 v[29:30], null, v19, s28, 0
	v_add3_u32 v14, v14, v35, v34
	v_mul_lo_u32 v34, v15, s63
	v_add_co_u32 v11, vcc_lo, v32, v11
	v_add3_u32 v19, v26, v37, v36
	v_add_co_ci_u32_e32 v12, vcc_lo, v33, v12, vcc_lo
	v_sub_co_u32 v7, vcc_lo, v7, v25
	s_delay_alu instid0(VALU_DEP_3) | instskip(SKIP_1) | instid1(VALU_DEP_3)
	v_sub_co_ci_u32_e32 v8, vcc_lo, v8, v19, vcc_lo
	v_mul_lo_u32 v33, v16, s62
	v_add_co_u32 v32, vcc_lo, v3, v7
	s_delay_alu instid0(VALU_DEP_3) | instskip(SKIP_4) | instid1(VALU_DEP_3)
	v_add_co_ci_u32_e32 v25, vcc_lo, v4, v8, vcc_lo
	v_mad_u64_u32 v[7:8], null, v15, s62, 0
	v_add3_u32 v30, v30, v38, v20
	v_mul_lo_u32 v35, v18, s28
	v_mul_lo_u32 v36, v17, s29
	v_lshlrev_b64 v[19:20], 1, v[29:30]
	v_add3_u32 v8, v8, v34, v33
	v_mul_lo_u32 v29, v25, s30
	v_mul_lo_u32 v30, v32, s31
	v_mad_u64_u32 v[25:26], null, v17, s28, 0
	v_mad_u64_u32 v[17:18], null, v32, s30, 0
	v_sub_co_u32 v5, vcc_lo, v5, v7
	v_sub_co_ci_u32_e32 v6, vcc_lo, v6, v8, vcc_lo
	s_delay_alu instid0(VALU_DEP_4) | instskip(NEXT) | instid1(VALU_DEP_3)
	v_add3_u32 v26, v26, v36, v35
	v_add_co_u32 v32, vcc_lo, v3, v5
	s_delay_alu instid0(VALU_DEP_3)
	v_add_co_ci_u32_e32 v33, vcc_lo, v4, v6, vcc_lo
	v_lshlrev_b64 v[5:6], 1, v[13:14]
	v_add3_u32 v18, v18, v30, v29
	v_mul_lo_u32 v29, v16, s28
	v_mul_lo_u32 v30, v15, s29
	v_mad_u64_u32 v[13:14], null, v15, s28, 0
	v_add_co_u32 v19, vcc_lo, s60, v19
	v_add_co_ci_u32_e32 v20, vcc_lo, s61, v20, vcc_lo
	v_lshlrev_b64 v[7:8], 1, v[25:26]
	v_mul_lo_u32 v25, v33, s30
	v_mul_lo_u32 v26, v32, s31
	v_mad_u64_u32 v[15:16], null, v32, s30, 0
	v_add_co_u32 v5, vcc_lo, v19, v5
	v_add3_u32 v14, v14, v30, v29
	v_add_co_ci_u32_e32 v6, vcc_lo, v20, v6, vcc_lo
	v_lshlrev_b64 v[17:18], 1, v[17:18]
	v_add_co_u32 v19, vcc_lo, s60, v7
	v_add_co_ci_u32_e32 v20, vcc_lo, s61, v8, vcc_lo
	v_add3_u32 v16, v16, v26, v25
	v_lshlrev_b64 v[7:8], 1, v[13:14]
	s_delay_alu instid0(VALU_DEP_4) | instskip(NEXT) | instid1(VALU_DEP_4)
	v_add_co_u32 v13, vcc_lo, v19, v17
	v_add_co_ci_u32_e32 v14, vcc_lo, v20, v18, vcc_lo
	s_delay_alu instid0(VALU_DEP_4) | instskip(NEXT) | instid1(VALU_DEP_4)
	v_lshlrev_b64 v[15:16], 1, v[15:16]
	v_add_co_u32 v7, vcc_lo, s60, v7
	v_add_co_ci_u32_e32 v8, vcc_lo, s61, v8, vcc_lo
	v_bfi_b32 v17, 0x7fffffff, v28, v27
	s_delay_alu instid0(VALU_DEP_3) | instskip(NEXT) | instid1(VALU_DEP_3)
	v_add_co_u32 v7, vcc_lo, v7, v15
	v_add_co_ci_u32_e32 v8, vcc_lo, v8, v16, vcc_lo
	v_add_co_u32 v3, vcc_lo, v3, s68
	v_add_co_ci_u32_e32 v4, vcc_lo, 0, v4, vcc_lo
	v_fma_mixlo_f16 v15, v31, v17, 0
	v_cvt_f16_f32_e32 v16, v27
	s_delay_alu instid0(VALU_DEP_3)
	v_cmp_le_i64_e32 vcc_lo, s[6:7], v[3:4]
	global_store_b16 v[23:24], v15, off
	v_cvt_f16_f32_e32 v15, v31
	global_store_b16 v[21:22], v16, off
	s_clause 0x1
	global_store_b16 v[7:8], v9, off
	global_store_b16 v[13:14], v10, off
	s_or_b32 s69, vcc_lo, s69
	s_clause 0x1
	global_store_b16 v[5:6], v2, off
	global_store_b16 v[11:12], v15, off
	s_and_not1_b32 exec_lo, exec_lo, s69
	s_cbranch_execz .LBB11_77
.LBB11_3:                               ; =>This Inner Loop Header: Depth=1
	v_or_b32_e32 v2, s5, v4
	v_ashrrev_i32_e32 v27, 31, v4
                                        ; implicit-def: $vgpr9_vgpr10
	s_mov_b32 s0, exec_lo
	s_delay_alu instid0(VALU_DEP_2)
	v_cmpx_ne_u64_e32 0, v[1:2]
	s_xor_b32 s1, exec_lo, s0
	s_cbranch_execz .LBB11_5
; %bb.4:                                ;   in Loop: Header=BB11_3 Depth=1
	s_ashr_i32 s64, s5, 31
	s_delay_alu instid0(SALU_CYCLE_1) | instskip(SKIP_2) | instid1(SALU_CYCLE_1)
	s_add_u32 s66, s4, s64
	s_mov_b32 s65, s64
	s_addc_u32 s67, s5, s64
	s_xor_b64 s[66:67], s[66:67], s[64:65]
	s_delay_alu instid0(SALU_CYCLE_1) | instskip(SKIP_3) | instid1(VALU_DEP_1)
	v_cvt_f32_u32_e32 v2, s66
	v_cvt_f32_u32_e32 v5, s67
	s_sub_u32 s0, 0, s66
	s_subb_u32 s65, 0, s67
	v_fmac_f32_e32 v2, 0x4f800000, v5
	s_delay_alu instid0(VALU_DEP_1) | instskip(SKIP_2) | instid1(VALU_DEP_1)
	v_rcp_f32_e32 v2, v2
	s_waitcnt_depctr 0xfff
	v_mul_f32_e32 v2, 0x5f7ffffc, v2
	v_mul_f32_e32 v5, 0x2f800000, v2
	s_delay_alu instid0(VALU_DEP_1) | instskip(NEXT) | instid1(VALU_DEP_1)
	v_trunc_f32_e32 v5, v5
	v_fmac_f32_e32 v2, 0xcf800000, v5
	v_cvt_u32_f32_e32 v5, v5
	s_delay_alu instid0(VALU_DEP_2) | instskip(NEXT) | instid1(VALU_DEP_2)
	v_cvt_u32_f32_e32 v2, v2
	v_mul_lo_u32 v6, s0, v5
	s_delay_alu instid0(VALU_DEP_2) | instskip(SKIP_1) | instid1(VALU_DEP_2)
	v_mul_hi_u32 v7, s0, v2
	v_mul_lo_u32 v8, s65, v2
	v_add_nc_u32_e32 v6, v7, v6
	v_mul_lo_u32 v7, s0, v2
	s_delay_alu instid0(VALU_DEP_2) | instskip(NEXT) | instid1(VALU_DEP_2)
	v_add_nc_u32_e32 v6, v6, v8
	v_mul_hi_u32 v8, v2, v7
	s_delay_alu instid0(VALU_DEP_2)
	v_mul_lo_u32 v9, v2, v6
	v_mul_hi_u32 v10, v2, v6
	v_mul_hi_u32 v11, v5, v7
	v_mul_lo_u32 v7, v5, v7
	v_mul_hi_u32 v12, v5, v6
	v_mul_lo_u32 v6, v5, v6
	v_add_co_u32 v8, vcc_lo, v8, v9
	v_add_co_ci_u32_e32 v9, vcc_lo, 0, v10, vcc_lo
	s_delay_alu instid0(VALU_DEP_2) | instskip(NEXT) | instid1(VALU_DEP_2)
	v_add_co_u32 v7, vcc_lo, v8, v7
	v_add_co_ci_u32_e32 v7, vcc_lo, v9, v11, vcc_lo
	v_add_co_ci_u32_e32 v8, vcc_lo, 0, v12, vcc_lo
	s_delay_alu instid0(VALU_DEP_2) | instskip(NEXT) | instid1(VALU_DEP_2)
	v_add_co_u32 v6, vcc_lo, v7, v6
	v_add_co_ci_u32_e32 v7, vcc_lo, 0, v8, vcc_lo
	s_delay_alu instid0(VALU_DEP_2) | instskip(NEXT) | instid1(VALU_DEP_2)
	v_add_co_u32 v2, vcc_lo, v2, v6
	v_add_co_ci_u32_e32 v5, vcc_lo, v5, v7, vcc_lo
	s_delay_alu instid0(VALU_DEP_2) | instskip(SKIP_1) | instid1(VALU_DEP_3)
	v_mul_hi_u32 v6, s0, v2
	v_mul_lo_u32 v8, s65, v2
	v_mul_lo_u32 v7, s0, v5
	s_delay_alu instid0(VALU_DEP_1) | instskip(SKIP_1) | instid1(VALU_DEP_2)
	v_add_nc_u32_e32 v6, v6, v7
	v_mul_lo_u32 v7, s0, v2
	v_add_nc_u32_e32 v6, v6, v8
	s_delay_alu instid0(VALU_DEP_2) | instskip(NEXT) | instid1(VALU_DEP_2)
	v_mul_hi_u32 v8, v2, v7
	v_mul_lo_u32 v9, v2, v6
	v_mul_hi_u32 v10, v2, v6
	v_mul_hi_u32 v11, v5, v7
	v_mul_lo_u32 v7, v5, v7
	v_mul_hi_u32 v12, v5, v6
	v_mul_lo_u32 v6, v5, v6
	v_add_co_u32 v8, vcc_lo, v8, v9
	v_add_co_ci_u32_e32 v9, vcc_lo, 0, v10, vcc_lo
	s_delay_alu instid0(VALU_DEP_2) | instskip(NEXT) | instid1(VALU_DEP_2)
	v_add_co_u32 v7, vcc_lo, v8, v7
	v_add_co_ci_u32_e32 v7, vcc_lo, v9, v11, vcc_lo
	v_add_co_ci_u32_e32 v8, vcc_lo, 0, v12, vcc_lo
	v_add_co_u32 v9, vcc_lo, v3, v27
	v_add_co_ci_u32_e32 v10, vcc_lo, v4, v27, vcc_lo
	s_delay_alu instid0(VALU_DEP_4) | instskip(NEXT) | instid1(VALU_DEP_4)
	v_add_co_u32 v6, vcc_lo, v7, v6
	v_add_co_ci_u32_e32 v7, vcc_lo, 0, v8, vcc_lo
	s_delay_alu instid0(VALU_DEP_4) | instskip(NEXT) | instid1(VALU_DEP_3)
	v_xor_b32_e32 v11, v9, v27
	v_add_co_u32 v2, vcc_lo, v2, v6
	s_delay_alu instid0(VALU_DEP_3) | instskip(SKIP_1) | instid1(VALU_DEP_3)
	v_add_co_ci_u32_e32 v12, vcc_lo, v5, v7, vcc_lo
	v_xor_b32_e32 v13, v10, v27
	v_mul_hi_u32 v14, v11, v2
	s_delay_alu instid0(VALU_DEP_3) | instskip(NEXT) | instid1(VALU_DEP_3)
	v_mad_u64_u32 v[5:6], null, v11, v12, 0
	v_mad_u64_u32 v[7:8], null, v13, v2, 0
	;; [unrolled: 1-line block ×3, first 2 shown]
	s_delay_alu instid0(VALU_DEP_3) | instskip(NEXT) | instid1(VALU_DEP_4)
	v_add_co_u32 v2, vcc_lo, v14, v5
	v_add_co_ci_u32_e32 v5, vcc_lo, 0, v6, vcc_lo
	s_delay_alu instid0(VALU_DEP_2) | instskip(NEXT) | instid1(VALU_DEP_2)
	v_add_co_u32 v2, vcc_lo, v2, v7
	v_add_co_ci_u32_e32 v2, vcc_lo, v5, v8, vcc_lo
	v_add_co_ci_u32_e32 v5, vcc_lo, 0, v10, vcc_lo
	s_delay_alu instid0(VALU_DEP_2) | instskip(NEXT) | instid1(VALU_DEP_2)
	v_add_co_u32 v2, vcc_lo, v2, v9
	v_add_co_ci_u32_e32 v7, vcc_lo, 0, v5, vcc_lo
	s_delay_alu instid0(VALU_DEP_2) | instskip(SKIP_1) | instid1(VALU_DEP_3)
	v_mul_lo_u32 v8, s67, v2
	v_mad_u64_u32 v[5:6], null, s66, v2, 0
	v_mul_lo_u32 v9, s66, v7
	s_delay_alu instid0(VALU_DEP_2) | instskip(NEXT) | instid1(VALU_DEP_2)
	v_sub_co_u32 v5, vcc_lo, v11, v5
	v_add3_u32 v6, v6, v9, v8
	s_delay_alu instid0(VALU_DEP_1) | instskip(NEXT) | instid1(VALU_DEP_1)
	v_sub_nc_u32_e32 v8, v13, v6
	v_subrev_co_ci_u32_e64 v8, s0, s67, v8, vcc_lo
	v_add_co_u32 v9, s0, v2, 2
	s_delay_alu instid0(VALU_DEP_1) | instskip(SKIP_3) | instid1(VALU_DEP_3)
	v_add_co_ci_u32_e64 v10, s0, 0, v7, s0
	v_sub_co_u32 v11, s0, v5, s66
	v_sub_co_ci_u32_e32 v6, vcc_lo, v13, v6, vcc_lo
	v_subrev_co_ci_u32_e64 v8, s0, 0, v8, s0
	v_cmp_le_u32_e32 vcc_lo, s66, v11
	s_delay_alu instid0(VALU_DEP_3) | instskip(SKIP_1) | instid1(VALU_DEP_4)
	v_cmp_eq_u32_e64 s0, s67, v6
	v_cndmask_b32_e64 v11, 0, -1, vcc_lo
	v_cmp_le_u32_e32 vcc_lo, s67, v8
	v_cndmask_b32_e64 v12, 0, -1, vcc_lo
	v_cmp_le_u32_e32 vcc_lo, s66, v5
	;; [unrolled: 2-line block ×3, first 2 shown]
	v_cndmask_b32_e64 v13, 0, -1, vcc_lo
	v_cmp_eq_u32_e32 vcc_lo, s67, v8
	s_delay_alu instid0(VALU_DEP_2) | instskip(SKIP_3) | instid1(VALU_DEP_3)
	v_cndmask_b32_e64 v5, v13, v5, s0
	v_cndmask_b32_e32 v8, v12, v11, vcc_lo
	v_add_co_u32 v11, vcc_lo, v2, 1
	v_add_co_ci_u32_e32 v12, vcc_lo, 0, v7, vcc_lo
	v_cmp_ne_u32_e32 vcc_lo, 0, v8
	s_delay_alu instid0(VALU_DEP_2) | instskip(NEXT) | instid1(VALU_DEP_4)
	v_cndmask_b32_e32 v6, v12, v10, vcc_lo
	v_cndmask_b32_e32 v8, v11, v9, vcc_lo
	v_cmp_ne_u32_e32 vcc_lo, 0, v5
	v_xor_b32_e32 v5, s64, v27
	s_delay_alu instid0(VALU_DEP_3) | instskip(SKIP_1) | instid1(VALU_DEP_2)
	v_cndmask_b32_e32 v2, v2, v8, vcc_lo
	v_cndmask_b32_e32 v6, v7, v6, vcc_lo
	v_xor_b32_e32 v2, v2, v5
	s_delay_alu instid0(VALU_DEP_2) | instskip(NEXT) | instid1(VALU_DEP_2)
	v_xor_b32_e32 v6, v6, v5
	v_sub_co_u32 v9, vcc_lo, v2, v5
	s_delay_alu instid0(VALU_DEP_2)
	v_sub_co_ci_u32_e32 v10, vcc_lo, v6, v5, vcc_lo
.LBB11_5:                               ;   in Loop: Header=BB11_3 Depth=1
	s_and_not1_saveexec_b32 s0, s1
	s_cbranch_execz .LBB11_7
; %bb.6:                                ;   in Loop: Header=BB11_3 Depth=1
	s_sub_i32 s1, 0, s4
	v_mov_b32_e32 v10, v1
	v_mul_lo_u32 v2, s1, v0
	s_delay_alu instid0(VALU_DEP_1) | instskip(NEXT) | instid1(VALU_DEP_1)
	v_mul_hi_u32 v2, v0, v2
	v_add_nc_u32_e32 v2, v0, v2
	s_delay_alu instid0(VALU_DEP_1) | instskip(NEXT) | instid1(VALU_DEP_1)
	v_mul_hi_u32 v2, v3, v2
	v_mul_lo_u32 v5, v2, s4
	v_add_nc_u32_e32 v6, 1, v2
	s_delay_alu instid0(VALU_DEP_2) | instskip(NEXT) | instid1(VALU_DEP_1)
	v_sub_nc_u32_e32 v5, v3, v5
	v_subrev_nc_u32_e32 v7, s4, v5
	v_cmp_le_u32_e32 vcc_lo, s4, v5
	s_delay_alu instid0(VALU_DEP_2) | instskip(NEXT) | instid1(VALU_DEP_1)
	v_dual_cndmask_b32 v5, v5, v7 :: v_dual_cndmask_b32 v2, v2, v6
	v_cmp_le_u32_e32 vcc_lo, s4, v5
	s_delay_alu instid0(VALU_DEP_2) | instskip(NEXT) | instid1(VALU_DEP_1)
	v_add_nc_u32_e32 v6, 1, v2
	v_cndmask_b32_e32 v9, v2, v6, vcc_lo
.LBB11_7:                               ;   in Loop: Header=BB11_3 Depth=1
	s_or_b32 exec_lo, exec_lo, s0
	s_delay_alu instid0(VALU_DEP_1) | instskip(SKIP_3) | instid1(VALU_DEP_1)
	v_mul_lo_u32 v2, s70, v9
	v_mul_lo_u32 v7, s71, v10
	v_mad_u64_u32 v[5:6], null, s71, v9, 0
	s_mov_b32 s0, exec_lo
	v_add3_u32 v6, v6, v7, v2
	s_delay_alu instid0(VALU_DEP_2) | instskip(NEXT) | instid1(VALU_DEP_2)
	v_add_co_u32 v18, vcc_lo, v3, v5
                                        ; implicit-def: $vgpr7_vgpr8
	v_add_co_ci_u32_e32 v20, vcc_lo, v4, v6, vcc_lo
	s_delay_alu instid0(VALU_DEP_1) | instskip(SKIP_1) | instid1(VALU_DEP_2)
	v_or_b32_e32 v2, s35, v20
	v_ashrrev_i32_e32 v17, 31, v20
	v_cmpx_ne_u64_e32 0, v[1:2]
	s_xor_b32 s1, exec_lo, s0
	s_cbranch_execz .LBB11_9
; %bb.8:                                ;   in Loop: Header=BB11_3 Depth=1
	s_ashr_i32 s64, s35, 31
	s_delay_alu instid0(SALU_CYCLE_1) | instskip(SKIP_2) | instid1(SALU_CYCLE_1)
	s_add_u32 s66, s34, s64
	s_mov_b32 s65, s64
	s_addc_u32 s67, s35, s64
	s_xor_b64 s[66:67], s[66:67], s[64:65]
	s_delay_alu instid0(SALU_CYCLE_1) | instskip(SKIP_3) | instid1(VALU_DEP_1)
	v_cvt_f32_u32_e32 v2, s66
	v_cvt_f32_u32_e32 v7, s67
	s_sub_u32 s0, 0, s66
	s_subb_u32 s65, 0, s67
	v_fmac_f32_e32 v2, 0x4f800000, v7
	s_delay_alu instid0(VALU_DEP_1) | instskip(SKIP_2) | instid1(VALU_DEP_1)
	v_rcp_f32_e32 v2, v2
	s_waitcnt_depctr 0xfff
	v_mul_f32_e32 v2, 0x5f7ffffc, v2
	v_mul_f32_e32 v7, 0x2f800000, v2
	s_delay_alu instid0(VALU_DEP_1) | instskip(NEXT) | instid1(VALU_DEP_1)
	v_trunc_f32_e32 v7, v7
	v_fmac_f32_e32 v2, 0xcf800000, v7
	v_cvt_u32_f32_e32 v7, v7
	s_delay_alu instid0(VALU_DEP_2) | instskip(NEXT) | instid1(VALU_DEP_2)
	v_cvt_u32_f32_e32 v2, v2
	v_mul_lo_u32 v8, s0, v7
	s_delay_alu instid0(VALU_DEP_2) | instskip(SKIP_1) | instid1(VALU_DEP_2)
	v_mul_hi_u32 v11, s0, v2
	v_mul_lo_u32 v12, s65, v2
	v_add_nc_u32_e32 v8, v11, v8
	v_mul_lo_u32 v11, s0, v2
	s_delay_alu instid0(VALU_DEP_2) | instskip(NEXT) | instid1(VALU_DEP_2)
	v_add_nc_u32_e32 v8, v8, v12
	v_mul_hi_u32 v12, v2, v11
	s_delay_alu instid0(VALU_DEP_2)
	v_mul_lo_u32 v13, v2, v8
	v_mul_hi_u32 v14, v2, v8
	v_mul_hi_u32 v15, v7, v11
	v_mul_lo_u32 v11, v7, v11
	v_mul_hi_u32 v16, v7, v8
	v_mul_lo_u32 v8, v7, v8
	v_add_co_u32 v12, vcc_lo, v12, v13
	v_add_co_ci_u32_e32 v13, vcc_lo, 0, v14, vcc_lo
	s_delay_alu instid0(VALU_DEP_2) | instskip(NEXT) | instid1(VALU_DEP_2)
	v_add_co_u32 v11, vcc_lo, v12, v11
	v_add_co_ci_u32_e32 v11, vcc_lo, v13, v15, vcc_lo
	v_add_co_ci_u32_e32 v12, vcc_lo, 0, v16, vcc_lo
	s_delay_alu instid0(VALU_DEP_2) | instskip(NEXT) | instid1(VALU_DEP_2)
	v_add_co_u32 v8, vcc_lo, v11, v8
	v_add_co_ci_u32_e32 v11, vcc_lo, 0, v12, vcc_lo
	s_delay_alu instid0(VALU_DEP_2) | instskip(NEXT) | instid1(VALU_DEP_2)
	v_add_co_u32 v2, vcc_lo, v2, v8
	v_add_co_ci_u32_e32 v7, vcc_lo, v7, v11, vcc_lo
	s_delay_alu instid0(VALU_DEP_2) | instskip(SKIP_1) | instid1(VALU_DEP_3)
	v_mul_hi_u32 v8, s0, v2
	v_mul_lo_u32 v12, s65, v2
	v_mul_lo_u32 v11, s0, v7
	s_delay_alu instid0(VALU_DEP_1) | instskip(SKIP_1) | instid1(VALU_DEP_2)
	v_add_nc_u32_e32 v8, v8, v11
	v_mul_lo_u32 v11, s0, v2
	v_add_nc_u32_e32 v8, v8, v12
	s_delay_alu instid0(VALU_DEP_2) | instskip(NEXT) | instid1(VALU_DEP_2)
	v_mul_hi_u32 v12, v2, v11
	v_mul_lo_u32 v13, v2, v8
	v_mul_hi_u32 v14, v2, v8
	v_mul_hi_u32 v15, v7, v11
	v_mul_lo_u32 v11, v7, v11
	v_mul_hi_u32 v16, v7, v8
	v_mul_lo_u32 v8, v7, v8
	v_add_co_u32 v12, vcc_lo, v12, v13
	v_add_co_ci_u32_e32 v13, vcc_lo, 0, v14, vcc_lo
	s_delay_alu instid0(VALU_DEP_2) | instskip(NEXT) | instid1(VALU_DEP_2)
	v_add_co_u32 v11, vcc_lo, v12, v11
	v_add_co_ci_u32_e32 v11, vcc_lo, v13, v15, vcc_lo
	v_add_co_ci_u32_e32 v12, vcc_lo, 0, v16, vcc_lo
	v_add_co_u32 v13, vcc_lo, v18, v17
	v_add_co_ci_u32_e32 v14, vcc_lo, v20, v17, vcc_lo
	s_delay_alu instid0(VALU_DEP_4) | instskip(NEXT) | instid1(VALU_DEP_4)
	v_add_co_u32 v8, vcc_lo, v11, v8
	v_add_co_ci_u32_e32 v11, vcc_lo, 0, v12, vcc_lo
	s_delay_alu instid0(VALU_DEP_4) | instskip(NEXT) | instid1(VALU_DEP_3)
	v_xor_b32_e32 v15, v13, v17
	v_add_co_u32 v2, vcc_lo, v2, v8
	s_delay_alu instid0(VALU_DEP_3) | instskip(SKIP_1) | instid1(VALU_DEP_3)
	v_add_co_ci_u32_e32 v16, vcc_lo, v7, v11, vcc_lo
	v_xor_b32_e32 v19, v14, v17
	v_mul_hi_u32 v21, v15, v2
	s_delay_alu instid0(VALU_DEP_3) | instskip(NEXT) | instid1(VALU_DEP_3)
	v_mad_u64_u32 v[7:8], null, v15, v16, 0
	v_mad_u64_u32 v[11:12], null, v19, v2, 0
	;; [unrolled: 1-line block ×3, first 2 shown]
	s_delay_alu instid0(VALU_DEP_3) | instskip(NEXT) | instid1(VALU_DEP_4)
	v_add_co_u32 v2, vcc_lo, v21, v7
	v_add_co_ci_u32_e32 v7, vcc_lo, 0, v8, vcc_lo
	s_delay_alu instid0(VALU_DEP_2) | instskip(NEXT) | instid1(VALU_DEP_2)
	v_add_co_u32 v2, vcc_lo, v2, v11
	v_add_co_ci_u32_e32 v2, vcc_lo, v7, v12, vcc_lo
	v_add_co_ci_u32_e32 v7, vcc_lo, 0, v14, vcc_lo
	s_delay_alu instid0(VALU_DEP_2) | instskip(NEXT) | instid1(VALU_DEP_2)
	v_add_co_u32 v2, vcc_lo, v2, v13
	v_add_co_ci_u32_e32 v11, vcc_lo, 0, v7, vcc_lo
	s_delay_alu instid0(VALU_DEP_2) | instskip(SKIP_1) | instid1(VALU_DEP_3)
	v_mul_lo_u32 v12, s67, v2
	v_mad_u64_u32 v[7:8], null, s66, v2, 0
	v_mul_lo_u32 v13, s66, v11
	s_delay_alu instid0(VALU_DEP_2) | instskip(NEXT) | instid1(VALU_DEP_2)
	v_sub_co_u32 v7, vcc_lo, v15, v7
	v_add3_u32 v8, v8, v13, v12
	s_delay_alu instid0(VALU_DEP_1) | instskip(NEXT) | instid1(VALU_DEP_1)
	v_sub_nc_u32_e32 v12, v19, v8
	v_subrev_co_ci_u32_e64 v12, s0, s67, v12, vcc_lo
	v_add_co_u32 v13, s0, v2, 2
	s_delay_alu instid0(VALU_DEP_1) | instskip(SKIP_3) | instid1(VALU_DEP_3)
	v_add_co_ci_u32_e64 v14, s0, 0, v11, s0
	v_sub_co_u32 v15, s0, v7, s66
	v_sub_co_ci_u32_e32 v8, vcc_lo, v19, v8, vcc_lo
	v_subrev_co_ci_u32_e64 v12, s0, 0, v12, s0
	v_cmp_le_u32_e32 vcc_lo, s66, v15
	s_delay_alu instid0(VALU_DEP_3) | instskip(SKIP_1) | instid1(VALU_DEP_4)
	v_cmp_eq_u32_e64 s0, s67, v8
	v_cndmask_b32_e64 v15, 0, -1, vcc_lo
	v_cmp_le_u32_e32 vcc_lo, s67, v12
	v_cndmask_b32_e64 v16, 0, -1, vcc_lo
	v_cmp_le_u32_e32 vcc_lo, s66, v7
	;; [unrolled: 2-line block ×3, first 2 shown]
	v_cndmask_b32_e64 v19, 0, -1, vcc_lo
	v_cmp_eq_u32_e32 vcc_lo, s67, v12
	s_delay_alu instid0(VALU_DEP_2) | instskip(SKIP_3) | instid1(VALU_DEP_3)
	v_cndmask_b32_e64 v7, v19, v7, s0
	v_cndmask_b32_e32 v12, v16, v15, vcc_lo
	v_add_co_u32 v15, vcc_lo, v2, 1
	v_add_co_ci_u32_e32 v16, vcc_lo, 0, v11, vcc_lo
	v_cmp_ne_u32_e32 vcc_lo, 0, v12
	s_delay_alu instid0(VALU_DEP_2) | instskip(NEXT) | instid1(VALU_DEP_4)
	v_cndmask_b32_e32 v8, v16, v14, vcc_lo
	v_cndmask_b32_e32 v12, v15, v13, vcc_lo
	v_cmp_ne_u32_e32 vcc_lo, 0, v7
	v_xor_b32_e32 v13, s64, v17
	s_delay_alu instid0(VALU_DEP_3) | instskip(SKIP_1) | instid1(VALU_DEP_2)
	v_cndmask_b32_e32 v2, v2, v12, vcc_lo
	v_cndmask_b32_e32 v7, v11, v8, vcc_lo
	v_xor_b32_e32 v2, v2, v13
	s_delay_alu instid0(VALU_DEP_2) | instskip(NEXT) | instid1(VALU_DEP_2)
	v_xor_b32_e32 v8, v7, v13
	v_sub_co_u32 v7, vcc_lo, v2, v13
	s_delay_alu instid0(VALU_DEP_2)
	v_sub_co_ci_u32_e32 v8, vcc_lo, v8, v13, vcc_lo
.LBB11_9:                               ;   in Loop: Header=BB11_3 Depth=1
	s_or_saveexec_b32 s0, s1
	v_cvt_f32_u32_e32 v31, s34
	s_xor_b32 exec_lo, exec_lo, s0
	s_cbranch_execz .LBB11_11
; %bb.10:                               ;   in Loop: Header=BB11_3 Depth=1
	s_delay_alu instid0(VALU_DEP_1) | instskip(SKIP_3) | instid1(VALU_DEP_1)
	v_rcp_iflag_f32_e32 v2, v31
	s_sub_i32 s1, 0, s34
	s_waitcnt_depctr 0xfff
	v_mul_f32_e32 v2, 0x4f7ffffe, v2
	v_cvt_u32_f32_e32 v2, v2
	s_delay_alu instid0(VALU_DEP_1) | instskip(NEXT) | instid1(VALU_DEP_1)
	v_mul_lo_u32 v7, s1, v2
	v_mul_hi_u32 v7, v2, v7
	s_delay_alu instid0(VALU_DEP_1) | instskip(NEXT) | instid1(VALU_DEP_1)
	v_add_nc_u32_e32 v2, v2, v7
	v_mul_hi_u32 v2, v18, v2
	s_delay_alu instid0(VALU_DEP_1) | instskip(SKIP_1) | instid1(VALU_DEP_2)
	v_mul_lo_u32 v7, v2, s34
	v_add_nc_u32_e32 v8, 1, v2
	v_sub_nc_u32_e32 v7, v18, v7
	s_delay_alu instid0(VALU_DEP_1) | instskip(SKIP_1) | instid1(VALU_DEP_2)
	v_subrev_nc_u32_e32 v11, s34, v7
	v_cmp_le_u32_e32 vcc_lo, s34, v7
	v_dual_cndmask_b32 v7, v7, v11 :: v_dual_cndmask_b32 v2, v2, v8
	s_delay_alu instid0(VALU_DEP_1) | instskip(NEXT) | instid1(VALU_DEP_2)
	v_cmp_le_u32_e32 vcc_lo, s34, v7
	v_add_nc_u32_e32 v8, 1, v2
	s_delay_alu instid0(VALU_DEP_1)
	v_dual_cndmask_b32 v7, v2, v8 :: v_dual_mov_b32 v8, v1
.LBB11_11:                              ;   in Loop: Header=BB11_3 Depth=1
	s_or_b32 exec_lo, exec_lo, s0
	s_delay_alu instid0(VALU_DEP_1) | instskip(NEXT) | instid1(VALU_DEP_2)
	v_mul_lo_u32 v2, v8, s34
	v_mul_lo_u32 v13, v7, s35
	v_mad_u64_u32 v[11:12], null, v7, s34, 0
	v_mul_lo_u32 v14, v7, s9
	s_mov_b32 s0, exec_lo
	s_delay_alu instid0(VALU_DEP_2) | instskip(SKIP_1) | instid1(VALU_DEP_4)
	v_add3_u32 v2, v12, v13, v2
	v_mul_lo_u32 v13, v8, s8
	v_sub_co_u32 v8, vcc_lo, v5, v11
	v_mad_u64_u32 v[11:12], null, v7, s8, 0
	s_delay_alu instid0(VALU_DEP_4) | instskip(NEXT) | instid1(VALU_DEP_3)
	v_sub_co_ci_u32_e32 v2, vcc_lo, v6, v2, vcc_lo
	v_add_co_u32 v15, vcc_lo, v3, v8
	s_delay_alu instid0(VALU_DEP_2) | instskip(NEXT) | instid1(VALU_DEP_2)
	v_add_co_ci_u32_e32 v2, vcc_lo, v4, v2, vcc_lo
	v_mul_lo_u32 v16, v15, s11
	v_mad_u64_u32 v[7:8], null, v15, s10, 0
	s_delay_alu instid0(VALU_DEP_3) | instskip(SKIP_2) | instid1(VALU_DEP_2)
	v_mul_lo_u32 v2, v2, s10
	v_add3_u32 v12, v12, v14, v13
	v_mad_u64_u32 v[13:14], null, v9, 3, 0
	v_lshlrev_b64 v[11:12], 1, v[11:12]
	s_delay_alu instid0(VALU_DEP_4) | instskip(NEXT) | instid1(VALU_DEP_2)
	v_add3_u32 v8, v8, v16, v2
	v_add_co_u32 v2, vcc_lo, s2, v11
	s_delay_alu instid0(VALU_DEP_2) | instskip(NEXT) | instid1(VALU_DEP_4)
	v_lshlrev_b64 v[7:8], 1, v[7:8]
	v_add_co_ci_u32_e32 v11, vcc_lo, s3, v12, vcc_lo
	s_delay_alu instid0(VALU_DEP_2) | instskip(NEXT) | instid1(VALU_DEP_2)
	v_add_co_u32 v7, vcc_lo, v2, v7
	v_add_co_ci_u32_e32 v8, vcc_lo, v11, v8, vcc_lo
	v_mov_b32_e32 v2, v14
                                        ; implicit-def: $vgpr14_vgpr15
	global_load_u16 v28, v[7:8], off
	v_mad_u64_u32 v[7:8], null, s4, v13, s[4:5]
	v_mad_u64_u32 v[11:12], null, v10, 3, v[2:3]
	v_mul_lo_u32 v2, s5, v13
	s_delay_alu instid0(VALU_DEP_3) | instskip(NEXT) | instid1(VALU_DEP_3)
	v_add_co_u32 v21, vcc_lo, v3, v7
	v_mul_lo_u32 v12, s4, v11
	s_delay_alu instid0(VALU_DEP_1) | instskip(NEXT) | instid1(VALU_DEP_1)
	v_add3_u32 v8, v2, v8, v12
	v_add_co_ci_u32_e32 v23, vcc_lo, v4, v8, vcc_lo
	s_delay_alu instid0(VALU_DEP_1) | instskip(SKIP_1) | instid1(VALU_DEP_2)
	v_or_b32_e32 v2, s35, v23
	v_ashrrev_i32_e32 v19, 31, v23
	v_cmpx_ne_u64_e32 0, v[1:2]
	s_xor_b32 s1, exec_lo, s0
	s_cbranch_execz .LBB11_13
; %bb.12:                               ;   in Loop: Header=BB11_3 Depth=1
	s_ashr_i32 s64, s35, 31
	s_delay_alu instid0(SALU_CYCLE_1) | instskip(SKIP_2) | instid1(SALU_CYCLE_1)
	s_add_u32 s66, s34, s64
	s_mov_b32 s65, s64
	s_addc_u32 s67, s35, s64
	s_xor_b64 s[66:67], s[66:67], s[64:65]
	s_delay_alu instid0(SALU_CYCLE_1) | instskip(SKIP_3) | instid1(VALU_DEP_1)
	v_cvt_f32_u32_e32 v2, s66
	v_cvt_f32_u32_e32 v12, s67
	s_sub_u32 s0, 0, s66
	s_subb_u32 s65, 0, s67
	v_fmac_f32_e32 v2, 0x4f800000, v12
	s_delay_alu instid0(VALU_DEP_1) | instskip(SKIP_2) | instid1(VALU_DEP_1)
	v_rcp_f32_e32 v2, v2
	s_waitcnt_depctr 0xfff
	v_mul_f32_e32 v2, 0x5f7ffffc, v2
	v_mul_f32_e32 v12, 0x2f800000, v2
	s_delay_alu instid0(VALU_DEP_1) | instskip(NEXT) | instid1(VALU_DEP_1)
	v_trunc_f32_e32 v12, v12
	v_fmac_f32_e32 v2, 0xcf800000, v12
	v_cvt_u32_f32_e32 v12, v12
	s_delay_alu instid0(VALU_DEP_2) | instskip(NEXT) | instid1(VALU_DEP_2)
	v_cvt_u32_f32_e32 v2, v2
	v_mul_lo_u32 v14, s0, v12
	s_delay_alu instid0(VALU_DEP_2) | instskip(SKIP_1) | instid1(VALU_DEP_2)
	v_mul_hi_u32 v15, s0, v2
	v_mul_lo_u32 v16, s65, v2
	v_add_nc_u32_e32 v14, v15, v14
	v_mul_lo_u32 v15, s0, v2
	s_delay_alu instid0(VALU_DEP_2) | instskip(NEXT) | instid1(VALU_DEP_2)
	v_add_nc_u32_e32 v14, v14, v16
	v_mul_hi_u32 v16, v2, v15
	s_delay_alu instid0(VALU_DEP_2)
	v_mul_lo_u32 v22, v2, v14
	v_mul_hi_u32 v24, v2, v14
	v_mul_hi_u32 v25, v12, v15
	v_mul_lo_u32 v15, v12, v15
	v_mul_hi_u32 v26, v12, v14
	v_mul_lo_u32 v14, v12, v14
	v_add_co_u32 v16, vcc_lo, v16, v22
	v_add_co_ci_u32_e32 v22, vcc_lo, 0, v24, vcc_lo
	s_delay_alu instid0(VALU_DEP_2) | instskip(NEXT) | instid1(VALU_DEP_2)
	v_add_co_u32 v15, vcc_lo, v16, v15
	v_add_co_ci_u32_e32 v15, vcc_lo, v22, v25, vcc_lo
	v_add_co_ci_u32_e32 v16, vcc_lo, 0, v26, vcc_lo
	s_delay_alu instid0(VALU_DEP_2) | instskip(NEXT) | instid1(VALU_DEP_2)
	v_add_co_u32 v14, vcc_lo, v15, v14
	v_add_co_ci_u32_e32 v15, vcc_lo, 0, v16, vcc_lo
	s_delay_alu instid0(VALU_DEP_2) | instskip(NEXT) | instid1(VALU_DEP_2)
	v_add_co_u32 v2, vcc_lo, v2, v14
	v_add_co_ci_u32_e32 v12, vcc_lo, v12, v15, vcc_lo
	s_delay_alu instid0(VALU_DEP_2) | instskip(SKIP_1) | instid1(VALU_DEP_3)
	v_mul_hi_u32 v14, s0, v2
	v_mul_lo_u32 v16, s65, v2
	v_mul_lo_u32 v15, s0, v12
	s_delay_alu instid0(VALU_DEP_1) | instskip(SKIP_1) | instid1(VALU_DEP_2)
	v_add_nc_u32_e32 v14, v14, v15
	v_mul_lo_u32 v15, s0, v2
	v_add_nc_u32_e32 v14, v14, v16
	s_delay_alu instid0(VALU_DEP_2) | instskip(NEXT) | instid1(VALU_DEP_2)
	v_mul_hi_u32 v16, v2, v15
	v_mul_lo_u32 v22, v2, v14
	v_mul_hi_u32 v24, v2, v14
	v_mul_hi_u32 v25, v12, v15
	v_mul_lo_u32 v15, v12, v15
	v_mul_hi_u32 v26, v12, v14
	v_mul_lo_u32 v14, v12, v14
	v_add_co_u32 v16, vcc_lo, v16, v22
	v_add_co_ci_u32_e32 v22, vcc_lo, 0, v24, vcc_lo
	s_delay_alu instid0(VALU_DEP_2) | instskip(NEXT) | instid1(VALU_DEP_2)
	v_add_co_u32 v15, vcc_lo, v16, v15
	v_add_co_ci_u32_e32 v15, vcc_lo, v22, v25, vcc_lo
	v_add_co_ci_u32_e32 v16, vcc_lo, 0, v26, vcc_lo
	v_add_co_u32 v22, vcc_lo, v21, v19
	v_add_co_ci_u32_e32 v24, vcc_lo, v23, v19, vcc_lo
	s_delay_alu instid0(VALU_DEP_4) | instskip(NEXT) | instid1(VALU_DEP_4)
	v_add_co_u32 v14, vcc_lo, v15, v14
	v_add_co_ci_u32_e32 v15, vcc_lo, 0, v16, vcc_lo
	s_delay_alu instid0(VALU_DEP_4) | instskip(NEXT) | instid1(VALU_DEP_3)
	v_xor_b32_e32 v16, v22, v19
	v_add_co_u32 v2, vcc_lo, v2, v14
	s_delay_alu instid0(VALU_DEP_3) | instskip(SKIP_1) | instid1(VALU_DEP_3)
	v_add_co_ci_u32_e32 v12, vcc_lo, v12, v15, vcc_lo
	v_xor_b32_e32 v22, v24, v19
	v_mul_hi_u32 v26, v16, v2
	s_delay_alu instid0(VALU_DEP_3) | instskip(NEXT) | instid1(VALU_DEP_3)
	v_mad_u64_u32 v[14:15], null, v16, v12, 0
	v_mad_u64_u32 v[24:25], null, v22, v2, 0
	;; [unrolled: 1-line block ×3, first 2 shown]
	s_delay_alu instid0(VALU_DEP_3) | instskip(NEXT) | instid1(VALU_DEP_4)
	v_add_co_u32 v2, vcc_lo, v26, v14
	v_add_co_ci_u32_e32 v12, vcc_lo, 0, v15, vcc_lo
	s_delay_alu instid0(VALU_DEP_2) | instskip(NEXT) | instid1(VALU_DEP_2)
	v_add_co_u32 v2, vcc_lo, v2, v24
	v_add_co_ci_u32_e32 v2, vcc_lo, v12, v25, vcc_lo
	v_add_co_ci_u32_e32 v12, vcc_lo, 0, v30, vcc_lo
	s_delay_alu instid0(VALU_DEP_2) | instskip(NEXT) | instid1(VALU_DEP_2)
	v_add_co_u32 v2, vcc_lo, v2, v29
	v_add_co_ci_u32_e32 v12, vcc_lo, 0, v12, vcc_lo
	s_delay_alu instid0(VALU_DEP_2) | instskip(SKIP_1) | instid1(VALU_DEP_3)
	v_mul_lo_u32 v24, s67, v2
	v_mad_u64_u32 v[14:15], null, s66, v2, 0
	v_mul_lo_u32 v25, s66, v12
	s_delay_alu instid0(VALU_DEP_2) | instskip(NEXT) | instid1(VALU_DEP_2)
	v_sub_co_u32 v14, vcc_lo, v16, v14
	v_add3_u32 v15, v15, v25, v24
	s_delay_alu instid0(VALU_DEP_1) | instskip(NEXT) | instid1(VALU_DEP_1)
	v_sub_nc_u32_e32 v24, v22, v15
	v_subrev_co_ci_u32_e64 v16, s0, s67, v24, vcc_lo
	v_add_co_u32 v24, s0, v2, 2
	s_delay_alu instid0(VALU_DEP_1) | instskip(SKIP_3) | instid1(VALU_DEP_3)
	v_add_co_ci_u32_e64 v25, s0, 0, v12, s0
	v_sub_co_u32 v26, s0, v14, s66
	v_sub_co_ci_u32_e32 v15, vcc_lo, v22, v15, vcc_lo
	v_subrev_co_ci_u32_e64 v16, s0, 0, v16, s0
	v_cmp_le_u32_e32 vcc_lo, s66, v26
	s_delay_alu instid0(VALU_DEP_3) | instskip(SKIP_1) | instid1(VALU_DEP_4)
	v_cmp_eq_u32_e64 s0, s67, v15
	v_cndmask_b32_e64 v22, 0, -1, vcc_lo
	v_cmp_le_u32_e32 vcc_lo, s67, v16
	v_cndmask_b32_e64 v26, 0, -1, vcc_lo
	v_cmp_le_u32_e32 vcc_lo, s66, v14
	;; [unrolled: 2-line block ×3, first 2 shown]
	v_cndmask_b32_e64 v29, 0, -1, vcc_lo
	v_cmp_eq_u32_e32 vcc_lo, s67, v16
	s_delay_alu instid0(VALU_DEP_2) | instskip(SKIP_3) | instid1(VALU_DEP_3)
	v_cndmask_b32_e64 v14, v29, v14, s0
	v_cndmask_b32_e32 v16, v26, v22, vcc_lo
	v_add_co_u32 v22, vcc_lo, v2, 1
	v_add_co_ci_u32_e32 v26, vcc_lo, 0, v12, vcc_lo
	v_cmp_ne_u32_e32 vcc_lo, 0, v16
	s_delay_alu instid0(VALU_DEP_2) | instskip(NEXT) | instid1(VALU_DEP_4)
	v_cndmask_b32_e32 v15, v26, v25, vcc_lo
	v_cndmask_b32_e32 v16, v22, v24, vcc_lo
	v_cmp_ne_u32_e32 vcc_lo, 0, v14
	v_xor_b32_e32 v22, s64, v19
	s_delay_alu instid0(VALU_DEP_3) | instskip(SKIP_1) | instid1(VALU_DEP_2)
	v_cndmask_b32_e32 v2, v2, v16, vcc_lo
	v_cndmask_b32_e32 v12, v12, v15, vcc_lo
	v_xor_b32_e32 v2, v2, v22
	s_delay_alu instid0(VALU_DEP_2) | instskip(NEXT) | instid1(VALU_DEP_2)
	v_xor_b32_e32 v12, v12, v22
	v_sub_co_u32 v14, vcc_lo, v2, v22
	s_delay_alu instid0(VALU_DEP_2)
	v_sub_co_ci_u32_e32 v15, vcc_lo, v12, v22, vcc_lo
.LBB11_13:                              ;   in Loop: Header=BB11_3 Depth=1
	s_and_not1_saveexec_b32 s0, s1
	s_cbranch_execz .LBB11_15
; %bb.14:                               ;   in Loop: Header=BB11_3 Depth=1
	v_rcp_iflag_f32_e32 v2, v31
	s_sub_i32 s1, 0, s34
	s_waitcnt_depctr 0xfff
	v_mul_f32_e32 v2, 0x4f7ffffe, v2
	s_delay_alu instid0(VALU_DEP_1) | instskip(NEXT) | instid1(VALU_DEP_1)
	v_cvt_u32_f32_e32 v2, v2
	v_mul_lo_u32 v12, s1, v2
	s_delay_alu instid0(VALU_DEP_1) | instskip(NEXT) | instid1(VALU_DEP_1)
	v_mul_hi_u32 v12, v2, v12
	v_add_nc_u32_e32 v2, v2, v12
	s_delay_alu instid0(VALU_DEP_1) | instskip(NEXT) | instid1(VALU_DEP_1)
	v_mul_hi_u32 v2, v21, v2
	v_mul_lo_u32 v12, v2, s34
	v_add_nc_u32_e32 v14, 1, v2
	s_delay_alu instid0(VALU_DEP_2) | instskip(NEXT) | instid1(VALU_DEP_1)
	v_sub_nc_u32_e32 v12, v21, v12
	v_subrev_nc_u32_e32 v15, s34, v12
	v_cmp_le_u32_e32 vcc_lo, s34, v12
	s_delay_alu instid0(VALU_DEP_2) | instskip(SKIP_1) | instid1(VALU_DEP_2)
	v_dual_cndmask_b32 v12, v12, v15 :: v_dual_mov_b32 v15, v1
	v_cndmask_b32_e32 v2, v2, v14, vcc_lo
	v_cmp_le_u32_e32 vcc_lo, s34, v12
	s_delay_alu instid0(VALU_DEP_2) | instskip(NEXT) | instid1(VALU_DEP_1)
	v_add_nc_u32_e32 v14, 1, v2
	v_cndmask_b32_e32 v14, v2, v14, vcc_lo
.LBB11_15:                              ;   in Loop: Header=BB11_3 Depth=1
	s_or_b32 exec_lo, exec_lo, s0
	s_delay_alu instid0(VALU_DEP_1) | instskip(NEXT) | instid1(VALU_DEP_2)
	v_mul_lo_u32 v2, v15, s34
	v_mul_lo_u32 v12, v14, s35
	v_mad_u64_u32 v[24:25], null, v14, s34, 0
	v_mul_lo_u32 v22, v14, s9
	s_mov_b32 s0, exec_lo
	s_delay_alu instid0(VALU_DEP_2) | instskip(SKIP_1) | instid1(VALU_DEP_4)
	v_add3_u32 v2, v25, v12, v2
	v_mul_lo_u32 v12, v15, s8
	v_sub_co_u32 v15, vcc_lo, v7, v24
	s_delay_alu instid0(VALU_DEP_3) | instskip(NEXT) | instid1(VALU_DEP_2)
	v_sub_co_ci_u32_e32 v2, vcc_lo, v8, v2, vcc_lo
	v_add_co_u32 v26, vcc_lo, v3, v15
	v_mad_u64_u32 v[15:16], null, v14, s8, 0
	s_delay_alu instid0(VALU_DEP_3) | instskip(NEXT) | instid1(VALU_DEP_3)
	v_add_co_ci_u32_e32 v2, vcc_lo, v4, v2, vcc_lo
	v_mul_lo_u32 v14, v26, s11
	v_mad_u64_u32 v[24:25], null, v26, s10, 0
	s_delay_alu instid0(VALU_DEP_3) | instskip(SKIP_1) | instid1(VALU_DEP_2)
	v_mul_lo_u32 v2, v2, s10
	v_add3_u32 v16, v16, v22, v12
	v_add3_u32 v25, v25, v14, v2
	s_delay_alu instid0(VALU_DEP_2) | instskip(SKIP_1) | instid1(VALU_DEP_3)
	v_lshlrev_b64 v[14:15], 1, v[15:16]
	v_mov_b32_e32 v16, v11
	v_lshlrev_b64 v[24:25], 1, v[24:25]
	s_delay_alu instid0(VALU_DEP_3) | instskip(NEXT) | instid1(VALU_DEP_4)
	v_add_co_u32 v2, vcc_lo, s2, v14
	v_add_co_ci_u32_e32 v12, vcc_lo, s3, v15, vcc_lo
	s_delay_alu instid0(VALU_DEP_2) | instskip(NEXT) | instid1(VALU_DEP_2)
	v_add_co_u32 v14, vcc_lo, v2, v24
	v_add_co_ci_u32_e32 v15, vcc_lo, v12, v25, vcc_lo
	v_add_co_u32 v2, vcc_lo, v13, 2
	v_add_co_ci_u32_e32 v11, vcc_lo, 0, v16, vcc_lo
	global_load_u16 v29, v[14:15], off
	v_mul_lo_u32 v14, s5, v2
	v_mul_lo_u32 v15, s4, v11
	v_mad_u64_u32 v[11:12], null, s4, v2, 0
	s_delay_alu instid0(VALU_DEP_1) | instskip(NEXT) | instid1(VALU_DEP_2)
	v_add3_u32 v12, v12, v15, v14
	v_add_co_u32 v25, vcc_lo, v3, v11
                                        ; implicit-def: $vgpr14_vgpr15
	s_delay_alu instid0(VALU_DEP_2) | instskip(NEXT) | instid1(VALU_DEP_1)
	v_add_co_ci_u32_e32 v26, vcc_lo, v4, v12, vcc_lo
	v_or_b32_e32 v2, s35, v26
	v_ashrrev_i32_e32 v22, 31, v26
	s_delay_alu instid0(VALU_DEP_2)
	v_cmpx_ne_u64_e32 0, v[1:2]
	s_xor_b32 s1, exec_lo, s0
	s_cbranch_execz .LBB11_17
; %bb.16:                               ;   in Loop: Header=BB11_3 Depth=1
	s_ashr_i32 s64, s35, 31
	s_delay_alu instid0(SALU_CYCLE_1) | instskip(SKIP_2) | instid1(SALU_CYCLE_1)
	s_add_u32 s66, s34, s64
	s_mov_b32 s65, s64
	s_addc_u32 s67, s35, s64
	s_xor_b64 s[66:67], s[66:67], s[64:65]
	s_delay_alu instid0(SALU_CYCLE_1) | instskip(SKIP_3) | instid1(VALU_DEP_1)
	v_cvt_f32_u32_e32 v2, s66
	v_cvt_f32_u32_e32 v14, s67
	s_sub_u32 s0, 0, s66
	s_subb_u32 s65, 0, s67
	v_fmac_f32_e32 v2, 0x4f800000, v14
	s_delay_alu instid0(VALU_DEP_1) | instskip(SKIP_2) | instid1(VALU_DEP_1)
	v_rcp_f32_e32 v2, v2
	s_waitcnt_depctr 0xfff
	v_mul_f32_e32 v2, 0x5f7ffffc, v2
	v_mul_f32_e32 v14, 0x2f800000, v2
	s_delay_alu instid0(VALU_DEP_1) | instskip(NEXT) | instid1(VALU_DEP_1)
	v_trunc_f32_e32 v14, v14
	v_fmac_f32_e32 v2, 0xcf800000, v14
	v_cvt_u32_f32_e32 v14, v14
	s_delay_alu instid0(VALU_DEP_2) | instskip(NEXT) | instid1(VALU_DEP_2)
	v_cvt_u32_f32_e32 v2, v2
	v_mul_lo_u32 v15, s0, v14
	s_delay_alu instid0(VALU_DEP_2) | instskip(SKIP_1) | instid1(VALU_DEP_2)
	v_mul_hi_u32 v24, s0, v2
	v_mul_lo_u32 v30, s65, v2
	v_add_nc_u32_e32 v15, v24, v15
	v_mul_lo_u32 v24, s0, v2
	s_delay_alu instid0(VALU_DEP_2) | instskip(NEXT) | instid1(VALU_DEP_2)
	v_add_nc_u32_e32 v15, v15, v30
	v_mul_hi_u32 v30, v2, v24
	s_delay_alu instid0(VALU_DEP_2)
	v_mul_lo_u32 v32, v2, v15
	v_mul_hi_u32 v33, v2, v15
	v_mul_hi_u32 v34, v14, v24
	v_mul_lo_u32 v24, v14, v24
	v_mul_hi_u32 v35, v14, v15
	v_mul_lo_u32 v15, v14, v15
	v_add_co_u32 v30, vcc_lo, v30, v32
	v_add_co_ci_u32_e32 v32, vcc_lo, 0, v33, vcc_lo
	s_delay_alu instid0(VALU_DEP_2) | instskip(NEXT) | instid1(VALU_DEP_2)
	v_add_co_u32 v24, vcc_lo, v30, v24
	v_add_co_ci_u32_e32 v24, vcc_lo, v32, v34, vcc_lo
	v_add_co_ci_u32_e32 v30, vcc_lo, 0, v35, vcc_lo
	s_delay_alu instid0(VALU_DEP_2) | instskip(NEXT) | instid1(VALU_DEP_2)
	v_add_co_u32 v15, vcc_lo, v24, v15
	v_add_co_ci_u32_e32 v24, vcc_lo, 0, v30, vcc_lo
	s_delay_alu instid0(VALU_DEP_2) | instskip(NEXT) | instid1(VALU_DEP_2)
	v_add_co_u32 v2, vcc_lo, v2, v15
	v_add_co_ci_u32_e32 v14, vcc_lo, v14, v24, vcc_lo
	s_delay_alu instid0(VALU_DEP_2) | instskip(SKIP_1) | instid1(VALU_DEP_3)
	v_mul_hi_u32 v15, s0, v2
	v_mul_lo_u32 v30, s65, v2
	v_mul_lo_u32 v24, s0, v14
	s_delay_alu instid0(VALU_DEP_1) | instskip(SKIP_1) | instid1(VALU_DEP_2)
	v_add_nc_u32_e32 v15, v15, v24
	v_mul_lo_u32 v24, s0, v2
	v_add_nc_u32_e32 v15, v15, v30
	s_delay_alu instid0(VALU_DEP_2) | instskip(NEXT) | instid1(VALU_DEP_2)
	v_mul_hi_u32 v30, v2, v24
	v_mul_lo_u32 v32, v2, v15
	v_mul_hi_u32 v33, v2, v15
	v_mul_hi_u32 v34, v14, v24
	v_mul_lo_u32 v24, v14, v24
	v_mul_hi_u32 v35, v14, v15
	v_mul_lo_u32 v15, v14, v15
	v_add_co_u32 v30, vcc_lo, v30, v32
	v_add_co_ci_u32_e32 v32, vcc_lo, 0, v33, vcc_lo
	s_delay_alu instid0(VALU_DEP_2) | instskip(NEXT) | instid1(VALU_DEP_2)
	v_add_co_u32 v24, vcc_lo, v30, v24
	v_add_co_ci_u32_e32 v24, vcc_lo, v32, v34, vcc_lo
	v_add_co_ci_u32_e32 v30, vcc_lo, 0, v35, vcc_lo
	v_add_co_u32 v32, vcc_lo, v25, v22
	v_add_co_ci_u32_e32 v33, vcc_lo, v26, v22, vcc_lo
	s_delay_alu instid0(VALU_DEP_4) | instskip(NEXT) | instid1(VALU_DEP_4)
	v_add_co_u32 v15, vcc_lo, v24, v15
	v_add_co_ci_u32_e32 v24, vcc_lo, 0, v30, vcc_lo
	s_delay_alu instid0(VALU_DEP_4) | instskip(NEXT) | instid1(VALU_DEP_3)
	v_xor_b32_e32 v30, v32, v22
	v_add_co_u32 v2, vcc_lo, v2, v15
	s_delay_alu instid0(VALU_DEP_3) | instskip(SKIP_1) | instid1(VALU_DEP_3)
	v_add_co_ci_u32_e32 v24, vcc_lo, v14, v24, vcc_lo
	v_xor_b32_e32 v36, v33, v22
	v_mul_hi_u32 v37, v30, v2
	s_delay_alu instid0(VALU_DEP_3) | instskip(NEXT) | instid1(VALU_DEP_3)
	v_mad_u64_u32 v[14:15], null, v30, v24, 0
	v_mad_u64_u32 v[32:33], null, v36, v2, 0
	;; [unrolled: 1-line block ×3, first 2 shown]
	s_delay_alu instid0(VALU_DEP_3) | instskip(NEXT) | instid1(VALU_DEP_4)
	v_add_co_u32 v2, vcc_lo, v37, v14
	v_add_co_ci_u32_e32 v14, vcc_lo, 0, v15, vcc_lo
	s_delay_alu instid0(VALU_DEP_2) | instskip(NEXT) | instid1(VALU_DEP_2)
	v_add_co_u32 v2, vcc_lo, v2, v32
	v_add_co_ci_u32_e32 v2, vcc_lo, v14, v33, vcc_lo
	v_add_co_ci_u32_e32 v14, vcc_lo, 0, v35, vcc_lo
	s_delay_alu instid0(VALU_DEP_2) | instskip(NEXT) | instid1(VALU_DEP_2)
	v_add_co_u32 v2, vcc_lo, v2, v34
	v_add_co_ci_u32_e32 v24, vcc_lo, 0, v14, vcc_lo
	s_delay_alu instid0(VALU_DEP_2) | instskip(SKIP_1) | instid1(VALU_DEP_3)
	v_mul_lo_u32 v32, s67, v2
	v_mad_u64_u32 v[14:15], null, s66, v2, 0
	v_mul_lo_u32 v33, s66, v24
	s_delay_alu instid0(VALU_DEP_2) | instskip(NEXT) | instid1(VALU_DEP_2)
	v_sub_co_u32 v14, vcc_lo, v30, v14
	v_add3_u32 v15, v15, v33, v32
	s_delay_alu instid0(VALU_DEP_1) | instskip(NEXT) | instid1(VALU_DEP_1)
	v_sub_nc_u32_e32 v32, v36, v15
	v_subrev_co_ci_u32_e64 v30, s0, s67, v32, vcc_lo
	v_add_co_u32 v32, s0, v2, 2
	s_delay_alu instid0(VALU_DEP_1) | instskip(SKIP_3) | instid1(VALU_DEP_3)
	v_add_co_ci_u32_e64 v33, s0, 0, v24, s0
	v_sub_co_u32 v34, s0, v14, s66
	v_sub_co_ci_u32_e32 v15, vcc_lo, v36, v15, vcc_lo
	v_subrev_co_ci_u32_e64 v30, s0, 0, v30, s0
	v_cmp_le_u32_e32 vcc_lo, s66, v34
	s_delay_alu instid0(VALU_DEP_3) | instskip(SKIP_1) | instid1(VALU_DEP_4)
	v_cmp_eq_u32_e64 s0, s67, v15
	v_cndmask_b32_e64 v34, 0, -1, vcc_lo
	v_cmp_le_u32_e32 vcc_lo, s67, v30
	v_cndmask_b32_e64 v35, 0, -1, vcc_lo
	v_cmp_le_u32_e32 vcc_lo, s66, v14
	;; [unrolled: 2-line block ×3, first 2 shown]
	v_cndmask_b32_e64 v36, 0, -1, vcc_lo
	v_cmp_eq_u32_e32 vcc_lo, s67, v30
	s_delay_alu instid0(VALU_DEP_2) | instskip(SKIP_3) | instid1(VALU_DEP_3)
	v_cndmask_b32_e64 v14, v36, v14, s0
	v_cndmask_b32_e32 v30, v35, v34, vcc_lo
	v_add_co_u32 v34, vcc_lo, v2, 1
	v_add_co_ci_u32_e32 v35, vcc_lo, 0, v24, vcc_lo
	v_cmp_ne_u32_e32 vcc_lo, 0, v30
	s_delay_alu instid0(VALU_DEP_2) | instskip(SKIP_2) | instid1(VALU_DEP_3)
	v_dual_cndmask_b32 v30, v34, v32 :: v_dual_cndmask_b32 v15, v35, v33
	v_cmp_ne_u32_e32 vcc_lo, 0, v14
	v_xor_b32_e32 v32, s64, v22
	v_cndmask_b32_e32 v2, v2, v30, vcc_lo
	s_delay_alu instid0(VALU_DEP_4) | instskip(NEXT) | instid1(VALU_DEP_2)
	v_cndmask_b32_e32 v14, v24, v15, vcc_lo
	v_xor_b32_e32 v2, v2, v32
	s_delay_alu instid0(VALU_DEP_2) | instskip(NEXT) | instid1(VALU_DEP_2)
	v_xor_b32_e32 v15, v14, v32
	v_sub_co_u32 v14, vcc_lo, v2, v32
	s_delay_alu instid0(VALU_DEP_2)
	v_sub_co_ci_u32_e32 v15, vcc_lo, v15, v32, vcc_lo
.LBB11_17:                              ;   in Loop: Header=BB11_3 Depth=1
	s_and_not1_saveexec_b32 s0, s1
	s_cbranch_execz .LBB11_19
; %bb.18:                               ;   in Loop: Header=BB11_3 Depth=1
	v_rcp_iflag_f32_e32 v2, v31
	s_sub_i32 s1, 0, s34
	s_waitcnt_depctr 0xfff
	v_mul_f32_e32 v2, 0x4f7ffffe, v2
	s_delay_alu instid0(VALU_DEP_1) | instskip(NEXT) | instid1(VALU_DEP_1)
	v_cvt_u32_f32_e32 v2, v2
	v_mul_lo_u32 v14, s1, v2
	s_delay_alu instid0(VALU_DEP_1) | instskip(NEXT) | instid1(VALU_DEP_1)
	v_mul_hi_u32 v14, v2, v14
	v_add_nc_u32_e32 v2, v2, v14
	s_delay_alu instid0(VALU_DEP_1) | instskip(NEXT) | instid1(VALU_DEP_1)
	v_mul_hi_u32 v2, v25, v2
	v_mul_lo_u32 v14, v2, s34
	s_delay_alu instid0(VALU_DEP_1) | instskip(NEXT) | instid1(VALU_DEP_1)
	v_sub_nc_u32_e32 v14, v25, v14
	v_subrev_nc_u32_e32 v24, s34, v14
	v_cmp_le_u32_e32 vcc_lo, s34, v14
	s_delay_alu instid0(VALU_DEP_2) | instskip(NEXT) | instid1(VALU_DEP_1)
	v_dual_cndmask_b32 v14, v14, v24 :: v_dual_add_nc_u32 v15, 1, v2
	v_cndmask_b32_e32 v2, v2, v15, vcc_lo
	s_delay_alu instid0(VALU_DEP_2) | instskip(NEXT) | instid1(VALU_DEP_2)
	v_cmp_le_u32_e32 vcc_lo, s34, v14
	v_add_nc_u32_e32 v15, 1, v2
	s_delay_alu instid0(VALU_DEP_1)
	v_dual_cndmask_b32 v14, v2, v15 :: v_dual_mov_b32 v15, v1
.LBB11_19:                              ;   in Loop: Header=BB11_3 Depth=1
	s_or_b32 exec_lo, exec_lo, s0
	s_delay_alu instid0(VALU_DEP_1) | instskip(NEXT) | instid1(VALU_DEP_2)
	v_mul_lo_u32 v2, v15, s34
	v_mul_lo_u32 v24, v14, s35
	v_mad_u64_u32 v[32:33], null, v14, s34, 0
	v_mul_lo_u32 v30, v14, s9
	s_mov_b32 s0, exec_lo
	s_delay_alu instid0(VALU_DEP_2) | instskip(SKIP_1) | instid1(VALU_DEP_4)
	v_add3_u32 v2, v33, v24, v2
	v_mul_lo_u32 v24, v15, s8
	v_sub_co_u32 v15, vcc_lo, v11, v32
	v_mad_u64_u32 v[32:33], null, v14, s8, 0
	s_delay_alu instid0(VALU_DEP_4) | instskip(NEXT) | instid1(VALU_DEP_3)
	v_sub_co_ci_u32_e32 v2, vcc_lo, v12, v2, vcc_lo
	v_add_co_u32 v34, vcc_lo, v3, v15
	s_delay_alu instid0(VALU_DEP_2) | instskip(NEXT) | instid1(VALU_DEP_2)
	v_add_co_ci_u32_e32 v2, vcc_lo, v4, v2, vcc_lo
	v_mul_lo_u32 v35, v34, s11
	v_mad_u64_u32 v[14:15], null, v34, s10, 0
	s_delay_alu instid0(VALU_DEP_3) | instskip(SKIP_1) | instid1(VALU_DEP_1)
	v_mul_lo_u32 v2, v2, s10
	v_add3_u32 v33, v33, v30, v24
	v_lshlrev_b64 v[32:33], 1, v[32:33]
	s_delay_alu instid0(VALU_DEP_3) | instskip(NEXT) | instid1(VALU_DEP_2)
	v_add3_u32 v15, v15, v35, v2
	v_add_co_u32 v2, vcc_lo, s2, v32
	s_delay_alu instid0(VALU_DEP_2) | instskip(NEXT) | instid1(VALU_DEP_4)
	v_lshlrev_b64 v[14:15], 1, v[14:15]
	v_add_co_ci_u32_e32 v24, vcc_lo, s3, v33, vcc_lo
	s_delay_alu instid0(VALU_DEP_2) | instskip(NEXT) | instid1(VALU_DEP_2)
	v_add_co_u32 v14, vcc_lo, v2, v14
	v_add_co_ci_u32_e32 v15, vcc_lo, v24, v15, vcc_lo
	v_add_co_u32 v2, vcc_lo, v13, 3
	v_add_co_ci_u32_e32 v13, vcc_lo, 0, v16, vcc_lo
	global_load_u16 v30, v[14:15], off
	v_mul_lo_u32 v15, s5, v2
	v_mul_lo_u32 v16, s4, v13
	v_mad_u64_u32 v[13:14], null, s4, v2, 0
	s_delay_alu instid0(VALU_DEP_1) | instskip(NEXT) | instid1(VALU_DEP_2)
	v_add3_u32 v14, v14, v16, v15
	v_add_co_u32 v34, vcc_lo, v3, v13
                                        ; implicit-def: $vgpr15_vgpr16
	s_delay_alu instid0(VALU_DEP_2) | instskip(NEXT) | instid1(VALU_DEP_1)
	v_add_co_ci_u32_e32 v35, vcc_lo, v4, v14, vcc_lo
	v_or_b32_e32 v2, s35, v35
	v_ashrrev_i32_e32 v24, 31, v35
	s_delay_alu instid0(VALU_DEP_2)
	v_cmpx_ne_u64_e32 0, v[1:2]
	s_xor_b32 s1, exec_lo, s0
	s_cbranch_execz .LBB11_21
; %bb.20:                               ;   in Loop: Header=BB11_3 Depth=1
	s_ashr_i32 s64, s35, 31
	s_delay_alu instid0(SALU_CYCLE_1) | instskip(SKIP_2) | instid1(SALU_CYCLE_1)
	s_add_u32 s66, s34, s64
	s_mov_b32 s65, s64
	s_addc_u32 s67, s35, s64
	s_xor_b64 s[66:67], s[66:67], s[64:65]
	s_delay_alu instid0(SALU_CYCLE_1) | instskip(SKIP_3) | instid1(VALU_DEP_1)
	v_cvt_f32_u32_e32 v2, s66
	v_cvt_f32_u32_e32 v15, s67
	s_sub_u32 s0, 0, s66
	s_subb_u32 s65, 0, s67
	v_fmac_f32_e32 v2, 0x4f800000, v15
	s_delay_alu instid0(VALU_DEP_1) | instskip(SKIP_2) | instid1(VALU_DEP_1)
	v_rcp_f32_e32 v2, v2
	s_waitcnt_depctr 0xfff
	v_mul_f32_e32 v2, 0x5f7ffffc, v2
	v_mul_f32_e32 v15, 0x2f800000, v2
	s_delay_alu instid0(VALU_DEP_1) | instskip(NEXT) | instid1(VALU_DEP_1)
	v_trunc_f32_e32 v15, v15
	v_fmac_f32_e32 v2, 0xcf800000, v15
	v_cvt_u32_f32_e32 v15, v15
	s_delay_alu instid0(VALU_DEP_2) | instskip(NEXT) | instid1(VALU_DEP_2)
	v_cvt_u32_f32_e32 v2, v2
	v_mul_lo_u32 v16, s0, v15
	s_delay_alu instid0(VALU_DEP_2) | instskip(SKIP_1) | instid1(VALU_DEP_2)
	v_mul_hi_u32 v31, s0, v2
	v_mul_lo_u32 v32, s65, v2
	v_add_nc_u32_e32 v16, v31, v16
	v_mul_lo_u32 v31, s0, v2
	s_delay_alu instid0(VALU_DEP_2) | instskip(NEXT) | instid1(VALU_DEP_2)
	v_add_nc_u32_e32 v16, v16, v32
	v_mul_hi_u32 v32, v2, v31
	s_delay_alu instid0(VALU_DEP_2)
	v_mul_lo_u32 v33, v2, v16
	v_mul_hi_u32 v36, v2, v16
	v_mul_hi_u32 v37, v15, v31
	v_mul_lo_u32 v31, v15, v31
	v_mul_hi_u32 v38, v15, v16
	v_mul_lo_u32 v16, v15, v16
	v_add_co_u32 v32, vcc_lo, v32, v33
	v_add_co_ci_u32_e32 v33, vcc_lo, 0, v36, vcc_lo
	s_delay_alu instid0(VALU_DEP_2) | instskip(NEXT) | instid1(VALU_DEP_2)
	v_add_co_u32 v31, vcc_lo, v32, v31
	v_add_co_ci_u32_e32 v31, vcc_lo, v33, v37, vcc_lo
	v_add_co_ci_u32_e32 v32, vcc_lo, 0, v38, vcc_lo
	s_delay_alu instid0(VALU_DEP_2) | instskip(NEXT) | instid1(VALU_DEP_2)
	v_add_co_u32 v16, vcc_lo, v31, v16
	v_add_co_ci_u32_e32 v31, vcc_lo, 0, v32, vcc_lo
	s_delay_alu instid0(VALU_DEP_2) | instskip(NEXT) | instid1(VALU_DEP_2)
	v_add_co_u32 v2, vcc_lo, v2, v16
	v_add_co_ci_u32_e32 v15, vcc_lo, v15, v31, vcc_lo
	s_delay_alu instid0(VALU_DEP_2) | instskip(SKIP_1) | instid1(VALU_DEP_3)
	v_mul_hi_u32 v16, s0, v2
	v_mul_lo_u32 v32, s65, v2
	v_mul_lo_u32 v31, s0, v15
	s_delay_alu instid0(VALU_DEP_1) | instskip(SKIP_1) | instid1(VALU_DEP_2)
	v_add_nc_u32_e32 v16, v16, v31
	v_mul_lo_u32 v31, s0, v2
	v_add_nc_u32_e32 v16, v16, v32
	s_delay_alu instid0(VALU_DEP_2) | instskip(NEXT) | instid1(VALU_DEP_2)
	v_mul_hi_u32 v32, v2, v31
	v_mul_lo_u32 v33, v2, v16
	v_mul_hi_u32 v36, v2, v16
	v_mul_hi_u32 v37, v15, v31
	v_mul_lo_u32 v31, v15, v31
	v_mul_hi_u32 v38, v15, v16
	v_mul_lo_u32 v16, v15, v16
	v_add_co_u32 v32, vcc_lo, v32, v33
	v_add_co_ci_u32_e32 v33, vcc_lo, 0, v36, vcc_lo
	s_delay_alu instid0(VALU_DEP_2) | instskip(NEXT) | instid1(VALU_DEP_2)
	v_add_co_u32 v31, vcc_lo, v32, v31
	v_add_co_ci_u32_e32 v31, vcc_lo, v33, v37, vcc_lo
	v_add_co_ci_u32_e32 v32, vcc_lo, 0, v38, vcc_lo
	v_add_co_u32 v33, vcc_lo, v34, v24
	v_add_co_ci_u32_e32 v36, vcc_lo, v35, v24, vcc_lo
	s_delay_alu instid0(VALU_DEP_4) | instskip(NEXT) | instid1(VALU_DEP_4)
	v_add_co_u32 v16, vcc_lo, v31, v16
	v_add_co_ci_u32_e32 v31, vcc_lo, 0, v32, vcc_lo
	s_delay_alu instid0(VALU_DEP_4) | instskip(NEXT) | instid1(VALU_DEP_3)
	v_xor_b32_e32 v33, v33, v24
	v_add_co_u32 v2, vcc_lo, v2, v16
	s_delay_alu instid0(VALU_DEP_3) | instskip(SKIP_1) | instid1(VALU_DEP_3)
	v_add_co_ci_u32_e32 v38, vcc_lo, v15, v31, vcc_lo
	v_xor_b32_e32 v39, v36, v24
	v_mul_hi_u32 v40, v33, v2
	s_delay_alu instid0(VALU_DEP_3) | instskip(NEXT) | instid1(VALU_DEP_3)
	v_mad_u64_u32 v[15:16], null, v33, v38, 0
	v_mad_u64_u32 v[31:32], null, v39, v2, 0
	;; [unrolled: 1-line block ×3, first 2 shown]
	s_delay_alu instid0(VALU_DEP_3) | instskip(NEXT) | instid1(VALU_DEP_4)
	v_add_co_u32 v2, vcc_lo, v40, v15
	v_add_co_ci_u32_e32 v15, vcc_lo, 0, v16, vcc_lo
	s_delay_alu instid0(VALU_DEP_2) | instskip(NEXT) | instid1(VALU_DEP_2)
	v_add_co_u32 v2, vcc_lo, v2, v31
	v_add_co_ci_u32_e32 v2, vcc_lo, v15, v32, vcc_lo
	v_add_co_ci_u32_e32 v15, vcc_lo, 0, v37, vcc_lo
	s_delay_alu instid0(VALU_DEP_2) | instskip(NEXT) | instid1(VALU_DEP_2)
	v_add_co_u32 v2, vcc_lo, v2, v36
	v_add_co_ci_u32_e32 v31, vcc_lo, 0, v15, vcc_lo
	s_delay_alu instid0(VALU_DEP_2) | instskip(SKIP_1) | instid1(VALU_DEP_3)
	v_mul_lo_u32 v32, s67, v2
	v_mad_u64_u32 v[15:16], null, s66, v2, 0
	v_mul_lo_u32 v36, s66, v31
	s_delay_alu instid0(VALU_DEP_2) | instskip(NEXT) | instid1(VALU_DEP_2)
	v_sub_co_u32 v15, vcc_lo, v33, v15
	v_add3_u32 v16, v16, v36, v32
	s_delay_alu instid0(VALU_DEP_1) | instskip(NEXT) | instid1(VALU_DEP_1)
	v_sub_nc_u32_e32 v32, v39, v16
	v_subrev_co_ci_u32_e64 v32, s0, s67, v32, vcc_lo
	v_add_co_u32 v33, s0, v2, 2
	s_delay_alu instid0(VALU_DEP_1) | instskip(SKIP_3) | instid1(VALU_DEP_3)
	v_add_co_ci_u32_e64 v36, s0, 0, v31, s0
	v_sub_co_u32 v37, s0, v15, s66
	v_sub_co_ci_u32_e32 v16, vcc_lo, v39, v16, vcc_lo
	v_subrev_co_ci_u32_e64 v32, s0, 0, v32, s0
	v_cmp_le_u32_e32 vcc_lo, s66, v37
	s_delay_alu instid0(VALU_DEP_3) | instskip(SKIP_1) | instid1(VALU_DEP_4)
	v_cmp_eq_u32_e64 s0, s67, v16
	v_cndmask_b32_e64 v37, 0, -1, vcc_lo
	v_cmp_le_u32_e32 vcc_lo, s67, v32
	v_cndmask_b32_e64 v38, 0, -1, vcc_lo
	v_cmp_le_u32_e32 vcc_lo, s66, v15
	;; [unrolled: 2-line block ×3, first 2 shown]
	v_cndmask_b32_e64 v39, 0, -1, vcc_lo
	v_cmp_eq_u32_e32 vcc_lo, s67, v32
	s_delay_alu instid0(VALU_DEP_2) | instskip(SKIP_3) | instid1(VALU_DEP_3)
	v_cndmask_b32_e64 v15, v39, v15, s0
	v_cndmask_b32_e32 v32, v38, v37, vcc_lo
	v_add_co_u32 v37, vcc_lo, v2, 1
	v_add_co_ci_u32_e32 v38, vcc_lo, 0, v31, vcc_lo
	v_cmp_ne_u32_e32 vcc_lo, 0, v32
	s_delay_alu instid0(VALU_DEP_2) | instskip(NEXT) | instid1(VALU_DEP_4)
	v_cndmask_b32_e32 v16, v38, v36, vcc_lo
	v_cndmask_b32_e32 v32, v37, v33, vcc_lo
	v_cmp_ne_u32_e32 vcc_lo, 0, v15
	v_xor_b32_e32 v33, s64, v24
	s_delay_alu instid0(VALU_DEP_3) | instskip(SKIP_1) | instid1(VALU_DEP_2)
	v_cndmask_b32_e32 v2, v2, v32, vcc_lo
	v_cndmask_b32_e32 v15, v31, v16, vcc_lo
                                        ; implicit-def: $vgpr31
	v_xor_b32_e32 v2, v2, v33
	s_delay_alu instid0(VALU_DEP_2) | instskip(NEXT) | instid1(VALU_DEP_2)
	v_xor_b32_e32 v16, v15, v33
	v_sub_co_u32 v15, vcc_lo, v2, v33
	s_delay_alu instid0(VALU_DEP_2)
	v_sub_co_ci_u32_e32 v16, vcc_lo, v16, v33, vcc_lo
.LBB11_21:                              ;   in Loop: Header=BB11_3 Depth=1
	s_and_not1_saveexec_b32 s0, s1
	s_cbranch_execz .LBB11_23
; %bb.22:                               ;   in Loop: Header=BB11_3 Depth=1
	v_rcp_iflag_f32_e32 v2, v31
	s_sub_i32 s1, 0, s34
	s_waitcnt_depctr 0xfff
	v_mul_f32_e32 v2, 0x4f7ffffe, v2
	s_delay_alu instid0(VALU_DEP_1) | instskip(NEXT) | instid1(VALU_DEP_1)
	v_cvt_u32_f32_e32 v2, v2
	v_mul_lo_u32 v15, s1, v2
	s_delay_alu instid0(VALU_DEP_1) | instskip(NEXT) | instid1(VALU_DEP_1)
	v_mul_hi_u32 v15, v2, v15
	v_add_nc_u32_e32 v2, v2, v15
	s_delay_alu instid0(VALU_DEP_1) | instskip(NEXT) | instid1(VALU_DEP_1)
	v_mul_hi_u32 v2, v34, v2
	v_mul_lo_u32 v15, v2, s34
	v_add_nc_u32_e32 v16, 1, v2
	s_delay_alu instid0(VALU_DEP_2) | instskip(NEXT) | instid1(VALU_DEP_1)
	v_sub_nc_u32_e32 v15, v34, v15
	v_subrev_nc_u32_e32 v31, s34, v15
	v_cmp_le_u32_e32 vcc_lo, s34, v15
	s_delay_alu instid0(VALU_DEP_2) | instskip(NEXT) | instid1(VALU_DEP_1)
	v_dual_cndmask_b32 v15, v15, v31 :: v_dual_cndmask_b32 v2, v2, v16
	v_cmp_le_u32_e32 vcc_lo, s34, v15
	s_delay_alu instid0(VALU_DEP_2) | instskip(NEXT) | instid1(VALU_DEP_1)
	v_add_nc_u32_e32 v16, 1, v2
	v_dual_cndmask_b32 v15, v2, v16 :: v_dual_mov_b32 v16, v1
.LBB11_23:                              ;   in Loop: Header=BB11_3 Depth=1
	s_or_b32 exec_lo, exec_lo, s0
	s_delay_alu instid0(VALU_DEP_1) | instskip(NEXT) | instid1(VALU_DEP_2)
	v_mul_lo_u32 v2, v16, s34
	v_mul_lo_u32 v33, v15, s35
	v_mad_u64_u32 v[31:32], null, v15, s34, 0
	v_mul_lo_u32 v36, v15, s9
	s_mov_b32 s0, exec_lo
	s_delay_alu instid0(VALU_DEP_2) | instskip(SKIP_1) | instid1(VALU_DEP_4)
	v_add3_u32 v2, v32, v33, v2
	v_mul_lo_u32 v33, v16, s8
	v_sub_co_u32 v16, vcc_lo, v13, v31
	v_mad_u64_u32 v[31:32], null, v15, s8, 0
	s_delay_alu instid0(VALU_DEP_4) | instskip(NEXT) | instid1(VALU_DEP_3)
	v_sub_co_ci_u32_e32 v2, vcc_lo, v14, v2, vcc_lo
	v_add_co_u32 v37, vcc_lo, v3, v16
	s_delay_alu instid0(VALU_DEP_2) | instskip(NEXT) | instid1(VALU_DEP_2)
	v_add_co_ci_u32_e32 v2, vcc_lo, v4, v2, vcc_lo
	v_mul_lo_u32 v38, v37, s11
	v_mad_u64_u32 v[15:16], null, v37, s10, 0
	s_delay_alu instid0(VALU_DEP_3) | instskip(SKIP_1) | instid1(VALU_DEP_1)
	v_mul_lo_u32 v2, v2, s10
	v_add3_u32 v32, v32, v36, v33
	v_lshlrev_b64 v[31:32], 1, v[31:32]
	s_delay_alu instid0(VALU_DEP_3) | instskip(NEXT) | instid1(VALU_DEP_2)
	v_add3_u32 v16, v16, v38, v2
	v_add_co_u32 v2, vcc_lo, s2, v31
	s_delay_alu instid0(VALU_DEP_2) | instskip(NEXT) | instid1(VALU_DEP_4)
	v_lshlrev_b64 v[15:16], 1, v[15:16]
	v_add_co_ci_u32_e32 v31, vcc_lo, s3, v32, vcc_lo
	s_delay_alu instid0(VALU_DEP_2) | instskip(NEXT) | instid1(VALU_DEP_2)
	v_add_co_u32 v15, vcc_lo, v2, v15
	v_add_co_ci_u32_e32 v16, vcc_lo, v31, v16, vcc_lo
	v_or_b32_e32 v2, s41, v20
	global_load_u16 v31, v[15:16], off
                                        ; implicit-def: $vgpr15_vgpr16
	v_cmpx_ne_u64_e32 0, v[1:2]
	s_xor_b32 s1, exec_lo, s0
	s_cbranch_execz .LBB11_25
; %bb.24:                               ;   in Loop: Header=BB11_3 Depth=1
	s_ashr_i32 s64, s41, 31
	s_delay_alu instid0(SALU_CYCLE_1) | instskip(SKIP_2) | instid1(SALU_CYCLE_1)
	s_add_u32 s66, s40, s64
	s_mov_b32 s65, s64
	s_addc_u32 s67, s41, s64
	s_xor_b64 s[66:67], s[66:67], s[64:65]
	s_delay_alu instid0(SALU_CYCLE_1) | instskip(SKIP_3) | instid1(VALU_DEP_1)
	v_cvt_f32_u32_e32 v2, s66
	v_cvt_f32_u32_e32 v15, s67
	s_sub_u32 s0, 0, s66
	s_subb_u32 s65, 0, s67
	v_fmac_f32_e32 v2, 0x4f800000, v15
	s_delay_alu instid0(VALU_DEP_1) | instskip(SKIP_2) | instid1(VALU_DEP_1)
	v_rcp_f32_e32 v2, v2
	s_waitcnt_depctr 0xfff
	v_mul_f32_e32 v2, 0x5f7ffffc, v2
	v_mul_f32_e32 v15, 0x2f800000, v2
	s_delay_alu instid0(VALU_DEP_1) | instskip(NEXT) | instid1(VALU_DEP_1)
	v_trunc_f32_e32 v15, v15
	v_fmac_f32_e32 v2, 0xcf800000, v15
	v_cvt_u32_f32_e32 v15, v15
	s_delay_alu instid0(VALU_DEP_2) | instskip(NEXT) | instid1(VALU_DEP_2)
	v_cvt_u32_f32_e32 v2, v2
	v_mul_lo_u32 v16, s0, v15
	s_delay_alu instid0(VALU_DEP_2) | instskip(SKIP_1) | instid1(VALU_DEP_2)
	v_mul_hi_u32 v32, s0, v2
	v_mul_lo_u32 v33, s65, v2
	v_add_nc_u32_e32 v16, v32, v16
	v_mul_lo_u32 v32, s0, v2
	s_delay_alu instid0(VALU_DEP_2) | instskip(NEXT) | instid1(VALU_DEP_2)
	v_add_nc_u32_e32 v16, v16, v33
	v_mul_hi_u32 v33, v2, v32
	s_delay_alu instid0(VALU_DEP_2)
	v_mul_lo_u32 v36, v2, v16
	v_mul_hi_u32 v37, v2, v16
	v_mul_hi_u32 v38, v15, v32
	v_mul_lo_u32 v32, v15, v32
	v_mul_hi_u32 v39, v15, v16
	v_mul_lo_u32 v16, v15, v16
	v_add_co_u32 v33, vcc_lo, v33, v36
	v_add_co_ci_u32_e32 v36, vcc_lo, 0, v37, vcc_lo
	s_delay_alu instid0(VALU_DEP_2) | instskip(NEXT) | instid1(VALU_DEP_2)
	v_add_co_u32 v32, vcc_lo, v33, v32
	v_add_co_ci_u32_e32 v32, vcc_lo, v36, v38, vcc_lo
	v_add_co_ci_u32_e32 v33, vcc_lo, 0, v39, vcc_lo
	s_delay_alu instid0(VALU_DEP_2) | instskip(NEXT) | instid1(VALU_DEP_2)
	v_add_co_u32 v16, vcc_lo, v32, v16
	v_add_co_ci_u32_e32 v32, vcc_lo, 0, v33, vcc_lo
	s_delay_alu instid0(VALU_DEP_2) | instskip(NEXT) | instid1(VALU_DEP_2)
	v_add_co_u32 v2, vcc_lo, v2, v16
	v_add_co_ci_u32_e32 v15, vcc_lo, v15, v32, vcc_lo
	s_delay_alu instid0(VALU_DEP_2) | instskip(SKIP_1) | instid1(VALU_DEP_3)
	v_mul_hi_u32 v16, s0, v2
	v_mul_lo_u32 v33, s65, v2
	v_mul_lo_u32 v32, s0, v15
	s_delay_alu instid0(VALU_DEP_1) | instskip(SKIP_1) | instid1(VALU_DEP_2)
	v_add_nc_u32_e32 v16, v16, v32
	v_mul_lo_u32 v32, s0, v2
	v_add_nc_u32_e32 v16, v16, v33
	s_delay_alu instid0(VALU_DEP_2) | instskip(NEXT) | instid1(VALU_DEP_2)
	v_mul_hi_u32 v33, v2, v32
	v_mul_lo_u32 v36, v2, v16
	v_mul_hi_u32 v37, v2, v16
	v_mul_hi_u32 v38, v15, v32
	v_mul_lo_u32 v32, v15, v32
	v_mul_hi_u32 v39, v15, v16
	v_mul_lo_u32 v16, v15, v16
	v_add_co_u32 v33, vcc_lo, v33, v36
	v_add_co_ci_u32_e32 v36, vcc_lo, 0, v37, vcc_lo
	s_delay_alu instid0(VALU_DEP_2) | instskip(NEXT) | instid1(VALU_DEP_2)
	v_add_co_u32 v32, vcc_lo, v33, v32
	v_add_co_ci_u32_e32 v32, vcc_lo, v36, v38, vcc_lo
	v_add_co_ci_u32_e32 v33, vcc_lo, 0, v39, vcc_lo
	v_add_co_u32 v36, vcc_lo, v18, v17
	v_add_co_ci_u32_e32 v37, vcc_lo, v20, v17, vcc_lo
	s_delay_alu instid0(VALU_DEP_4) | instskip(NEXT) | instid1(VALU_DEP_4)
	v_add_co_u32 v16, vcc_lo, v32, v16
	v_add_co_ci_u32_e32 v32, vcc_lo, 0, v33, vcc_lo
	s_delay_alu instid0(VALU_DEP_4) | instskip(NEXT) | instid1(VALU_DEP_3)
	v_xor_b32_e32 v38, v36, v17
	v_add_co_u32 v2, vcc_lo, v2, v16
	s_delay_alu instid0(VALU_DEP_3) | instskip(SKIP_1) | instid1(VALU_DEP_3)
	v_add_co_ci_u32_e32 v39, vcc_lo, v15, v32, vcc_lo
	v_xor_b32_e32 v40, v37, v17
	v_mul_hi_u32 v41, v38, v2
	s_delay_alu instid0(VALU_DEP_3) | instskip(NEXT) | instid1(VALU_DEP_3)
	v_mad_u64_u32 v[15:16], null, v38, v39, 0
	v_mad_u64_u32 v[32:33], null, v40, v2, 0
	;; [unrolled: 1-line block ×3, first 2 shown]
	s_delay_alu instid0(VALU_DEP_3) | instskip(NEXT) | instid1(VALU_DEP_4)
	v_add_co_u32 v2, vcc_lo, v41, v15
	v_add_co_ci_u32_e32 v15, vcc_lo, 0, v16, vcc_lo
	s_delay_alu instid0(VALU_DEP_2) | instskip(NEXT) | instid1(VALU_DEP_2)
	v_add_co_u32 v2, vcc_lo, v2, v32
	v_add_co_ci_u32_e32 v2, vcc_lo, v15, v33, vcc_lo
	v_add_co_ci_u32_e32 v15, vcc_lo, 0, v37, vcc_lo
	s_delay_alu instid0(VALU_DEP_2) | instskip(NEXT) | instid1(VALU_DEP_2)
	v_add_co_u32 v2, vcc_lo, v2, v36
	v_add_co_ci_u32_e32 v32, vcc_lo, 0, v15, vcc_lo
	s_delay_alu instid0(VALU_DEP_2) | instskip(SKIP_1) | instid1(VALU_DEP_3)
	v_mul_lo_u32 v33, s67, v2
	v_mad_u64_u32 v[15:16], null, s66, v2, 0
	v_mul_lo_u32 v36, s66, v32
	s_delay_alu instid0(VALU_DEP_2) | instskip(NEXT) | instid1(VALU_DEP_2)
	v_sub_co_u32 v15, vcc_lo, v38, v15
	v_add3_u32 v16, v16, v36, v33
	s_delay_alu instid0(VALU_DEP_1) | instskip(NEXT) | instid1(VALU_DEP_1)
	v_sub_nc_u32_e32 v33, v40, v16
	v_subrev_co_ci_u32_e64 v33, s0, s67, v33, vcc_lo
	v_add_co_u32 v36, s0, v2, 2
	s_delay_alu instid0(VALU_DEP_1) | instskip(SKIP_3) | instid1(VALU_DEP_3)
	v_add_co_ci_u32_e64 v37, s0, 0, v32, s0
	v_sub_co_u32 v38, s0, v15, s66
	v_sub_co_ci_u32_e32 v16, vcc_lo, v40, v16, vcc_lo
	v_subrev_co_ci_u32_e64 v33, s0, 0, v33, s0
	v_cmp_le_u32_e32 vcc_lo, s66, v38
	s_delay_alu instid0(VALU_DEP_3) | instskip(SKIP_1) | instid1(VALU_DEP_4)
	v_cmp_eq_u32_e64 s0, s67, v16
	v_cndmask_b32_e64 v38, 0, -1, vcc_lo
	v_cmp_le_u32_e32 vcc_lo, s67, v33
	v_cndmask_b32_e64 v39, 0, -1, vcc_lo
	v_cmp_le_u32_e32 vcc_lo, s66, v15
	;; [unrolled: 2-line block ×3, first 2 shown]
	v_cndmask_b32_e64 v40, 0, -1, vcc_lo
	v_cmp_eq_u32_e32 vcc_lo, s67, v33
	s_delay_alu instid0(VALU_DEP_2) | instskip(SKIP_3) | instid1(VALU_DEP_3)
	v_cndmask_b32_e64 v15, v40, v15, s0
	v_cndmask_b32_e32 v33, v39, v38, vcc_lo
	v_add_co_u32 v38, vcc_lo, v2, 1
	v_add_co_ci_u32_e32 v39, vcc_lo, 0, v32, vcc_lo
	v_cmp_ne_u32_e32 vcc_lo, 0, v33
	s_delay_alu instid0(VALU_DEP_2) | instskip(SKIP_2) | instid1(VALU_DEP_3)
	v_dual_cndmask_b32 v16, v39, v37 :: v_dual_cndmask_b32 v33, v38, v36
	v_cmp_ne_u32_e32 vcc_lo, 0, v15
	v_xor_b32_e32 v36, s64, v17
	v_dual_cndmask_b32 v15, v32, v16 :: v_dual_cndmask_b32 v2, v2, v33
	s_delay_alu instid0(VALU_DEP_1) | instskip(NEXT) | instid1(VALU_DEP_2)
	v_xor_b32_e32 v16, v15, v36
	v_xor_b32_e32 v2, v2, v36
	s_delay_alu instid0(VALU_DEP_1) | instskip(NEXT) | instid1(VALU_DEP_3)
	v_sub_co_u32 v15, vcc_lo, v2, v36
	v_sub_co_ci_u32_e32 v16, vcc_lo, v16, v36, vcc_lo
.LBB11_25:                              ;   in Loop: Header=BB11_3 Depth=1
	s_or_saveexec_b32 s0, s1
	v_cvt_f32_u32_e32 v37, s40
	s_xor_b32 exec_lo, exec_lo, s0
	s_cbranch_execz .LBB11_27
; %bb.26:                               ;   in Loop: Header=BB11_3 Depth=1
	s_delay_alu instid0(VALU_DEP_1) | instskip(SKIP_3) | instid1(VALU_DEP_1)
	v_rcp_iflag_f32_e32 v2, v37
	s_sub_i32 s1, 0, s40
	s_waitcnt_depctr 0xfff
	v_mul_f32_e32 v2, 0x4f7ffffe, v2
	v_cvt_u32_f32_e32 v2, v2
	s_delay_alu instid0(VALU_DEP_1) | instskip(NEXT) | instid1(VALU_DEP_1)
	v_mul_lo_u32 v15, s1, v2
	v_mul_hi_u32 v15, v2, v15
	s_delay_alu instid0(VALU_DEP_1) | instskip(NEXT) | instid1(VALU_DEP_1)
	v_add_nc_u32_e32 v2, v2, v15
	v_mul_hi_u32 v2, v18, v2
	s_delay_alu instid0(VALU_DEP_1) | instskip(SKIP_1) | instid1(VALU_DEP_2)
	v_mul_lo_u32 v15, v2, s40
	v_add_nc_u32_e32 v16, 1, v2
	v_sub_nc_u32_e32 v15, v18, v15
	s_delay_alu instid0(VALU_DEP_1) | instskip(SKIP_1) | instid1(VALU_DEP_2)
	v_subrev_nc_u32_e32 v32, s40, v15
	v_cmp_le_u32_e32 vcc_lo, s40, v15
	v_cndmask_b32_e32 v15, v15, v32, vcc_lo
	v_cndmask_b32_e32 v2, v2, v16, vcc_lo
	s_delay_alu instid0(VALU_DEP_2) | instskip(NEXT) | instid1(VALU_DEP_2)
	v_cmp_le_u32_e32 vcc_lo, s40, v15
	v_add_nc_u32_e32 v16, 1, v2
	s_delay_alu instid0(VALU_DEP_1)
	v_dual_cndmask_b32 v15, v2, v16 :: v_dual_mov_b32 v16, v1
.LBB11_27:                              ;   in Loop: Header=BB11_3 Depth=1
	s_or_b32 exec_lo, exec_lo, s0
	s_delay_alu instid0(VALU_DEP_1) | instskip(NEXT) | instid1(VALU_DEP_2)
	v_mul_lo_u32 v2, v16, s40
	v_mul_lo_u32 v36, v15, s41
	v_mad_u64_u32 v[32:33], null, v15, s40, 0
	v_mul_lo_u32 v38, v15, s13
	s_mov_b32 s0, exec_lo
	s_delay_alu instid0(VALU_DEP_2) | instskip(SKIP_1) | instid1(VALU_DEP_4)
	v_add3_u32 v2, v33, v36, v2
	v_mul_lo_u32 v36, v16, s12
	v_sub_co_u32 v16, vcc_lo, v5, v32
	v_mad_u64_u32 v[32:33], null, v15, s12, 0
	s_delay_alu instid0(VALU_DEP_4) | instskip(NEXT) | instid1(VALU_DEP_3)
	v_sub_co_ci_u32_e32 v2, vcc_lo, v6, v2, vcc_lo
	v_add_co_u32 v39, vcc_lo, v3, v16
	s_delay_alu instid0(VALU_DEP_2) | instskip(NEXT) | instid1(VALU_DEP_2)
	v_add_co_ci_u32_e32 v2, vcc_lo, v4, v2, vcc_lo
	v_mul_lo_u32 v40, v39, s15
	v_mad_u64_u32 v[15:16], null, v39, s14, 0
	s_delay_alu instid0(VALU_DEP_3) | instskip(SKIP_1) | instid1(VALU_DEP_1)
	v_mul_lo_u32 v2, v2, s14
	v_add3_u32 v33, v33, v38, v36
	v_lshlrev_b64 v[32:33], 1, v[32:33]
	s_delay_alu instid0(VALU_DEP_3) | instskip(NEXT) | instid1(VALU_DEP_2)
	v_add3_u32 v16, v16, v40, v2
	v_add_co_u32 v2, vcc_lo, s36, v32
	s_delay_alu instid0(VALU_DEP_2) | instskip(NEXT) | instid1(VALU_DEP_4)
	v_lshlrev_b64 v[15:16], 1, v[15:16]
	v_add_co_ci_u32_e32 v32, vcc_lo, s37, v33, vcc_lo
	s_delay_alu instid0(VALU_DEP_2) | instskip(NEXT) | instid1(VALU_DEP_2)
	v_add_co_u32 v15, vcc_lo, v2, v15
	v_add_co_ci_u32_e32 v16, vcc_lo, v32, v16, vcc_lo
	v_or_b32_e32 v2, s41, v23
	global_load_u16 v32, v[15:16], off
                                        ; implicit-def: $vgpr15_vgpr16
	v_cmpx_ne_u64_e32 0, v[1:2]
	s_xor_b32 s1, exec_lo, s0
	s_cbranch_execz .LBB11_29
; %bb.28:                               ;   in Loop: Header=BB11_3 Depth=1
	s_ashr_i32 s64, s41, 31
	s_delay_alu instid0(SALU_CYCLE_1) | instskip(SKIP_2) | instid1(SALU_CYCLE_1)
	s_add_u32 s66, s40, s64
	s_mov_b32 s65, s64
	s_addc_u32 s67, s41, s64
	s_xor_b64 s[66:67], s[66:67], s[64:65]
	s_delay_alu instid0(SALU_CYCLE_1) | instskip(SKIP_3) | instid1(VALU_DEP_1)
	v_cvt_f32_u32_e32 v2, s66
	v_cvt_f32_u32_e32 v15, s67
	s_sub_u32 s0, 0, s66
	s_subb_u32 s65, 0, s67
	v_fmac_f32_e32 v2, 0x4f800000, v15
	s_delay_alu instid0(VALU_DEP_1) | instskip(SKIP_2) | instid1(VALU_DEP_1)
	v_rcp_f32_e32 v2, v2
	s_waitcnt_depctr 0xfff
	v_mul_f32_e32 v2, 0x5f7ffffc, v2
	v_mul_f32_e32 v15, 0x2f800000, v2
	s_delay_alu instid0(VALU_DEP_1) | instskip(NEXT) | instid1(VALU_DEP_1)
	v_trunc_f32_e32 v15, v15
	v_fmac_f32_e32 v2, 0xcf800000, v15
	v_cvt_u32_f32_e32 v15, v15
	s_delay_alu instid0(VALU_DEP_2) | instskip(NEXT) | instid1(VALU_DEP_2)
	v_cvt_u32_f32_e32 v2, v2
	v_mul_lo_u32 v16, s0, v15
	s_delay_alu instid0(VALU_DEP_2) | instskip(SKIP_1) | instid1(VALU_DEP_2)
	v_mul_hi_u32 v33, s0, v2
	v_mul_lo_u32 v36, s65, v2
	v_add_nc_u32_e32 v16, v33, v16
	v_mul_lo_u32 v33, s0, v2
	s_delay_alu instid0(VALU_DEP_2) | instskip(NEXT) | instid1(VALU_DEP_2)
	v_add_nc_u32_e32 v16, v16, v36
	v_mul_hi_u32 v36, v2, v33
	s_delay_alu instid0(VALU_DEP_2)
	v_mul_lo_u32 v38, v2, v16
	v_mul_hi_u32 v39, v2, v16
	v_mul_hi_u32 v40, v15, v33
	v_mul_lo_u32 v33, v15, v33
	v_mul_hi_u32 v41, v15, v16
	v_mul_lo_u32 v16, v15, v16
	v_add_co_u32 v36, vcc_lo, v36, v38
	v_add_co_ci_u32_e32 v38, vcc_lo, 0, v39, vcc_lo
	s_delay_alu instid0(VALU_DEP_2) | instskip(NEXT) | instid1(VALU_DEP_2)
	v_add_co_u32 v33, vcc_lo, v36, v33
	v_add_co_ci_u32_e32 v33, vcc_lo, v38, v40, vcc_lo
	v_add_co_ci_u32_e32 v36, vcc_lo, 0, v41, vcc_lo
	s_delay_alu instid0(VALU_DEP_2) | instskip(NEXT) | instid1(VALU_DEP_2)
	v_add_co_u32 v16, vcc_lo, v33, v16
	v_add_co_ci_u32_e32 v33, vcc_lo, 0, v36, vcc_lo
	s_delay_alu instid0(VALU_DEP_2) | instskip(NEXT) | instid1(VALU_DEP_2)
	v_add_co_u32 v2, vcc_lo, v2, v16
	v_add_co_ci_u32_e32 v15, vcc_lo, v15, v33, vcc_lo
	s_delay_alu instid0(VALU_DEP_2) | instskip(SKIP_1) | instid1(VALU_DEP_3)
	v_mul_hi_u32 v16, s0, v2
	v_mul_lo_u32 v36, s65, v2
	v_mul_lo_u32 v33, s0, v15
	s_delay_alu instid0(VALU_DEP_1) | instskip(SKIP_1) | instid1(VALU_DEP_2)
	v_add_nc_u32_e32 v16, v16, v33
	v_mul_lo_u32 v33, s0, v2
	v_add_nc_u32_e32 v16, v16, v36
	s_delay_alu instid0(VALU_DEP_2) | instskip(NEXT) | instid1(VALU_DEP_2)
	v_mul_hi_u32 v36, v2, v33
	v_mul_lo_u32 v38, v2, v16
	v_mul_hi_u32 v39, v2, v16
	v_mul_hi_u32 v40, v15, v33
	v_mul_lo_u32 v33, v15, v33
	v_mul_hi_u32 v41, v15, v16
	v_mul_lo_u32 v16, v15, v16
	v_add_co_u32 v36, vcc_lo, v36, v38
	v_add_co_ci_u32_e32 v38, vcc_lo, 0, v39, vcc_lo
	s_delay_alu instid0(VALU_DEP_2) | instskip(NEXT) | instid1(VALU_DEP_2)
	v_add_co_u32 v33, vcc_lo, v36, v33
	v_add_co_ci_u32_e32 v33, vcc_lo, v38, v40, vcc_lo
	v_add_co_ci_u32_e32 v36, vcc_lo, 0, v41, vcc_lo
	v_add_co_u32 v38, vcc_lo, v21, v19
	v_add_co_ci_u32_e32 v39, vcc_lo, v23, v19, vcc_lo
	s_delay_alu instid0(VALU_DEP_4) | instskip(NEXT) | instid1(VALU_DEP_4)
	v_add_co_u32 v16, vcc_lo, v33, v16
	v_add_co_ci_u32_e32 v33, vcc_lo, 0, v36, vcc_lo
	s_delay_alu instid0(VALU_DEP_4) | instskip(NEXT) | instid1(VALU_DEP_3)
	v_xor_b32_e32 v36, v38, v19
	v_add_co_u32 v2, vcc_lo, v2, v16
	s_delay_alu instid0(VALU_DEP_3) | instskip(SKIP_1) | instid1(VALU_DEP_3)
	v_add_co_ci_u32_e32 v33, vcc_lo, v15, v33, vcc_lo
	v_xor_b32_e32 v42, v39, v19
	v_mul_hi_u32 v43, v36, v2
	s_delay_alu instid0(VALU_DEP_3) | instskip(NEXT) | instid1(VALU_DEP_3)
	v_mad_u64_u32 v[15:16], null, v36, v33, 0
	v_mad_u64_u32 v[38:39], null, v42, v2, 0
	;; [unrolled: 1-line block ×3, first 2 shown]
	s_delay_alu instid0(VALU_DEP_3) | instskip(NEXT) | instid1(VALU_DEP_4)
	v_add_co_u32 v2, vcc_lo, v43, v15
	v_add_co_ci_u32_e32 v15, vcc_lo, 0, v16, vcc_lo
	s_delay_alu instid0(VALU_DEP_2) | instskip(NEXT) | instid1(VALU_DEP_2)
	v_add_co_u32 v2, vcc_lo, v2, v38
	v_add_co_ci_u32_e32 v2, vcc_lo, v15, v39, vcc_lo
	v_add_co_ci_u32_e32 v15, vcc_lo, 0, v41, vcc_lo
	s_delay_alu instid0(VALU_DEP_2) | instskip(NEXT) | instid1(VALU_DEP_2)
	v_add_co_u32 v2, vcc_lo, v2, v40
	v_add_co_ci_u32_e32 v33, vcc_lo, 0, v15, vcc_lo
	s_delay_alu instid0(VALU_DEP_2) | instskip(SKIP_1) | instid1(VALU_DEP_3)
	v_mul_lo_u32 v38, s67, v2
	v_mad_u64_u32 v[15:16], null, s66, v2, 0
	v_mul_lo_u32 v39, s66, v33
	s_delay_alu instid0(VALU_DEP_2) | instskip(NEXT) | instid1(VALU_DEP_2)
	v_sub_co_u32 v15, vcc_lo, v36, v15
	v_add3_u32 v16, v16, v39, v38
	s_delay_alu instid0(VALU_DEP_1) | instskip(NEXT) | instid1(VALU_DEP_1)
	v_sub_nc_u32_e32 v38, v42, v16
	v_subrev_co_ci_u32_e64 v36, s0, s67, v38, vcc_lo
	v_add_co_u32 v38, s0, v2, 2
	s_delay_alu instid0(VALU_DEP_1) | instskip(SKIP_3) | instid1(VALU_DEP_3)
	v_add_co_ci_u32_e64 v39, s0, 0, v33, s0
	v_sub_co_u32 v40, s0, v15, s66
	v_sub_co_ci_u32_e32 v16, vcc_lo, v42, v16, vcc_lo
	v_subrev_co_ci_u32_e64 v36, s0, 0, v36, s0
	v_cmp_le_u32_e32 vcc_lo, s66, v40
	s_delay_alu instid0(VALU_DEP_3) | instskip(SKIP_1) | instid1(VALU_DEP_4)
	v_cmp_eq_u32_e64 s0, s67, v16
	v_cndmask_b32_e64 v40, 0, -1, vcc_lo
	v_cmp_le_u32_e32 vcc_lo, s67, v36
	v_cndmask_b32_e64 v41, 0, -1, vcc_lo
	v_cmp_le_u32_e32 vcc_lo, s66, v15
	;; [unrolled: 2-line block ×3, first 2 shown]
	v_cndmask_b32_e64 v42, 0, -1, vcc_lo
	v_cmp_eq_u32_e32 vcc_lo, s67, v36
	s_delay_alu instid0(VALU_DEP_2) | instskip(SKIP_3) | instid1(VALU_DEP_3)
	v_cndmask_b32_e64 v15, v42, v15, s0
	v_cndmask_b32_e32 v36, v41, v40, vcc_lo
	v_add_co_u32 v40, vcc_lo, v2, 1
	v_add_co_ci_u32_e32 v41, vcc_lo, 0, v33, vcc_lo
	v_cmp_ne_u32_e32 vcc_lo, 0, v36
	s_delay_alu instid0(VALU_DEP_2) | instskip(NEXT) | instid1(VALU_DEP_4)
	v_cndmask_b32_e32 v16, v41, v39, vcc_lo
	v_cndmask_b32_e32 v36, v40, v38, vcc_lo
	v_cmp_ne_u32_e32 vcc_lo, 0, v15
	v_xor_b32_e32 v38, s64, v19
	s_delay_alu instid0(VALU_DEP_3) | instskip(SKIP_1) | instid1(VALU_DEP_2)
	v_cndmask_b32_e32 v2, v2, v36, vcc_lo
	v_cndmask_b32_e32 v15, v33, v16, vcc_lo
	v_xor_b32_e32 v2, v2, v38
	s_delay_alu instid0(VALU_DEP_2) | instskip(NEXT) | instid1(VALU_DEP_2)
	v_xor_b32_e32 v16, v15, v38
	v_sub_co_u32 v15, vcc_lo, v2, v38
	s_delay_alu instid0(VALU_DEP_2)
	v_sub_co_ci_u32_e32 v16, vcc_lo, v16, v38, vcc_lo
.LBB11_29:                              ;   in Loop: Header=BB11_3 Depth=1
	s_and_not1_saveexec_b32 s0, s1
	s_cbranch_execz .LBB11_31
; %bb.30:                               ;   in Loop: Header=BB11_3 Depth=1
	v_rcp_iflag_f32_e32 v2, v37
	s_sub_i32 s1, 0, s40
	s_waitcnt_depctr 0xfff
	v_mul_f32_e32 v2, 0x4f7ffffe, v2
	s_delay_alu instid0(VALU_DEP_1) | instskip(NEXT) | instid1(VALU_DEP_1)
	v_cvt_u32_f32_e32 v2, v2
	v_mul_lo_u32 v15, s1, v2
	s_delay_alu instid0(VALU_DEP_1) | instskip(NEXT) | instid1(VALU_DEP_1)
	v_mul_hi_u32 v15, v2, v15
	v_add_nc_u32_e32 v2, v2, v15
	s_delay_alu instid0(VALU_DEP_1) | instskip(NEXT) | instid1(VALU_DEP_1)
	v_mul_hi_u32 v2, v21, v2
	v_mul_lo_u32 v15, v2, s40
	v_add_nc_u32_e32 v16, 1, v2
	s_delay_alu instid0(VALU_DEP_2) | instskip(NEXT) | instid1(VALU_DEP_1)
	v_sub_nc_u32_e32 v15, v21, v15
	v_subrev_nc_u32_e32 v33, s40, v15
	v_cmp_le_u32_e32 vcc_lo, s40, v15
	s_delay_alu instid0(VALU_DEP_2) | instskip(NEXT) | instid1(VALU_DEP_1)
	v_dual_cndmask_b32 v15, v15, v33 :: v_dual_cndmask_b32 v2, v2, v16
	v_cmp_le_u32_e32 vcc_lo, s40, v15
	s_delay_alu instid0(VALU_DEP_2) | instskip(NEXT) | instid1(VALU_DEP_1)
	v_add_nc_u32_e32 v16, 1, v2
	v_dual_cndmask_b32 v15, v2, v16 :: v_dual_mov_b32 v16, v1
.LBB11_31:                              ;   in Loop: Header=BB11_3 Depth=1
	s_or_b32 exec_lo, exec_lo, s0
	s_delay_alu instid0(VALU_DEP_1) | instskip(NEXT) | instid1(VALU_DEP_2)
	v_mul_lo_u32 v2, v16, s40
	v_mul_lo_u32 v33, v15, s41
	v_mad_u64_u32 v[38:39], null, v15, s40, 0
	v_mul_lo_u32 v36, v15, s13
	s_mov_b32 s0, exec_lo
	s_delay_alu instid0(VALU_DEP_2) | instskip(SKIP_1) | instid1(VALU_DEP_4)
	v_add3_u32 v2, v39, v33, v2
	v_mul_lo_u32 v33, v16, s12
	v_sub_co_u32 v16, vcc_lo, v7, v38
	v_mad_u64_u32 v[38:39], null, v15, s12, 0
	s_delay_alu instid0(VALU_DEP_4) | instskip(NEXT) | instid1(VALU_DEP_3)
	v_sub_co_ci_u32_e32 v2, vcc_lo, v8, v2, vcc_lo
	v_add_co_u32 v40, vcc_lo, v3, v16
	s_delay_alu instid0(VALU_DEP_2) | instskip(NEXT) | instid1(VALU_DEP_2)
	v_add_co_ci_u32_e32 v2, vcc_lo, v4, v2, vcc_lo
	v_mul_lo_u32 v41, v40, s15
	v_mad_u64_u32 v[15:16], null, v40, s14, 0
	s_delay_alu instid0(VALU_DEP_3) | instskip(SKIP_1) | instid1(VALU_DEP_1)
	v_mul_lo_u32 v2, v2, s14
	v_add3_u32 v39, v39, v36, v33
	v_lshlrev_b64 v[38:39], 1, v[38:39]
	s_delay_alu instid0(VALU_DEP_3) | instskip(NEXT) | instid1(VALU_DEP_2)
	v_add3_u32 v16, v16, v41, v2
	v_add_co_u32 v2, vcc_lo, s36, v38
	s_delay_alu instid0(VALU_DEP_2) | instskip(NEXT) | instid1(VALU_DEP_4)
	v_lshlrev_b64 v[15:16], 1, v[15:16]
	v_add_co_ci_u32_e32 v33, vcc_lo, s37, v39, vcc_lo
	s_delay_alu instid0(VALU_DEP_2) | instskip(NEXT) | instid1(VALU_DEP_2)
	v_add_co_u32 v15, vcc_lo, v2, v15
	v_add_co_ci_u32_e32 v16, vcc_lo, v33, v16, vcc_lo
	v_or_b32_e32 v2, s41, v26
	global_load_u16 v33, v[15:16], off
                                        ; implicit-def: $vgpr15_vgpr16
	v_cmpx_ne_u64_e32 0, v[1:2]
	s_xor_b32 s1, exec_lo, s0
	s_cbranch_execz .LBB11_33
; %bb.32:                               ;   in Loop: Header=BB11_3 Depth=1
	s_ashr_i32 s64, s41, 31
	s_delay_alu instid0(SALU_CYCLE_1) | instskip(SKIP_2) | instid1(SALU_CYCLE_1)
	s_add_u32 s66, s40, s64
	s_mov_b32 s65, s64
	s_addc_u32 s67, s41, s64
	s_xor_b64 s[66:67], s[66:67], s[64:65]
	s_delay_alu instid0(SALU_CYCLE_1) | instskip(SKIP_3) | instid1(VALU_DEP_1)
	v_cvt_f32_u32_e32 v2, s66
	v_cvt_f32_u32_e32 v15, s67
	s_sub_u32 s0, 0, s66
	s_subb_u32 s65, 0, s67
	v_fmac_f32_e32 v2, 0x4f800000, v15
	s_delay_alu instid0(VALU_DEP_1) | instskip(SKIP_2) | instid1(VALU_DEP_1)
	v_rcp_f32_e32 v2, v2
	s_waitcnt_depctr 0xfff
	v_mul_f32_e32 v2, 0x5f7ffffc, v2
	v_mul_f32_e32 v15, 0x2f800000, v2
	s_delay_alu instid0(VALU_DEP_1) | instskip(NEXT) | instid1(VALU_DEP_1)
	v_trunc_f32_e32 v15, v15
	v_fmac_f32_e32 v2, 0xcf800000, v15
	v_cvt_u32_f32_e32 v15, v15
	s_delay_alu instid0(VALU_DEP_2) | instskip(NEXT) | instid1(VALU_DEP_2)
	v_cvt_u32_f32_e32 v2, v2
	v_mul_lo_u32 v16, s0, v15
	s_delay_alu instid0(VALU_DEP_2) | instskip(SKIP_1) | instid1(VALU_DEP_2)
	v_mul_hi_u32 v36, s0, v2
	v_mul_lo_u32 v38, s65, v2
	v_add_nc_u32_e32 v16, v36, v16
	v_mul_lo_u32 v36, s0, v2
	s_delay_alu instid0(VALU_DEP_2) | instskip(NEXT) | instid1(VALU_DEP_2)
	v_add_nc_u32_e32 v16, v16, v38
	v_mul_hi_u32 v38, v2, v36
	s_delay_alu instid0(VALU_DEP_2)
	v_mul_lo_u32 v39, v2, v16
	v_mul_hi_u32 v40, v2, v16
	v_mul_hi_u32 v41, v15, v36
	v_mul_lo_u32 v36, v15, v36
	v_mul_hi_u32 v42, v15, v16
	v_mul_lo_u32 v16, v15, v16
	v_add_co_u32 v38, vcc_lo, v38, v39
	v_add_co_ci_u32_e32 v39, vcc_lo, 0, v40, vcc_lo
	s_delay_alu instid0(VALU_DEP_2) | instskip(NEXT) | instid1(VALU_DEP_2)
	v_add_co_u32 v36, vcc_lo, v38, v36
	v_add_co_ci_u32_e32 v36, vcc_lo, v39, v41, vcc_lo
	v_add_co_ci_u32_e32 v38, vcc_lo, 0, v42, vcc_lo
	s_delay_alu instid0(VALU_DEP_2) | instskip(NEXT) | instid1(VALU_DEP_2)
	v_add_co_u32 v16, vcc_lo, v36, v16
	v_add_co_ci_u32_e32 v36, vcc_lo, 0, v38, vcc_lo
	s_delay_alu instid0(VALU_DEP_2) | instskip(NEXT) | instid1(VALU_DEP_2)
	v_add_co_u32 v2, vcc_lo, v2, v16
	v_add_co_ci_u32_e32 v15, vcc_lo, v15, v36, vcc_lo
	s_delay_alu instid0(VALU_DEP_2) | instskip(SKIP_1) | instid1(VALU_DEP_3)
	v_mul_hi_u32 v16, s0, v2
	v_mul_lo_u32 v38, s65, v2
	v_mul_lo_u32 v36, s0, v15
	s_delay_alu instid0(VALU_DEP_1) | instskip(SKIP_1) | instid1(VALU_DEP_2)
	v_add_nc_u32_e32 v16, v16, v36
	v_mul_lo_u32 v36, s0, v2
	v_add_nc_u32_e32 v16, v16, v38
	s_delay_alu instid0(VALU_DEP_2) | instskip(NEXT) | instid1(VALU_DEP_2)
	v_mul_hi_u32 v38, v2, v36
	v_mul_lo_u32 v39, v2, v16
	v_mul_hi_u32 v40, v2, v16
	v_mul_hi_u32 v41, v15, v36
	v_mul_lo_u32 v36, v15, v36
	v_mul_hi_u32 v42, v15, v16
	v_mul_lo_u32 v16, v15, v16
	v_add_co_u32 v38, vcc_lo, v38, v39
	v_add_co_ci_u32_e32 v39, vcc_lo, 0, v40, vcc_lo
	s_delay_alu instid0(VALU_DEP_2) | instskip(NEXT) | instid1(VALU_DEP_2)
	v_add_co_u32 v36, vcc_lo, v38, v36
	v_add_co_ci_u32_e32 v36, vcc_lo, v39, v41, vcc_lo
	v_add_co_ci_u32_e32 v38, vcc_lo, 0, v42, vcc_lo
	v_add_co_u32 v39, vcc_lo, v25, v22
	v_add_co_ci_u32_e32 v40, vcc_lo, v26, v22, vcc_lo
	s_delay_alu instid0(VALU_DEP_4) | instskip(NEXT) | instid1(VALU_DEP_4)
	v_add_co_u32 v16, vcc_lo, v36, v16
	v_add_co_ci_u32_e32 v36, vcc_lo, 0, v38, vcc_lo
	s_delay_alu instid0(VALU_DEP_4) | instskip(NEXT) | instid1(VALU_DEP_3)
	v_xor_b32_e32 v42, v39, v22
	v_add_co_u32 v2, vcc_lo, v2, v16
	s_delay_alu instid0(VALU_DEP_3) | instskip(SKIP_1) | instid1(VALU_DEP_3)
	v_add_co_ci_u32_e32 v36, vcc_lo, v15, v36, vcc_lo
	v_xor_b32_e32 v43, v40, v22
	v_mul_hi_u32 v44, v42, v2
	s_delay_alu instid0(VALU_DEP_3) | instskip(NEXT) | instid1(VALU_DEP_3)
	v_mad_u64_u32 v[15:16], null, v42, v36, 0
	v_mad_u64_u32 v[38:39], null, v43, v2, 0
	;; [unrolled: 1-line block ×3, first 2 shown]
	s_delay_alu instid0(VALU_DEP_3) | instskip(NEXT) | instid1(VALU_DEP_4)
	v_add_co_u32 v2, vcc_lo, v44, v15
	v_add_co_ci_u32_e32 v15, vcc_lo, 0, v16, vcc_lo
	s_delay_alu instid0(VALU_DEP_2) | instskip(NEXT) | instid1(VALU_DEP_2)
	v_add_co_u32 v2, vcc_lo, v2, v38
	v_add_co_ci_u32_e32 v2, vcc_lo, v15, v39, vcc_lo
	v_add_co_ci_u32_e32 v15, vcc_lo, 0, v41, vcc_lo
	s_delay_alu instid0(VALU_DEP_2) | instskip(NEXT) | instid1(VALU_DEP_2)
	v_add_co_u32 v2, vcc_lo, v2, v40
	v_add_co_ci_u32_e32 v36, vcc_lo, 0, v15, vcc_lo
	s_delay_alu instid0(VALU_DEP_2) | instskip(SKIP_1) | instid1(VALU_DEP_3)
	v_mul_lo_u32 v38, s67, v2
	v_mad_u64_u32 v[15:16], null, s66, v2, 0
	v_mul_lo_u32 v39, s66, v36
	s_delay_alu instid0(VALU_DEP_2) | instskip(NEXT) | instid1(VALU_DEP_2)
	v_sub_co_u32 v15, vcc_lo, v42, v15
	v_add3_u32 v16, v16, v39, v38
	s_delay_alu instid0(VALU_DEP_1) | instskip(NEXT) | instid1(VALU_DEP_1)
	v_sub_nc_u32_e32 v38, v43, v16
	v_subrev_co_ci_u32_e64 v38, s0, s67, v38, vcc_lo
	v_add_co_u32 v39, s0, v2, 2
	s_delay_alu instid0(VALU_DEP_1) | instskip(SKIP_3) | instid1(VALU_DEP_3)
	v_add_co_ci_u32_e64 v40, s0, 0, v36, s0
	v_sub_co_u32 v41, s0, v15, s66
	v_sub_co_ci_u32_e32 v16, vcc_lo, v43, v16, vcc_lo
	v_subrev_co_ci_u32_e64 v38, s0, 0, v38, s0
	v_cmp_le_u32_e32 vcc_lo, s66, v41
	s_delay_alu instid0(VALU_DEP_3) | instskip(SKIP_1) | instid1(VALU_DEP_4)
	v_cmp_eq_u32_e64 s0, s67, v16
	v_cndmask_b32_e64 v41, 0, -1, vcc_lo
	v_cmp_le_u32_e32 vcc_lo, s67, v38
	v_cndmask_b32_e64 v42, 0, -1, vcc_lo
	v_cmp_le_u32_e32 vcc_lo, s66, v15
	;; [unrolled: 2-line block ×3, first 2 shown]
	v_cndmask_b32_e64 v43, 0, -1, vcc_lo
	v_cmp_eq_u32_e32 vcc_lo, s67, v38
	s_delay_alu instid0(VALU_DEP_2) | instskip(SKIP_3) | instid1(VALU_DEP_3)
	v_cndmask_b32_e64 v15, v43, v15, s0
	v_cndmask_b32_e32 v38, v42, v41, vcc_lo
	v_add_co_u32 v41, vcc_lo, v2, 1
	v_add_co_ci_u32_e32 v42, vcc_lo, 0, v36, vcc_lo
	v_cmp_ne_u32_e32 vcc_lo, 0, v38
	s_delay_alu instid0(VALU_DEP_2) | instskip(NEXT) | instid1(VALU_DEP_4)
	v_cndmask_b32_e32 v16, v42, v40, vcc_lo
	v_cndmask_b32_e32 v38, v41, v39, vcc_lo
	v_cmp_ne_u32_e32 vcc_lo, 0, v15
	v_xor_b32_e32 v39, s64, v22
	s_delay_alu instid0(VALU_DEP_3) | instskip(NEXT) | instid1(VALU_DEP_1)
	v_dual_cndmask_b32 v2, v2, v38 :: v_dual_cndmask_b32 v15, v36, v16
	v_xor_b32_e32 v2, v2, v39
	s_delay_alu instid0(VALU_DEP_2) | instskip(NEXT) | instid1(VALU_DEP_2)
	v_xor_b32_e32 v16, v15, v39
	v_sub_co_u32 v15, vcc_lo, v2, v39
	s_delay_alu instid0(VALU_DEP_2)
	v_sub_co_ci_u32_e32 v16, vcc_lo, v16, v39, vcc_lo
.LBB11_33:                              ;   in Loop: Header=BB11_3 Depth=1
	s_and_not1_saveexec_b32 s0, s1
	s_cbranch_execz .LBB11_35
; %bb.34:                               ;   in Loop: Header=BB11_3 Depth=1
	v_rcp_iflag_f32_e32 v2, v37
	s_sub_i32 s1, 0, s40
	s_waitcnt_depctr 0xfff
	v_mul_f32_e32 v2, 0x4f7ffffe, v2
	s_delay_alu instid0(VALU_DEP_1) | instskip(NEXT) | instid1(VALU_DEP_1)
	v_cvt_u32_f32_e32 v2, v2
	v_mul_lo_u32 v15, s1, v2
	s_delay_alu instid0(VALU_DEP_1) | instskip(NEXT) | instid1(VALU_DEP_1)
	v_mul_hi_u32 v15, v2, v15
	v_add_nc_u32_e32 v2, v2, v15
	s_delay_alu instid0(VALU_DEP_1) | instskip(NEXT) | instid1(VALU_DEP_1)
	v_mul_hi_u32 v2, v25, v2
	v_mul_lo_u32 v15, v2, s40
	v_add_nc_u32_e32 v16, 1, v2
	s_delay_alu instid0(VALU_DEP_2) | instskip(NEXT) | instid1(VALU_DEP_1)
	v_sub_nc_u32_e32 v15, v25, v15
	v_subrev_nc_u32_e32 v36, s40, v15
	v_cmp_le_u32_e32 vcc_lo, s40, v15
	s_delay_alu instid0(VALU_DEP_2) | instskip(SKIP_1) | instid1(VALU_DEP_2)
	v_cndmask_b32_e32 v15, v15, v36, vcc_lo
	v_cndmask_b32_e32 v2, v2, v16, vcc_lo
	v_cmp_le_u32_e32 vcc_lo, s40, v15
	s_delay_alu instid0(VALU_DEP_2) | instskip(NEXT) | instid1(VALU_DEP_1)
	v_add_nc_u32_e32 v16, 1, v2
	v_dual_cndmask_b32 v15, v2, v16 :: v_dual_mov_b32 v16, v1
.LBB11_35:                              ;   in Loop: Header=BB11_3 Depth=1
	s_or_b32 exec_lo, exec_lo, s0
	s_delay_alu instid0(VALU_DEP_1) | instskip(NEXT) | instid1(VALU_DEP_2)
	v_mul_lo_u32 v2, v16, s40
	v_mul_lo_u32 v36, v15, s41
	v_mad_u64_u32 v[38:39], null, v15, s40, 0
	v_mul_lo_u32 v40, v15, s13
	s_mov_b32 s0, exec_lo
	s_delay_alu instid0(VALU_DEP_2) | instskip(SKIP_1) | instid1(VALU_DEP_4)
	v_add3_u32 v2, v39, v36, v2
	v_mul_lo_u32 v36, v16, s12
	v_sub_co_u32 v16, vcc_lo, v11, v38
	v_mad_u64_u32 v[38:39], null, v15, s12, 0
	s_delay_alu instid0(VALU_DEP_4) | instskip(NEXT) | instid1(VALU_DEP_3)
	v_sub_co_ci_u32_e32 v2, vcc_lo, v12, v2, vcc_lo
	v_add_co_u32 v41, vcc_lo, v3, v16
	s_delay_alu instid0(VALU_DEP_2) | instskip(NEXT) | instid1(VALU_DEP_2)
	v_add_co_ci_u32_e32 v2, vcc_lo, v4, v2, vcc_lo
	v_mul_lo_u32 v42, v41, s15
	v_mad_u64_u32 v[15:16], null, v41, s14, 0
	s_delay_alu instid0(VALU_DEP_3) | instskip(SKIP_1) | instid1(VALU_DEP_1)
	v_mul_lo_u32 v2, v2, s14
	v_add3_u32 v39, v39, v40, v36
	v_lshlrev_b64 v[38:39], 1, v[38:39]
	s_delay_alu instid0(VALU_DEP_3) | instskip(NEXT) | instid1(VALU_DEP_2)
	v_add3_u32 v16, v16, v42, v2
	v_add_co_u32 v2, vcc_lo, s36, v38
	s_delay_alu instid0(VALU_DEP_2) | instskip(NEXT) | instid1(VALU_DEP_4)
	v_lshlrev_b64 v[15:16], 1, v[15:16]
	v_add_co_ci_u32_e32 v36, vcc_lo, s37, v39, vcc_lo
	s_delay_alu instid0(VALU_DEP_2) | instskip(NEXT) | instid1(VALU_DEP_2)
	v_add_co_u32 v15, vcc_lo, v2, v15
	v_add_co_ci_u32_e32 v16, vcc_lo, v36, v16, vcc_lo
	v_or_b32_e32 v2, s41, v35
	global_load_u16 v36, v[15:16], off
                                        ; implicit-def: $vgpr15_vgpr16
	v_cmpx_ne_u64_e32 0, v[1:2]
	s_xor_b32 s1, exec_lo, s0
	s_cbranch_execz .LBB11_37
; %bb.36:                               ;   in Loop: Header=BB11_3 Depth=1
	s_ashr_i32 s64, s41, 31
	s_delay_alu instid0(SALU_CYCLE_1) | instskip(SKIP_2) | instid1(SALU_CYCLE_1)
	s_add_u32 s66, s40, s64
	s_mov_b32 s65, s64
	s_addc_u32 s67, s41, s64
	s_xor_b64 s[66:67], s[66:67], s[64:65]
	s_delay_alu instid0(SALU_CYCLE_1) | instskip(SKIP_3) | instid1(VALU_DEP_1)
	v_cvt_f32_u32_e32 v2, s66
	v_cvt_f32_u32_e32 v15, s67
	s_sub_u32 s0, 0, s66
	s_subb_u32 s65, 0, s67
	v_fmac_f32_e32 v2, 0x4f800000, v15
	s_delay_alu instid0(VALU_DEP_1) | instskip(SKIP_2) | instid1(VALU_DEP_1)
	v_rcp_f32_e32 v2, v2
	s_waitcnt_depctr 0xfff
	v_mul_f32_e32 v2, 0x5f7ffffc, v2
	v_mul_f32_e32 v15, 0x2f800000, v2
	s_delay_alu instid0(VALU_DEP_1) | instskip(NEXT) | instid1(VALU_DEP_1)
	v_trunc_f32_e32 v15, v15
	v_fmac_f32_e32 v2, 0xcf800000, v15
	v_cvt_u32_f32_e32 v15, v15
	s_delay_alu instid0(VALU_DEP_2) | instskip(NEXT) | instid1(VALU_DEP_2)
	v_cvt_u32_f32_e32 v2, v2
	v_mul_lo_u32 v16, s0, v15
	s_delay_alu instid0(VALU_DEP_2) | instskip(SKIP_1) | instid1(VALU_DEP_2)
	v_mul_hi_u32 v37, s0, v2
	v_mul_lo_u32 v38, s65, v2
	v_add_nc_u32_e32 v16, v37, v16
	v_mul_lo_u32 v37, s0, v2
	s_delay_alu instid0(VALU_DEP_2) | instskip(NEXT) | instid1(VALU_DEP_2)
	v_add_nc_u32_e32 v16, v16, v38
	v_mul_hi_u32 v38, v2, v37
	s_delay_alu instid0(VALU_DEP_2)
	v_mul_lo_u32 v39, v2, v16
	v_mul_hi_u32 v40, v2, v16
	v_mul_hi_u32 v41, v15, v37
	v_mul_lo_u32 v37, v15, v37
	v_mul_hi_u32 v42, v15, v16
	v_mul_lo_u32 v16, v15, v16
	v_add_co_u32 v38, vcc_lo, v38, v39
	v_add_co_ci_u32_e32 v39, vcc_lo, 0, v40, vcc_lo
	s_delay_alu instid0(VALU_DEP_2) | instskip(NEXT) | instid1(VALU_DEP_2)
	v_add_co_u32 v37, vcc_lo, v38, v37
	v_add_co_ci_u32_e32 v37, vcc_lo, v39, v41, vcc_lo
	v_add_co_ci_u32_e32 v38, vcc_lo, 0, v42, vcc_lo
	s_delay_alu instid0(VALU_DEP_2) | instskip(NEXT) | instid1(VALU_DEP_2)
	v_add_co_u32 v16, vcc_lo, v37, v16
	v_add_co_ci_u32_e32 v37, vcc_lo, 0, v38, vcc_lo
	s_delay_alu instid0(VALU_DEP_2) | instskip(NEXT) | instid1(VALU_DEP_2)
	v_add_co_u32 v2, vcc_lo, v2, v16
	v_add_co_ci_u32_e32 v15, vcc_lo, v15, v37, vcc_lo
	s_delay_alu instid0(VALU_DEP_2) | instskip(SKIP_1) | instid1(VALU_DEP_3)
	v_mul_hi_u32 v16, s0, v2
	v_mul_lo_u32 v38, s65, v2
	v_mul_lo_u32 v37, s0, v15
	s_delay_alu instid0(VALU_DEP_1) | instskip(SKIP_1) | instid1(VALU_DEP_2)
	v_add_nc_u32_e32 v16, v16, v37
	v_mul_lo_u32 v37, s0, v2
	v_add_nc_u32_e32 v16, v16, v38
	s_delay_alu instid0(VALU_DEP_2) | instskip(NEXT) | instid1(VALU_DEP_2)
	v_mul_hi_u32 v38, v2, v37
	v_mul_lo_u32 v39, v2, v16
	v_mul_hi_u32 v40, v2, v16
	v_mul_hi_u32 v41, v15, v37
	v_mul_lo_u32 v37, v15, v37
	v_mul_hi_u32 v42, v15, v16
	v_mul_lo_u32 v16, v15, v16
	v_add_co_u32 v38, vcc_lo, v38, v39
	v_add_co_ci_u32_e32 v39, vcc_lo, 0, v40, vcc_lo
	s_delay_alu instid0(VALU_DEP_2) | instskip(NEXT) | instid1(VALU_DEP_2)
	v_add_co_u32 v37, vcc_lo, v38, v37
	v_add_co_ci_u32_e32 v37, vcc_lo, v39, v41, vcc_lo
	v_add_co_ci_u32_e32 v38, vcc_lo, 0, v42, vcc_lo
	v_add_co_u32 v39, vcc_lo, v34, v24
	v_add_co_ci_u32_e32 v40, vcc_lo, v35, v24, vcc_lo
	s_delay_alu instid0(VALU_DEP_4) | instskip(NEXT) | instid1(VALU_DEP_4)
	v_add_co_u32 v16, vcc_lo, v37, v16
	v_add_co_ci_u32_e32 v37, vcc_lo, 0, v38, vcc_lo
	s_delay_alu instid0(VALU_DEP_4) | instskip(NEXT) | instid1(VALU_DEP_3)
	v_xor_b32_e32 v41, v39, v24
	v_add_co_u32 v2, vcc_lo, v2, v16
	s_delay_alu instid0(VALU_DEP_3) | instskip(SKIP_1) | instid1(VALU_DEP_3)
	v_add_co_ci_u32_e32 v42, vcc_lo, v15, v37, vcc_lo
	v_xor_b32_e32 v43, v40, v24
	v_mul_hi_u32 v44, v41, v2
	s_delay_alu instid0(VALU_DEP_3) | instskip(NEXT) | instid1(VALU_DEP_3)
	v_mad_u64_u32 v[15:16], null, v41, v42, 0
	v_mad_u64_u32 v[37:38], null, v43, v2, 0
	;; [unrolled: 1-line block ×3, first 2 shown]
	s_delay_alu instid0(VALU_DEP_3) | instskip(NEXT) | instid1(VALU_DEP_4)
	v_add_co_u32 v2, vcc_lo, v44, v15
	v_add_co_ci_u32_e32 v15, vcc_lo, 0, v16, vcc_lo
	s_delay_alu instid0(VALU_DEP_2) | instskip(NEXT) | instid1(VALU_DEP_2)
	v_add_co_u32 v2, vcc_lo, v2, v37
	v_add_co_ci_u32_e32 v2, vcc_lo, v15, v38, vcc_lo
	v_add_co_ci_u32_e32 v15, vcc_lo, 0, v40, vcc_lo
	s_delay_alu instid0(VALU_DEP_2) | instskip(NEXT) | instid1(VALU_DEP_2)
	v_add_co_u32 v2, vcc_lo, v2, v39
	v_add_co_ci_u32_e32 v37, vcc_lo, 0, v15, vcc_lo
	s_delay_alu instid0(VALU_DEP_2) | instskip(SKIP_1) | instid1(VALU_DEP_3)
	v_mul_lo_u32 v38, s67, v2
	v_mad_u64_u32 v[15:16], null, s66, v2, 0
	v_mul_lo_u32 v39, s66, v37
	s_delay_alu instid0(VALU_DEP_2) | instskip(NEXT) | instid1(VALU_DEP_2)
	v_sub_co_u32 v15, vcc_lo, v41, v15
	v_add3_u32 v16, v16, v39, v38
	s_delay_alu instid0(VALU_DEP_1) | instskip(NEXT) | instid1(VALU_DEP_1)
	v_sub_nc_u32_e32 v38, v43, v16
	v_subrev_co_ci_u32_e64 v38, s0, s67, v38, vcc_lo
	v_add_co_u32 v39, s0, v2, 2
	s_delay_alu instid0(VALU_DEP_1) | instskip(SKIP_3) | instid1(VALU_DEP_3)
	v_add_co_ci_u32_e64 v40, s0, 0, v37, s0
	v_sub_co_u32 v41, s0, v15, s66
	v_sub_co_ci_u32_e32 v16, vcc_lo, v43, v16, vcc_lo
	v_subrev_co_ci_u32_e64 v38, s0, 0, v38, s0
	v_cmp_le_u32_e32 vcc_lo, s66, v41
	s_delay_alu instid0(VALU_DEP_3) | instskip(SKIP_1) | instid1(VALU_DEP_4)
	v_cmp_eq_u32_e64 s0, s67, v16
	v_cndmask_b32_e64 v41, 0, -1, vcc_lo
	v_cmp_le_u32_e32 vcc_lo, s67, v38
	v_cndmask_b32_e64 v42, 0, -1, vcc_lo
	v_cmp_le_u32_e32 vcc_lo, s66, v15
	;; [unrolled: 2-line block ×3, first 2 shown]
	v_cndmask_b32_e64 v43, 0, -1, vcc_lo
	v_cmp_eq_u32_e32 vcc_lo, s67, v38
	s_delay_alu instid0(VALU_DEP_2) | instskip(SKIP_3) | instid1(VALU_DEP_3)
	v_cndmask_b32_e64 v15, v43, v15, s0
	v_cndmask_b32_e32 v38, v42, v41, vcc_lo
	v_add_co_u32 v41, vcc_lo, v2, 1
	v_add_co_ci_u32_e32 v42, vcc_lo, 0, v37, vcc_lo
	v_cmp_ne_u32_e32 vcc_lo, 0, v38
	s_delay_alu instid0(VALU_DEP_2) | instskip(NEXT) | instid1(VALU_DEP_4)
	v_cndmask_b32_e32 v16, v42, v40, vcc_lo
	v_cndmask_b32_e32 v38, v41, v39, vcc_lo
	v_cmp_ne_u32_e32 vcc_lo, 0, v15
	v_xor_b32_e32 v39, s64, v24
	s_delay_alu instid0(VALU_DEP_3) | instskip(NEXT) | instid1(VALU_DEP_1)
	v_dual_cndmask_b32 v2, v2, v38 :: v_dual_cndmask_b32 v15, v37, v16
                                        ; implicit-def: $vgpr37
	v_xor_b32_e32 v2, v2, v39
	s_delay_alu instid0(VALU_DEP_2) | instskip(NEXT) | instid1(VALU_DEP_2)
	v_xor_b32_e32 v16, v15, v39
	v_sub_co_u32 v15, vcc_lo, v2, v39
	s_delay_alu instid0(VALU_DEP_2)
	v_sub_co_ci_u32_e32 v16, vcc_lo, v16, v39, vcc_lo
.LBB11_37:                              ;   in Loop: Header=BB11_3 Depth=1
	s_and_not1_saveexec_b32 s0, s1
	s_cbranch_execz .LBB11_39
; %bb.38:                               ;   in Loop: Header=BB11_3 Depth=1
	v_rcp_iflag_f32_e32 v2, v37
	s_sub_i32 s1, 0, s40
	s_waitcnt_depctr 0xfff
	v_mul_f32_e32 v2, 0x4f7ffffe, v2
	s_delay_alu instid0(VALU_DEP_1) | instskip(NEXT) | instid1(VALU_DEP_1)
	v_cvt_u32_f32_e32 v2, v2
	v_mul_lo_u32 v15, s1, v2
	s_delay_alu instid0(VALU_DEP_1) | instskip(NEXT) | instid1(VALU_DEP_1)
	v_mul_hi_u32 v15, v2, v15
	v_add_nc_u32_e32 v2, v2, v15
	s_delay_alu instid0(VALU_DEP_1) | instskip(NEXT) | instid1(VALU_DEP_1)
	v_mul_hi_u32 v2, v34, v2
	v_mul_lo_u32 v15, v2, s40
	v_add_nc_u32_e32 v16, 1, v2
	s_delay_alu instid0(VALU_DEP_2) | instskip(NEXT) | instid1(VALU_DEP_1)
	v_sub_nc_u32_e32 v15, v34, v15
	v_subrev_nc_u32_e32 v37, s40, v15
	v_cmp_le_u32_e32 vcc_lo, s40, v15
	s_delay_alu instid0(VALU_DEP_2) | instskip(NEXT) | instid1(VALU_DEP_1)
	v_dual_cndmask_b32 v15, v15, v37 :: v_dual_cndmask_b32 v2, v2, v16
	v_cmp_le_u32_e32 vcc_lo, s40, v15
	s_delay_alu instid0(VALU_DEP_2) | instskip(NEXT) | instid1(VALU_DEP_1)
	v_add_nc_u32_e32 v16, 1, v2
	v_dual_cndmask_b32 v15, v2, v16 :: v_dual_mov_b32 v16, v1
.LBB11_39:                              ;   in Loop: Header=BB11_3 Depth=1
	s_or_b32 exec_lo, exec_lo, s0
	s_delay_alu instid0(VALU_DEP_1) | instskip(NEXT) | instid1(VALU_DEP_2)
	v_mul_lo_u32 v2, v16, s40
	v_mul_lo_u32 v39, v15, s41
	v_mad_u64_u32 v[37:38], null, v15, s40, 0
	v_mul_lo_u32 v40, v15, s13
	s_mov_b32 s0, exec_lo
	s_delay_alu instid0(VALU_DEP_2) | instskip(SKIP_1) | instid1(VALU_DEP_4)
	v_add3_u32 v2, v38, v39, v2
	v_mul_lo_u32 v39, v16, s12
	v_sub_co_u32 v16, vcc_lo, v13, v37
	v_mad_u64_u32 v[37:38], null, v15, s12, 0
	s_delay_alu instid0(VALU_DEP_4) | instskip(NEXT) | instid1(VALU_DEP_3)
	v_sub_co_ci_u32_e32 v2, vcc_lo, v14, v2, vcc_lo
	v_add_co_u32 v41, vcc_lo, v3, v16
	s_delay_alu instid0(VALU_DEP_2) | instskip(NEXT) | instid1(VALU_DEP_2)
	v_add_co_ci_u32_e32 v2, vcc_lo, v4, v2, vcc_lo
	v_mul_lo_u32 v42, v41, s15
	v_mad_u64_u32 v[15:16], null, v41, s14, 0
	s_delay_alu instid0(VALU_DEP_3) | instskip(SKIP_1) | instid1(VALU_DEP_1)
	v_mul_lo_u32 v2, v2, s14
	v_add3_u32 v38, v38, v40, v39
	v_lshlrev_b64 v[37:38], 1, v[37:38]
	s_delay_alu instid0(VALU_DEP_3) | instskip(NEXT) | instid1(VALU_DEP_2)
	v_add3_u32 v16, v16, v42, v2
	v_add_co_u32 v2, vcc_lo, s36, v37
	s_delay_alu instid0(VALU_DEP_2) | instskip(NEXT) | instid1(VALU_DEP_4)
	v_lshlrev_b64 v[15:16], 1, v[15:16]
	v_add_co_ci_u32_e32 v37, vcc_lo, s37, v38, vcc_lo
	s_delay_alu instid0(VALU_DEP_2) | instskip(NEXT) | instid1(VALU_DEP_2)
	v_add_co_u32 v15, vcc_lo, v2, v15
	v_add_co_ci_u32_e32 v16, vcc_lo, v37, v16, vcc_lo
	v_or_b32_e32 v2, s63, v20
	global_load_u16 v37, v[15:16], off
                                        ; implicit-def: $vgpr15_vgpr16
	v_cmpx_ne_u64_e32 0, v[1:2]
	s_xor_b32 s1, exec_lo, s0
	s_cbranch_execz .LBB11_41
; %bb.40:                               ;   in Loop: Header=BB11_3 Depth=1
	s_ashr_i32 s64, s63, 31
	s_delay_alu instid0(SALU_CYCLE_1) | instskip(SKIP_2) | instid1(SALU_CYCLE_1)
	s_add_u32 s66, s62, s64
	s_mov_b32 s65, s64
	s_addc_u32 s67, s63, s64
	s_xor_b64 s[66:67], s[66:67], s[64:65]
	s_delay_alu instid0(SALU_CYCLE_1) | instskip(SKIP_3) | instid1(VALU_DEP_1)
	v_cvt_f32_u32_e32 v2, s66
	v_cvt_f32_u32_e32 v15, s67
	s_sub_u32 s0, 0, s66
	s_subb_u32 s65, 0, s67
	v_fmac_f32_e32 v2, 0x4f800000, v15
	s_delay_alu instid0(VALU_DEP_1) | instskip(SKIP_2) | instid1(VALU_DEP_1)
	v_rcp_f32_e32 v2, v2
	s_waitcnt_depctr 0xfff
	v_mul_f32_e32 v2, 0x5f7ffffc, v2
	v_mul_f32_e32 v15, 0x2f800000, v2
	s_delay_alu instid0(VALU_DEP_1) | instskip(NEXT) | instid1(VALU_DEP_1)
	v_trunc_f32_e32 v15, v15
	v_fmac_f32_e32 v2, 0xcf800000, v15
	v_cvt_u32_f32_e32 v15, v15
	s_delay_alu instid0(VALU_DEP_2) | instskip(NEXT) | instid1(VALU_DEP_2)
	v_cvt_u32_f32_e32 v2, v2
	v_mul_lo_u32 v16, s0, v15
	s_delay_alu instid0(VALU_DEP_2) | instskip(SKIP_1) | instid1(VALU_DEP_2)
	v_mul_hi_u32 v38, s0, v2
	v_mul_lo_u32 v39, s65, v2
	v_add_nc_u32_e32 v16, v38, v16
	v_mul_lo_u32 v38, s0, v2
	s_delay_alu instid0(VALU_DEP_2) | instskip(NEXT) | instid1(VALU_DEP_2)
	v_add_nc_u32_e32 v16, v16, v39
	v_mul_hi_u32 v39, v2, v38
	s_delay_alu instid0(VALU_DEP_2)
	v_mul_lo_u32 v40, v2, v16
	v_mul_hi_u32 v41, v2, v16
	v_mul_hi_u32 v42, v15, v38
	v_mul_lo_u32 v38, v15, v38
	v_mul_hi_u32 v43, v15, v16
	v_mul_lo_u32 v16, v15, v16
	v_add_co_u32 v39, vcc_lo, v39, v40
	v_add_co_ci_u32_e32 v40, vcc_lo, 0, v41, vcc_lo
	s_delay_alu instid0(VALU_DEP_2) | instskip(NEXT) | instid1(VALU_DEP_2)
	v_add_co_u32 v38, vcc_lo, v39, v38
	v_add_co_ci_u32_e32 v38, vcc_lo, v40, v42, vcc_lo
	v_add_co_ci_u32_e32 v39, vcc_lo, 0, v43, vcc_lo
	s_delay_alu instid0(VALU_DEP_2) | instskip(NEXT) | instid1(VALU_DEP_2)
	v_add_co_u32 v16, vcc_lo, v38, v16
	v_add_co_ci_u32_e32 v38, vcc_lo, 0, v39, vcc_lo
	s_delay_alu instid0(VALU_DEP_2) | instskip(NEXT) | instid1(VALU_DEP_2)
	v_add_co_u32 v2, vcc_lo, v2, v16
	v_add_co_ci_u32_e32 v15, vcc_lo, v15, v38, vcc_lo
	s_delay_alu instid0(VALU_DEP_2) | instskip(SKIP_1) | instid1(VALU_DEP_3)
	v_mul_hi_u32 v16, s0, v2
	v_mul_lo_u32 v39, s65, v2
	v_mul_lo_u32 v38, s0, v15
	s_delay_alu instid0(VALU_DEP_1) | instskip(SKIP_1) | instid1(VALU_DEP_2)
	v_add_nc_u32_e32 v16, v16, v38
	v_mul_lo_u32 v38, s0, v2
	v_add_nc_u32_e32 v16, v16, v39
	s_delay_alu instid0(VALU_DEP_2) | instskip(NEXT) | instid1(VALU_DEP_2)
	v_mul_hi_u32 v39, v2, v38
	v_mul_lo_u32 v40, v2, v16
	v_mul_hi_u32 v41, v2, v16
	v_mul_hi_u32 v42, v15, v38
	v_mul_lo_u32 v38, v15, v38
	v_mul_hi_u32 v43, v15, v16
	v_mul_lo_u32 v16, v15, v16
	v_add_co_u32 v39, vcc_lo, v39, v40
	v_add_co_ci_u32_e32 v40, vcc_lo, 0, v41, vcc_lo
	s_delay_alu instid0(VALU_DEP_2) | instskip(NEXT) | instid1(VALU_DEP_2)
	v_add_co_u32 v38, vcc_lo, v39, v38
	v_add_co_ci_u32_e32 v38, vcc_lo, v40, v42, vcc_lo
	v_add_co_ci_u32_e32 v39, vcc_lo, 0, v43, vcc_lo
	v_add_co_u32 v18, vcc_lo, v18, v17
	v_add_co_ci_u32_e32 v20, vcc_lo, v20, v17, vcc_lo
	s_delay_alu instid0(VALU_DEP_4) | instskip(NEXT) | instid1(VALU_DEP_4)
	v_add_co_u32 v16, vcc_lo, v38, v16
	v_add_co_ci_u32_e32 v38, vcc_lo, 0, v39, vcc_lo
	s_delay_alu instid0(VALU_DEP_4) | instskip(NEXT) | instid1(VALU_DEP_3)
	v_xor_b32_e32 v18, v18, v17
	v_add_co_u32 v2, vcc_lo, v2, v16
	s_delay_alu instid0(VALU_DEP_3) | instskip(SKIP_1) | instid1(VALU_DEP_3)
	v_add_co_ci_u32_e32 v42, vcc_lo, v15, v38, vcc_lo
	v_xor_b32_e32 v20, v20, v17
	v_mul_hi_u32 v43, v18, v2
	v_xor_b32_e32 v17, s64, v17
	s_delay_alu instid0(VALU_DEP_4) | instskip(NEXT) | instid1(VALU_DEP_4)
	v_mad_u64_u32 v[15:16], null, v18, v42, 0
	v_mad_u64_u32 v[38:39], null, v20, v2, 0
	;; [unrolled: 1-line block ×3, first 2 shown]
	s_delay_alu instid0(VALU_DEP_3) | instskip(NEXT) | instid1(VALU_DEP_4)
	v_add_co_u32 v2, vcc_lo, v43, v15
	v_add_co_ci_u32_e32 v15, vcc_lo, 0, v16, vcc_lo
	s_delay_alu instid0(VALU_DEP_2) | instskip(NEXT) | instid1(VALU_DEP_2)
	v_add_co_u32 v2, vcc_lo, v2, v38
	v_add_co_ci_u32_e32 v2, vcc_lo, v15, v39, vcc_lo
	v_add_co_ci_u32_e32 v15, vcc_lo, 0, v41, vcc_lo
	s_delay_alu instid0(VALU_DEP_2) | instskip(NEXT) | instid1(VALU_DEP_2)
	v_add_co_u32 v2, vcc_lo, v2, v40
	v_add_co_ci_u32_e32 v38, vcc_lo, 0, v15, vcc_lo
	s_delay_alu instid0(VALU_DEP_2) | instskip(SKIP_1) | instid1(VALU_DEP_3)
	v_mul_lo_u32 v39, s67, v2
	v_mad_u64_u32 v[15:16], null, s66, v2, 0
	v_mul_lo_u32 v40, s66, v38
	s_delay_alu instid0(VALU_DEP_2) | instskip(NEXT) | instid1(VALU_DEP_2)
	v_sub_co_u32 v15, vcc_lo, v18, v15
	v_add3_u32 v16, v16, v40, v39
	s_delay_alu instid0(VALU_DEP_1) | instskip(NEXT) | instid1(VALU_DEP_1)
	v_sub_nc_u32_e32 v39, v20, v16
	v_subrev_co_ci_u32_e64 v18, s0, s67, v39, vcc_lo
	v_add_co_u32 v39, s0, v2, 2
	s_delay_alu instid0(VALU_DEP_1) | instskip(SKIP_3) | instid1(VALU_DEP_3)
	v_add_co_ci_u32_e64 v40, s0, 0, v38, s0
	v_sub_co_u32 v41, s0, v15, s66
	v_sub_co_ci_u32_e32 v16, vcc_lo, v20, v16, vcc_lo
	v_subrev_co_ci_u32_e64 v18, s0, 0, v18, s0
	v_cmp_le_u32_e32 vcc_lo, s66, v41
	s_delay_alu instid0(VALU_DEP_3) | instskip(SKIP_1) | instid1(VALU_DEP_4)
	v_cmp_eq_u32_e64 s0, s67, v16
	v_cndmask_b32_e64 v20, 0, -1, vcc_lo
	v_cmp_le_u32_e32 vcc_lo, s67, v18
	v_cndmask_b32_e64 v41, 0, -1, vcc_lo
	v_cmp_le_u32_e32 vcc_lo, s66, v15
	;; [unrolled: 2-line block ×3, first 2 shown]
	v_cndmask_b32_e64 v42, 0, -1, vcc_lo
	v_cmp_eq_u32_e32 vcc_lo, s67, v18
	s_delay_alu instid0(VALU_DEP_2) | instskip(SKIP_3) | instid1(VALU_DEP_3)
	v_cndmask_b32_e64 v15, v42, v15, s0
	v_cndmask_b32_e32 v18, v41, v20, vcc_lo
	v_add_co_u32 v20, vcc_lo, v2, 1
	v_add_co_ci_u32_e32 v41, vcc_lo, 0, v38, vcc_lo
	v_cmp_ne_u32_e32 vcc_lo, 0, v18
	s_delay_alu instid0(VALU_DEP_2) | instskip(NEXT) | instid1(VALU_DEP_4)
	v_cndmask_b32_e32 v16, v41, v40, vcc_lo
	v_cndmask_b32_e32 v18, v20, v39, vcc_lo
	v_cmp_ne_u32_e32 vcc_lo, 0, v15
	s_delay_alu instid0(VALU_DEP_2) | instskip(NEXT) | instid1(VALU_DEP_4)
	v_cndmask_b32_e32 v2, v2, v18, vcc_lo
	v_cndmask_b32_e32 v15, v38, v16, vcc_lo
                                        ; implicit-def: $vgpr18
	s_delay_alu instid0(VALU_DEP_2) | instskip(NEXT) | instid1(VALU_DEP_2)
	v_xor_b32_e32 v2, v2, v17
	v_xor_b32_e32 v16, v15, v17
	s_delay_alu instid0(VALU_DEP_2) | instskip(NEXT) | instid1(VALU_DEP_2)
	v_sub_co_u32 v15, vcc_lo, v2, v17
	v_sub_co_ci_u32_e32 v16, vcc_lo, v16, v17, vcc_lo
.LBB11_41:                              ;   in Loop: Header=BB11_3 Depth=1
	s_or_saveexec_b32 s0, s1
	v_cvt_f32_u32_e32 v38, s62
	s_xor_b32 exec_lo, exec_lo, s0
	s_cbranch_execz .LBB11_43
; %bb.42:                               ;   in Loop: Header=BB11_3 Depth=1
	s_delay_alu instid0(VALU_DEP_1) | instskip(SKIP_3) | instid1(VALU_DEP_1)
	v_rcp_iflag_f32_e32 v2, v38
	s_sub_i32 s1, 0, s62
	s_waitcnt_depctr 0xfff
	v_mul_f32_e32 v2, 0x4f7ffffe, v2
	v_cvt_u32_f32_e32 v2, v2
	s_delay_alu instid0(VALU_DEP_1) | instskip(NEXT) | instid1(VALU_DEP_1)
	v_mul_lo_u32 v15, s1, v2
	v_mul_hi_u32 v15, v2, v15
	s_delay_alu instid0(VALU_DEP_1) | instskip(NEXT) | instid1(VALU_DEP_1)
	v_add_nc_u32_e32 v2, v2, v15
	v_mul_hi_u32 v2, v18, v2
	s_delay_alu instid0(VALU_DEP_1) | instskip(SKIP_1) | instid1(VALU_DEP_2)
	v_mul_lo_u32 v15, v2, s62
	v_add_nc_u32_e32 v16, 1, v2
	v_sub_nc_u32_e32 v15, v18, v15
	s_delay_alu instid0(VALU_DEP_1) | instskip(SKIP_1) | instid1(VALU_DEP_2)
	v_subrev_nc_u32_e32 v17, s62, v15
	v_cmp_le_u32_e32 vcc_lo, s62, v15
	v_dual_cndmask_b32 v15, v15, v17 :: v_dual_cndmask_b32 v2, v2, v16
	s_delay_alu instid0(VALU_DEP_1) | instskip(NEXT) | instid1(VALU_DEP_2)
	v_cmp_le_u32_e32 vcc_lo, s62, v15
	v_add_nc_u32_e32 v16, 1, v2
	s_delay_alu instid0(VALU_DEP_1)
	v_dual_cndmask_b32 v15, v2, v16 :: v_dual_mov_b32 v16, v1
.LBB11_43:                              ;   in Loop: Header=BB11_3 Depth=1
	s_or_b32 exec_lo, exec_lo, s0
	v_or_b32_e32 v2, s63, v23
                                        ; implicit-def: $vgpr17_vgpr18
	s_mov_b32 s0, exec_lo
	s_delay_alu instid0(VALU_DEP_1)
	v_cmpx_ne_u64_e32 0, v[1:2]
	s_xor_b32 s1, exec_lo, s0
	s_cbranch_execz .LBB11_45
; %bb.44:                               ;   in Loop: Header=BB11_3 Depth=1
	s_ashr_i32 s64, s63, 31
	s_delay_alu instid0(SALU_CYCLE_1) | instskip(SKIP_2) | instid1(SALU_CYCLE_1)
	s_add_u32 s66, s62, s64
	s_mov_b32 s65, s64
	s_addc_u32 s67, s63, s64
	s_xor_b64 s[66:67], s[66:67], s[64:65]
	s_delay_alu instid0(SALU_CYCLE_1) | instskip(SKIP_3) | instid1(VALU_DEP_1)
	v_cvt_f32_u32_e32 v2, s66
	v_cvt_f32_u32_e32 v17, s67
	s_sub_u32 s0, 0, s66
	s_subb_u32 s65, 0, s67
	v_fmac_f32_e32 v2, 0x4f800000, v17
	s_delay_alu instid0(VALU_DEP_1) | instskip(SKIP_2) | instid1(VALU_DEP_1)
	v_rcp_f32_e32 v2, v2
	s_waitcnt_depctr 0xfff
	v_mul_f32_e32 v2, 0x5f7ffffc, v2
	v_mul_f32_e32 v17, 0x2f800000, v2
	s_delay_alu instid0(VALU_DEP_1) | instskip(NEXT) | instid1(VALU_DEP_1)
	v_trunc_f32_e32 v17, v17
	v_fmac_f32_e32 v2, 0xcf800000, v17
	v_cvt_u32_f32_e32 v17, v17
	s_delay_alu instid0(VALU_DEP_2) | instskip(NEXT) | instid1(VALU_DEP_2)
	v_cvt_u32_f32_e32 v2, v2
	v_mul_lo_u32 v18, s0, v17
	s_delay_alu instid0(VALU_DEP_2) | instskip(SKIP_1) | instid1(VALU_DEP_2)
	v_mul_hi_u32 v20, s0, v2
	v_mul_lo_u32 v39, s65, v2
	v_add_nc_u32_e32 v18, v20, v18
	v_mul_lo_u32 v20, s0, v2
	s_delay_alu instid0(VALU_DEP_2) | instskip(NEXT) | instid1(VALU_DEP_2)
	v_add_nc_u32_e32 v18, v18, v39
	v_mul_hi_u32 v39, v2, v20
	s_delay_alu instid0(VALU_DEP_2)
	v_mul_lo_u32 v40, v2, v18
	v_mul_hi_u32 v41, v2, v18
	v_mul_hi_u32 v42, v17, v20
	v_mul_lo_u32 v20, v17, v20
	v_mul_hi_u32 v43, v17, v18
	v_mul_lo_u32 v18, v17, v18
	v_add_co_u32 v39, vcc_lo, v39, v40
	v_add_co_ci_u32_e32 v40, vcc_lo, 0, v41, vcc_lo
	s_delay_alu instid0(VALU_DEP_2) | instskip(NEXT) | instid1(VALU_DEP_2)
	v_add_co_u32 v20, vcc_lo, v39, v20
	v_add_co_ci_u32_e32 v20, vcc_lo, v40, v42, vcc_lo
	v_add_co_ci_u32_e32 v39, vcc_lo, 0, v43, vcc_lo
	s_delay_alu instid0(VALU_DEP_2) | instskip(NEXT) | instid1(VALU_DEP_2)
	v_add_co_u32 v18, vcc_lo, v20, v18
	v_add_co_ci_u32_e32 v20, vcc_lo, 0, v39, vcc_lo
	s_delay_alu instid0(VALU_DEP_2) | instskip(NEXT) | instid1(VALU_DEP_2)
	v_add_co_u32 v2, vcc_lo, v2, v18
	v_add_co_ci_u32_e32 v17, vcc_lo, v17, v20, vcc_lo
	s_delay_alu instid0(VALU_DEP_2) | instskip(SKIP_1) | instid1(VALU_DEP_3)
	v_mul_hi_u32 v18, s0, v2
	v_mul_lo_u32 v39, s65, v2
	v_mul_lo_u32 v20, s0, v17
	s_delay_alu instid0(VALU_DEP_1) | instskip(SKIP_1) | instid1(VALU_DEP_2)
	v_add_nc_u32_e32 v18, v18, v20
	v_mul_lo_u32 v20, s0, v2
	v_add_nc_u32_e32 v18, v18, v39
	s_delay_alu instid0(VALU_DEP_2) | instskip(NEXT) | instid1(VALU_DEP_2)
	v_mul_hi_u32 v39, v2, v20
	v_mul_lo_u32 v40, v2, v18
	v_mul_hi_u32 v41, v2, v18
	v_mul_hi_u32 v42, v17, v20
	v_mul_lo_u32 v20, v17, v20
	v_mul_hi_u32 v43, v17, v18
	v_mul_lo_u32 v18, v17, v18
	v_add_co_u32 v39, vcc_lo, v39, v40
	v_add_co_ci_u32_e32 v40, vcc_lo, 0, v41, vcc_lo
	s_delay_alu instid0(VALU_DEP_2) | instskip(NEXT) | instid1(VALU_DEP_2)
	v_add_co_u32 v20, vcc_lo, v39, v20
	v_add_co_ci_u32_e32 v20, vcc_lo, v40, v42, vcc_lo
	v_add_co_ci_u32_e32 v39, vcc_lo, 0, v43, vcc_lo
	v_add_co_u32 v21, vcc_lo, v21, v19
	v_add_co_ci_u32_e32 v23, vcc_lo, v23, v19, vcc_lo
	s_delay_alu instid0(VALU_DEP_4) | instskip(NEXT) | instid1(VALU_DEP_4)
	v_add_co_u32 v18, vcc_lo, v20, v18
	v_add_co_ci_u32_e32 v20, vcc_lo, 0, v39, vcc_lo
	s_delay_alu instid0(VALU_DEP_4) | instskip(NEXT) | instid1(VALU_DEP_3)
	v_xor_b32_e32 v41, v21, v19
	v_add_co_u32 v2, vcc_lo, v2, v18
	s_delay_alu instid0(VALU_DEP_3) | instskip(SKIP_1) | instid1(VALU_DEP_3)
	v_add_co_ci_u32_e32 v42, vcc_lo, v17, v20, vcc_lo
	v_xor_b32_e32 v23, v23, v19
	v_mul_hi_u32 v43, v41, v2
	v_xor_b32_e32 v19, s64, v19
	s_delay_alu instid0(VALU_DEP_4) | instskip(NEXT) | instid1(VALU_DEP_4)
	v_mad_u64_u32 v[17:18], null, v41, v42, 0
	v_mad_u64_u32 v[20:21], null, v23, v2, 0
	;; [unrolled: 1-line block ×3, first 2 shown]
	s_delay_alu instid0(VALU_DEP_3) | instskip(NEXT) | instid1(VALU_DEP_4)
	v_add_co_u32 v2, vcc_lo, v43, v17
	v_add_co_ci_u32_e32 v17, vcc_lo, 0, v18, vcc_lo
	s_delay_alu instid0(VALU_DEP_2) | instskip(NEXT) | instid1(VALU_DEP_2)
	v_add_co_u32 v2, vcc_lo, v2, v20
	v_add_co_ci_u32_e32 v2, vcc_lo, v17, v21, vcc_lo
	v_add_co_ci_u32_e32 v17, vcc_lo, 0, v40, vcc_lo
	s_delay_alu instid0(VALU_DEP_2) | instskip(NEXT) | instid1(VALU_DEP_2)
	v_add_co_u32 v2, vcc_lo, v2, v39
	v_add_co_ci_u32_e32 v20, vcc_lo, 0, v17, vcc_lo
	s_delay_alu instid0(VALU_DEP_2) | instskip(SKIP_1) | instid1(VALU_DEP_3)
	v_mul_lo_u32 v21, s67, v2
	v_mad_u64_u32 v[17:18], null, s66, v2, 0
	v_mul_lo_u32 v39, s66, v20
	s_delay_alu instid0(VALU_DEP_2) | instskip(NEXT) | instid1(VALU_DEP_2)
	v_sub_co_u32 v17, vcc_lo, v41, v17
	v_add3_u32 v18, v18, v39, v21
	s_delay_alu instid0(VALU_DEP_1) | instskip(NEXT) | instid1(VALU_DEP_1)
	v_sub_nc_u32_e32 v21, v23, v18
	v_subrev_co_ci_u32_e64 v21, s0, s67, v21, vcc_lo
	v_add_co_u32 v39, s0, v2, 2
	s_delay_alu instid0(VALU_DEP_1) | instskip(SKIP_3) | instid1(VALU_DEP_3)
	v_add_co_ci_u32_e64 v40, s0, 0, v20, s0
	v_sub_co_u32 v41, s0, v17, s66
	v_sub_co_ci_u32_e32 v18, vcc_lo, v23, v18, vcc_lo
	v_subrev_co_ci_u32_e64 v21, s0, 0, v21, s0
	v_cmp_le_u32_e32 vcc_lo, s66, v41
	s_delay_alu instid0(VALU_DEP_3) | instskip(SKIP_1) | instid1(VALU_DEP_4)
	v_cmp_eq_u32_e64 s0, s67, v18
	v_cndmask_b32_e64 v23, 0, -1, vcc_lo
	v_cmp_le_u32_e32 vcc_lo, s67, v21
	v_cndmask_b32_e64 v41, 0, -1, vcc_lo
	v_cmp_le_u32_e32 vcc_lo, s66, v17
	;; [unrolled: 2-line block ×3, first 2 shown]
	v_cndmask_b32_e64 v42, 0, -1, vcc_lo
	v_cmp_eq_u32_e32 vcc_lo, s67, v21
	s_delay_alu instid0(VALU_DEP_2) | instskip(SKIP_3) | instid1(VALU_DEP_3)
	v_cndmask_b32_e64 v17, v42, v17, s0
	v_cndmask_b32_e32 v21, v41, v23, vcc_lo
	v_add_co_u32 v23, vcc_lo, v2, 1
	v_add_co_ci_u32_e32 v41, vcc_lo, 0, v20, vcc_lo
	v_cmp_ne_u32_e32 vcc_lo, 0, v21
	s_delay_alu instid0(VALU_DEP_2) | instskip(SKIP_1) | instid1(VALU_DEP_2)
	v_dual_cndmask_b32 v18, v41, v40 :: v_dual_cndmask_b32 v21, v23, v39
	v_cmp_ne_u32_e32 vcc_lo, 0, v17
	v_dual_cndmask_b32 v17, v20, v18 :: v_dual_cndmask_b32 v2, v2, v21
                                        ; implicit-def: $vgpr21
	s_delay_alu instid0(VALU_DEP_1) | instskip(NEXT) | instid1(VALU_DEP_2)
	v_xor_b32_e32 v18, v17, v19
	v_xor_b32_e32 v2, v2, v19
	s_delay_alu instid0(VALU_DEP_1) | instskip(NEXT) | instid1(VALU_DEP_3)
	v_sub_co_u32 v17, vcc_lo, v2, v19
	v_sub_co_ci_u32_e32 v18, vcc_lo, v18, v19, vcc_lo
.LBB11_45:                              ;   in Loop: Header=BB11_3 Depth=1
	s_and_not1_saveexec_b32 s0, s1
	s_cbranch_execz .LBB11_47
; %bb.46:                               ;   in Loop: Header=BB11_3 Depth=1
	v_rcp_iflag_f32_e32 v2, v38
	s_sub_i32 s1, 0, s62
	s_waitcnt_depctr 0xfff
	v_mul_f32_e32 v2, 0x4f7ffffe, v2
	s_delay_alu instid0(VALU_DEP_1) | instskip(NEXT) | instid1(VALU_DEP_1)
	v_cvt_u32_f32_e32 v2, v2
	v_mul_lo_u32 v17, s1, v2
	s_delay_alu instid0(VALU_DEP_1) | instskip(NEXT) | instid1(VALU_DEP_1)
	v_mul_hi_u32 v17, v2, v17
	v_add_nc_u32_e32 v2, v2, v17
	s_delay_alu instid0(VALU_DEP_1) | instskip(NEXT) | instid1(VALU_DEP_1)
	v_mul_hi_u32 v2, v21, v2
	v_mul_lo_u32 v17, v2, s62
	v_add_nc_u32_e32 v18, 1, v2
	s_delay_alu instid0(VALU_DEP_2) | instskip(NEXT) | instid1(VALU_DEP_1)
	v_sub_nc_u32_e32 v17, v21, v17
	v_subrev_nc_u32_e32 v19, s62, v17
	v_cmp_le_u32_e32 vcc_lo, s62, v17
	s_delay_alu instid0(VALU_DEP_2) | instskip(NEXT) | instid1(VALU_DEP_1)
	v_dual_cndmask_b32 v17, v17, v19 :: v_dual_cndmask_b32 v2, v2, v18
	v_cmp_le_u32_e32 vcc_lo, s62, v17
	s_delay_alu instid0(VALU_DEP_2) | instskip(NEXT) | instid1(VALU_DEP_1)
	v_add_nc_u32_e32 v18, 1, v2
	v_dual_cndmask_b32 v17, v2, v18 :: v_dual_mov_b32 v18, v1
.LBB11_47:                              ;   in Loop: Header=BB11_3 Depth=1
	s_or_b32 exec_lo, exec_lo, s0
	v_or_b32_e32 v2, s63, v26
                                        ; implicit-def: $vgpr19_vgpr20
	s_mov_b32 s0, exec_lo
	s_delay_alu instid0(VALU_DEP_1)
	v_cmpx_ne_u64_e32 0, v[1:2]
	s_xor_b32 s1, exec_lo, s0
	s_cbranch_execz .LBB11_49
; %bb.48:                               ;   in Loop: Header=BB11_3 Depth=1
	s_ashr_i32 s64, s63, 31
	s_delay_alu instid0(SALU_CYCLE_1) | instskip(SKIP_2) | instid1(SALU_CYCLE_1)
	s_add_u32 s66, s62, s64
	s_mov_b32 s65, s64
	s_addc_u32 s67, s63, s64
	s_xor_b64 s[66:67], s[66:67], s[64:65]
	s_delay_alu instid0(SALU_CYCLE_1) | instskip(SKIP_3) | instid1(VALU_DEP_1)
	v_cvt_f32_u32_e32 v2, s66
	v_cvt_f32_u32_e32 v19, s67
	s_sub_u32 s0, 0, s66
	s_subb_u32 s65, 0, s67
	v_fmac_f32_e32 v2, 0x4f800000, v19
	s_delay_alu instid0(VALU_DEP_1) | instskip(SKIP_2) | instid1(VALU_DEP_1)
	v_rcp_f32_e32 v2, v2
	s_waitcnt_depctr 0xfff
	v_mul_f32_e32 v2, 0x5f7ffffc, v2
	v_mul_f32_e32 v19, 0x2f800000, v2
	s_delay_alu instid0(VALU_DEP_1) | instskip(NEXT) | instid1(VALU_DEP_1)
	v_trunc_f32_e32 v19, v19
	v_fmac_f32_e32 v2, 0xcf800000, v19
	v_cvt_u32_f32_e32 v19, v19
	s_delay_alu instid0(VALU_DEP_2) | instskip(NEXT) | instid1(VALU_DEP_2)
	v_cvt_u32_f32_e32 v2, v2
	v_mul_lo_u32 v20, s0, v19
	s_delay_alu instid0(VALU_DEP_2) | instskip(SKIP_1) | instid1(VALU_DEP_2)
	v_mul_hi_u32 v21, s0, v2
	v_mul_lo_u32 v23, s65, v2
	v_add_nc_u32_e32 v20, v21, v20
	v_mul_lo_u32 v21, s0, v2
	s_delay_alu instid0(VALU_DEP_2) | instskip(NEXT) | instid1(VALU_DEP_2)
	v_add_nc_u32_e32 v20, v20, v23
	v_mul_hi_u32 v23, v2, v21
	s_delay_alu instid0(VALU_DEP_2)
	v_mul_lo_u32 v39, v2, v20
	v_mul_hi_u32 v40, v2, v20
	v_mul_hi_u32 v41, v19, v21
	v_mul_lo_u32 v21, v19, v21
	v_mul_hi_u32 v42, v19, v20
	v_mul_lo_u32 v20, v19, v20
	v_add_co_u32 v23, vcc_lo, v23, v39
	v_add_co_ci_u32_e32 v39, vcc_lo, 0, v40, vcc_lo
	s_delay_alu instid0(VALU_DEP_2) | instskip(NEXT) | instid1(VALU_DEP_2)
	v_add_co_u32 v21, vcc_lo, v23, v21
	v_add_co_ci_u32_e32 v21, vcc_lo, v39, v41, vcc_lo
	v_add_co_ci_u32_e32 v23, vcc_lo, 0, v42, vcc_lo
	s_delay_alu instid0(VALU_DEP_2) | instskip(NEXT) | instid1(VALU_DEP_2)
	v_add_co_u32 v20, vcc_lo, v21, v20
	v_add_co_ci_u32_e32 v21, vcc_lo, 0, v23, vcc_lo
	s_delay_alu instid0(VALU_DEP_2) | instskip(NEXT) | instid1(VALU_DEP_2)
	v_add_co_u32 v2, vcc_lo, v2, v20
	v_add_co_ci_u32_e32 v19, vcc_lo, v19, v21, vcc_lo
	s_delay_alu instid0(VALU_DEP_2) | instskip(SKIP_1) | instid1(VALU_DEP_3)
	v_mul_hi_u32 v20, s0, v2
	v_mul_lo_u32 v23, s65, v2
	v_mul_lo_u32 v21, s0, v19
	s_delay_alu instid0(VALU_DEP_1) | instskip(SKIP_1) | instid1(VALU_DEP_2)
	v_add_nc_u32_e32 v20, v20, v21
	v_mul_lo_u32 v21, s0, v2
	v_add_nc_u32_e32 v20, v20, v23
	s_delay_alu instid0(VALU_DEP_2) | instskip(NEXT) | instid1(VALU_DEP_2)
	v_mul_hi_u32 v23, v2, v21
	v_mul_lo_u32 v39, v2, v20
	v_mul_hi_u32 v40, v2, v20
	v_mul_hi_u32 v41, v19, v21
	v_mul_lo_u32 v21, v19, v21
	v_mul_hi_u32 v42, v19, v20
	v_mul_lo_u32 v20, v19, v20
	v_add_co_u32 v23, vcc_lo, v23, v39
	v_add_co_ci_u32_e32 v39, vcc_lo, 0, v40, vcc_lo
	s_delay_alu instid0(VALU_DEP_2) | instskip(NEXT) | instid1(VALU_DEP_2)
	v_add_co_u32 v21, vcc_lo, v23, v21
	v_add_co_ci_u32_e32 v21, vcc_lo, v39, v41, vcc_lo
	v_add_co_ci_u32_e32 v23, vcc_lo, 0, v42, vcc_lo
	v_add_co_u32 v25, vcc_lo, v25, v22
	v_add_co_ci_u32_e32 v26, vcc_lo, v26, v22, vcc_lo
	s_delay_alu instid0(VALU_DEP_4) | instskip(NEXT) | instid1(VALU_DEP_4)
	v_add_co_u32 v20, vcc_lo, v21, v20
	v_add_co_ci_u32_e32 v21, vcc_lo, 0, v23, vcc_lo
	s_delay_alu instid0(VALU_DEP_4) | instskip(NEXT) | instid1(VALU_DEP_3)
	v_xor_b32_e32 v23, v25, v22
	v_add_co_u32 v2, vcc_lo, v2, v20
	s_delay_alu instid0(VALU_DEP_3) | instskip(SKIP_1) | instid1(VALU_DEP_3)
	v_add_co_ci_u32_e32 v21, vcc_lo, v19, v21, vcc_lo
	v_xor_b32_e32 v41, v26, v22
	v_mul_hi_u32 v42, v23, v2
	v_xor_b32_e32 v22, s64, v22
	s_delay_alu instid0(VALU_DEP_4) | instskip(NEXT) | instid1(VALU_DEP_4)
	v_mad_u64_u32 v[19:20], null, v23, v21, 0
	v_mad_u64_u32 v[25:26], null, v41, v2, 0
	v_mad_u64_u32 v[39:40], null, v41, v21, 0
	s_delay_alu instid0(VALU_DEP_3) | instskip(NEXT) | instid1(VALU_DEP_4)
	v_add_co_u32 v2, vcc_lo, v42, v19
	v_add_co_ci_u32_e32 v19, vcc_lo, 0, v20, vcc_lo
	s_delay_alu instid0(VALU_DEP_2) | instskip(NEXT) | instid1(VALU_DEP_2)
	v_add_co_u32 v2, vcc_lo, v2, v25
	v_add_co_ci_u32_e32 v2, vcc_lo, v19, v26, vcc_lo
	v_add_co_ci_u32_e32 v19, vcc_lo, 0, v40, vcc_lo
	s_delay_alu instid0(VALU_DEP_2) | instskip(NEXT) | instid1(VALU_DEP_2)
	v_add_co_u32 v2, vcc_lo, v2, v39
	v_add_co_ci_u32_e32 v21, vcc_lo, 0, v19, vcc_lo
	s_delay_alu instid0(VALU_DEP_2) | instskip(SKIP_1) | instid1(VALU_DEP_3)
	v_mul_lo_u32 v25, s67, v2
	v_mad_u64_u32 v[19:20], null, s66, v2, 0
	v_mul_lo_u32 v26, s66, v21
	s_delay_alu instid0(VALU_DEP_2) | instskip(NEXT) | instid1(VALU_DEP_2)
	v_sub_co_u32 v19, vcc_lo, v23, v19
	v_add3_u32 v20, v20, v26, v25
	s_delay_alu instid0(VALU_DEP_1) | instskip(NEXT) | instid1(VALU_DEP_1)
	v_sub_nc_u32_e32 v25, v41, v20
	v_subrev_co_ci_u32_e64 v23, s0, s67, v25, vcc_lo
	v_add_co_u32 v25, s0, v2, 2
	s_delay_alu instid0(VALU_DEP_1) | instskip(SKIP_3) | instid1(VALU_DEP_3)
	v_add_co_ci_u32_e64 v26, s0, 0, v21, s0
	v_sub_co_u32 v39, s0, v19, s66
	v_sub_co_ci_u32_e32 v20, vcc_lo, v41, v20, vcc_lo
	v_subrev_co_ci_u32_e64 v23, s0, 0, v23, s0
	v_cmp_le_u32_e32 vcc_lo, s66, v39
	s_delay_alu instid0(VALU_DEP_3) | instskip(SKIP_1) | instid1(VALU_DEP_4)
	v_cmp_eq_u32_e64 s0, s67, v20
	v_cndmask_b32_e64 v39, 0, -1, vcc_lo
	v_cmp_le_u32_e32 vcc_lo, s67, v23
	v_cndmask_b32_e64 v40, 0, -1, vcc_lo
	v_cmp_le_u32_e32 vcc_lo, s66, v19
	;; [unrolled: 2-line block ×3, first 2 shown]
	v_cndmask_b32_e64 v41, 0, -1, vcc_lo
	v_cmp_eq_u32_e32 vcc_lo, s67, v23
	s_delay_alu instid0(VALU_DEP_2) | instskip(SKIP_3) | instid1(VALU_DEP_3)
	v_cndmask_b32_e64 v19, v41, v19, s0
	v_cndmask_b32_e32 v23, v40, v39, vcc_lo
	v_add_co_u32 v39, vcc_lo, v2, 1
	v_add_co_ci_u32_e32 v40, vcc_lo, 0, v21, vcc_lo
	v_cmp_ne_u32_e32 vcc_lo, 0, v23
	s_delay_alu instid0(VALU_DEP_2) | instskip(SKIP_1) | instid1(VALU_DEP_2)
	v_dual_cndmask_b32 v20, v40, v26 :: v_dual_cndmask_b32 v23, v39, v25
	v_cmp_ne_u32_e32 vcc_lo, 0, v19
                                        ; implicit-def: $vgpr25
	v_dual_cndmask_b32 v19, v21, v20 :: v_dual_cndmask_b32 v2, v2, v23
	s_delay_alu instid0(VALU_DEP_1) | instskip(NEXT) | instid1(VALU_DEP_2)
	v_xor_b32_e32 v20, v19, v22
	v_xor_b32_e32 v2, v2, v22
	s_delay_alu instid0(VALU_DEP_1) | instskip(NEXT) | instid1(VALU_DEP_3)
	v_sub_co_u32 v19, vcc_lo, v2, v22
	v_sub_co_ci_u32_e32 v20, vcc_lo, v20, v22, vcc_lo
.LBB11_49:                              ;   in Loop: Header=BB11_3 Depth=1
	s_and_not1_saveexec_b32 s0, s1
	s_cbranch_execz .LBB11_51
; %bb.50:                               ;   in Loop: Header=BB11_3 Depth=1
	v_rcp_iflag_f32_e32 v2, v38
	s_sub_i32 s1, 0, s62
	s_waitcnt_depctr 0xfff
	v_mul_f32_e32 v2, 0x4f7ffffe, v2
	s_delay_alu instid0(VALU_DEP_1) | instskip(NEXT) | instid1(VALU_DEP_1)
	v_cvt_u32_f32_e32 v2, v2
	v_mul_lo_u32 v19, s1, v2
	s_delay_alu instid0(VALU_DEP_1) | instskip(NEXT) | instid1(VALU_DEP_1)
	v_mul_hi_u32 v19, v2, v19
	v_add_nc_u32_e32 v2, v2, v19
	s_delay_alu instid0(VALU_DEP_1) | instskip(NEXT) | instid1(VALU_DEP_1)
	v_mul_hi_u32 v2, v25, v2
	v_mul_lo_u32 v19, v2, s62
	v_add_nc_u32_e32 v20, 1, v2
	s_delay_alu instid0(VALU_DEP_2) | instskip(NEXT) | instid1(VALU_DEP_1)
	v_sub_nc_u32_e32 v19, v25, v19
	v_subrev_nc_u32_e32 v21, s62, v19
	v_cmp_le_u32_e32 vcc_lo, s62, v19
	s_delay_alu instid0(VALU_DEP_2) | instskip(NEXT) | instid1(VALU_DEP_1)
	v_dual_cndmask_b32 v19, v19, v21 :: v_dual_cndmask_b32 v2, v2, v20
	v_cmp_le_u32_e32 vcc_lo, s62, v19
	s_delay_alu instid0(VALU_DEP_2) | instskip(NEXT) | instid1(VALU_DEP_1)
	v_add_nc_u32_e32 v20, 1, v2
	v_dual_cndmask_b32 v19, v2, v20 :: v_dual_mov_b32 v20, v1
.LBB11_51:                              ;   in Loop: Header=BB11_3 Depth=1
	s_or_b32 exec_lo, exec_lo, s0
	v_or_b32_e32 v2, s63, v35
                                        ; implicit-def: $vgpr21_vgpr22
	s_mov_b32 s0, exec_lo
	s_delay_alu instid0(VALU_DEP_1)
	v_cmpx_ne_u64_e32 0, v[1:2]
	s_xor_b32 s1, exec_lo, s0
	s_cbranch_execz .LBB11_53
; %bb.52:                               ;   in Loop: Header=BB11_3 Depth=1
	s_ashr_i32 s64, s63, 31
	s_delay_alu instid0(SALU_CYCLE_1) | instskip(SKIP_2) | instid1(SALU_CYCLE_1)
	s_add_u32 s66, s62, s64
	s_mov_b32 s65, s64
	s_addc_u32 s67, s63, s64
	s_xor_b64 s[66:67], s[66:67], s[64:65]
	s_delay_alu instid0(SALU_CYCLE_1) | instskip(SKIP_3) | instid1(VALU_DEP_1)
	v_cvt_f32_u32_e32 v2, s66
	v_cvt_f32_u32_e32 v21, s67
	s_sub_u32 s0, 0, s66
	s_subb_u32 s65, 0, s67
	v_fmac_f32_e32 v2, 0x4f800000, v21
	s_delay_alu instid0(VALU_DEP_1) | instskip(SKIP_2) | instid1(VALU_DEP_1)
	v_rcp_f32_e32 v2, v2
	s_waitcnt_depctr 0xfff
	v_mul_f32_e32 v2, 0x5f7ffffc, v2
	v_mul_f32_e32 v21, 0x2f800000, v2
	s_delay_alu instid0(VALU_DEP_1) | instskip(NEXT) | instid1(VALU_DEP_1)
	v_trunc_f32_e32 v21, v21
	v_fmac_f32_e32 v2, 0xcf800000, v21
	v_cvt_u32_f32_e32 v21, v21
	s_delay_alu instid0(VALU_DEP_2) | instskip(NEXT) | instid1(VALU_DEP_2)
	v_cvt_u32_f32_e32 v2, v2
	v_mul_lo_u32 v22, s0, v21
	s_delay_alu instid0(VALU_DEP_2) | instskip(SKIP_1) | instid1(VALU_DEP_2)
	v_mul_hi_u32 v23, s0, v2
	v_mul_lo_u32 v25, s65, v2
	v_add_nc_u32_e32 v22, v23, v22
	v_mul_lo_u32 v23, s0, v2
	s_delay_alu instid0(VALU_DEP_2) | instskip(NEXT) | instid1(VALU_DEP_2)
	v_add_nc_u32_e32 v22, v22, v25
	v_mul_hi_u32 v25, v2, v23
	s_delay_alu instid0(VALU_DEP_2)
	v_mul_lo_u32 v26, v2, v22
	v_mul_hi_u32 v38, v2, v22
	v_mul_hi_u32 v39, v21, v23
	v_mul_lo_u32 v23, v21, v23
	v_mul_hi_u32 v40, v21, v22
	v_mul_lo_u32 v22, v21, v22
	v_add_co_u32 v25, vcc_lo, v25, v26
	v_add_co_ci_u32_e32 v26, vcc_lo, 0, v38, vcc_lo
	s_delay_alu instid0(VALU_DEP_2) | instskip(NEXT) | instid1(VALU_DEP_2)
	v_add_co_u32 v23, vcc_lo, v25, v23
	v_add_co_ci_u32_e32 v23, vcc_lo, v26, v39, vcc_lo
	v_add_co_ci_u32_e32 v25, vcc_lo, 0, v40, vcc_lo
	s_delay_alu instid0(VALU_DEP_2) | instskip(NEXT) | instid1(VALU_DEP_2)
	v_add_co_u32 v22, vcc_lo, v23, v22
	v_add_co_ci_u32_e32 v23, vcc_lo, 0, v25, vcc_lo
	s_delay_alu instid0(VALU_DEP_2) | instskip(NEXT) | instid1(VALU_DEP_2)
	v_add_co_u32 v2, vcc_lo, v2, v22
	v_add_co_ci_u32_e32 v21, vcc_lo, v21, v23, vcc_lo
	s_delay_alu instid0(VALU_DEP_2) | instskip(SKIP_1) | instid1(VALU_DEP_3)
	v_mul_hi_u32 v22, s0, v2
	v_mul_lo_u32 v25, s65, v2
	v_mul_lo_u32 v23, s0, v21
	s_delay_alu instid0(VALU_DEP_1) | instskip(SKIP_1) | instid1(VALU_DEP_2)
	v_add_nc_u32_e32 v22, v22, v23
	v_mul_lo_u32 v23, s0, v2
	v_add_nc_u32_e32 v22, v22, v25
	s_delay_alu instid0(VALU_DEP_2) | instskip(NEXT) | instid1(VALU_DEP_2)
	v_mul_hi_u32 v25, v2, v23
	v_mul_lo_u32 v26, v2, v22
	v_mul_hi_u32 v38, v2, v22
	v_mul_hi_u32 v39, v21, v23
	v_mul_lo_u32 v23, v21, v23
	v_mul_hi_u32 v40, v21, v22
	v_mul_lo_u32 v22, v21, v22
	v_add_co_u32 v25, vcc_lo, v25, v26
	v_add_co_ci_u32_e32 v26, vcc_lo, 0, v38, vcc_lo
	s_delay_alu instid0(VALU_DEP_2) | instskip(NEXT) | instid1(VALU_DEP_2)
	v_add_co_u32 v23, vcc_lo, v25, v23
	v_add_co_ci_u32_e32 v23, vcc_lo, v26, v39, vcc_lo
	v_add_co_ci_u32_e32 v25, vcc_lo, 0, v40, vcc_lo
	v_add_co_u32 v26, vcc_lo, v34, v24
	v_add_co_ci_u32_e32 v34, vcc_lo, v35, v24, vcc_lo
	s_delay_alu instid0(VALU_DEP_4) | instskip(NEXT) | instid1(VALU_DEP_4)
	v_add_co_u32 v22, vcc_lo, v23, v22
	v_add_co_ci_u32_e32 v23, vcc_lo, 0, v25, vcc_lo
	s_delay_alu instid0(VALU_DEP_4) | instskip(NEXT) | instid1(VALU_DEP_3)
	v_xor_b32_e32 v38, v26, v24
	v_add_co_u32 v2, vcc_lo, v2, v22
	s_delay_alu instid0(VALU_DEP_3) | instskip(SKIP_1) | instid1(VALU_DEP_3)
	v_add_co_ci_u32_e32 v23, vcc_lo, v21, v23, vcc_lo
	v_xor_b32_e32 v39, v34, v24
	v_mul_hi_u32 v40, v38, v2
	v_xor_b32_e32 v24, s64, v24
	s_delay_alu instid0(VALU_DEP_4) | instskip(NEXT) | instid1(VALU_DEP_4)
	v_mad_u64_u32 v[21:22], null, v38, v23, 0
	v_mad_u64_u32 v[25:26], null, v39, v2, 0
	;; [unrolled: 1-line block ×3, first 2 shown]
	s_delay_alu instid0(VALU_DEP_3) | instskip(NEXT) | instid1(VALU_DEP_4)
	v_add_co_u32 v2, vcc_lo, v40, v21
	v_add_co_ci_u32_e32 v21, vcc_lo, 0, v22, vcc_lo
	s_delay_alu instid0(VALU_DEP_2) | instskip(NEXT) | instid1(VALU_DEP_2)
	v_add_co_u32 v2, vcc_lo, v2, v25
	v_add_co_ci_u32_e32 v2, vcc_lo, v21, v26, vcc_lo
	v_add_co_ci_u32_e32 v21, vcc_lo, 0, v35, vcc_lo
	s_delay_alu instid0(VALU_DEP_2) | instskip(NEXT) | instid1(VALU_DEP_2)
	v_add_co_u32 v2, vcc_lo, v2, v34
	v_add_co_ci_u32_e32 v23, vcc_lo, 0, v21, vcc_lo
	s_delay_alu instid0(VALU_DEP_2) | instskip(SKIP_1) | instid1(VALU_DEP_3)
	v_mul_lo_u32 v25, s67, v2
	v_mad_u64_u32 v[21:22], null, s66, v2, 0
	v_mul_lo_u32 v26, s66, v23
	s_delay_alu instid0(VALU_DEP_2) | instskip(NEXT) | instid1(VALU_DEP_2)
	v_sub_co_u32 v21, vcc_lo, v38, v21
	v_add3_u32 v22, v22, v26, v25
	s_delay_alu instid0(VALU_DEP_1) | instskip(NEXT) | instid1(VALU_DEP_1)
	v_sub_nc_u32_e32 v25, v39, v22
	v_subrev_co_ci_u32_e64 v25, s0, s67, v25, vcc_lo
	v_add_co_u32 v26, s0, v2, 2
	s_delay_alu instid0(VALU_DEP_1) | instskip(SKIP_3) | instid1(VALU_DEP_3)
	v_add_co_ci_u32_e64 v34, s0, 0, v23, s0
	v_sub_co_u32 v35, s0, v21, s66
	v_sub_co_ci_u32_e32 v22, vcc_lo, v39, v22, vcc_lo
	v_subrev_co_ci_u32_e64 v25, s0, 0, v25, s0
	v_cmp_le_u32_e32 vcc_lo, s66, v35
	s_delay_alu instid0(VALU_DEP_3) | instskip(SKIP_1) | instid1(VALU_DEP_4)
	v_cmp_eq_u32_e64 s0, s67, v22
	v_cndmask_b32_e64 v35, 0, -1, vcc_lo
	v_cmp_le_u32_e32 vcc_lo, s67, v25
	v_cndmask_b32_e64 v38, 0, -1, vcc_lo
	v_cmp_le_u32_e32 vcc_lo, s66, v21
	;; [unrolled: 2-line block ×3, first 2 shown]
	v_cndmask_b32_e64 v39, 0, -1, vcc_lo
	v_cmp_eq_u32_e32 vcc_lo, s67, v25
	s_delay_alu instid0(VALU_DEP_2) | instskip(SKIP_3) | instid1(VALU_DEP_3)
	v_cndmask_b32_e64 v21, v39, v21, s0
	v_cndmask_b32_e32 v25, v38, v35, vcc_lo
	v_add_co_u32 v35, vcc_lo, v2, 1
	v_add_co_ci_u32_e32 v38, vcc_lo, 0, v23, vcc_lo
	v_cmp_ne_u32_e32 vcc_lo, 0, v25
	s_delay_alu instid0(VALU_DEP_3) | instskip(NEXT) | instid1(VALU_DEP_3)
	v_cndmask_b32_e32 v25, v35, v26, vcc_lo
	v_cndmask_b32_e32 v22, v38, v34, vcc_lo
	v_cmp_ne_u32_e32 vcc_lo, 0, v21
                                        ; implicit-def: $vgpr38
                                        ; implicit-def: $vgpr34
	s_delay_alu instid0(VALU_DEP_2) | instskip(NEXT) | instid1(VALU_DEP_1)
	v_dual_cndmask_b32 v21, v23, v22 :: v_dual_cndmask_b32 v2, v2, v25
	v_xor_b32_e32 v22, v21, v24
	s_delay_alu instid0(VALU_DEP_2) | instskip(NEXT) | instid1(VALU_DEP_1)
	v_xor_b32_e32 v2, v2, v24
	v_sub_co_u32 v21, vcc_lo, v2, v24
	s_delay_alu instid0(VALU_DEP_3)
	v_sub_co_ci_u32_e32 v22, vcc_lo, v22, v24, vcc_lo
.LBB11_53:                              ;   in Loop: Header=BB11_3 Depth=1
	s_and_not1_saveexec_b32 s0, s1
	s_cbranch_execz .LBB11_55
; %bb.54:                               ;   in Loop: Header=BB11_3 Depth=1
	v_rcp_iflag_f32_e32 v2, v38
	s_sub_i32 s1, 0, s62
	s_waitcnt_depctr 0xfff
	v_mul_f32_e32 v2, 0x4f7ffffe, v2
	s_delay_alu instid0(VALU_DEP_1) | instskip(NEXT) | instid1(VALU_DEP_1)
	v_cvt_u32_f32_e32 v2, v2
	v_mul_lo_u32 v21, s1, v2
	s_delay_alu instid0(VALU_DEP_1) | instskip(NEXT) | instid1(VALU_DEP_1)
	v_mul_hi_u32 v21, v2, v21
	v_add_nc_u32_e32 v2, v2, v21
	s_delay_alu instid0(VALU_DEP_1) | instskip(NEXT) | instid1(VALU_DEP_1)
	v_mul_hi_u32 v2, v34, v2
	v_mul_lo_u32 v21, v2, s62
	v_add_nc_u32_e32 v22, 1, v2
	s_delay_alu instid0(VALU_DEP_2) | instskip(NEXT) | instid1(VALU_DEP_1)
	v_sub_nc_u32_e32 v21, v34, v21
	v_subrev_nc_u32_e32 v23, s62, v21
	v_cmp_le_u32_e32 vcc_lo, s62, v21
	s_delay_alu instid0(VALU_DEP_2) | instskip(NEXT) | instid1(VALU_DEP_1)
	v_dual_cndmask_b32 v21, v21, v23 :: v_dual_cndmask_b32 v2, v2, v22
	v_cmp_le_u32_e32 vcc_lo, s62, v21
	s_delay_alu instid0(VALU_DEP_2) | instskip(NEXT) | instid1(VALU_DEP_1)
	v_add_nc_u32_e32 v22, 1, v2
	v_dual_cndmask_b32 v21, v2, v22 :: v_dual_mov_b32 v22, v1
.LBB11_55:                              ;   in Loop: Header=BB11_3 Depth=1
	s_or_b32 exec_lo, exec_lo, s0
	v_or_b32_e32 v2, s51, v4
                                        ; implicit-def: $vgpr23_vgpr24
	s_mov_b32 s0, exec_lo
	s_delay_alu instid0(VALU_DEP_1)
	v_cmpx_ne_u64_e32 0, v[1:2]
	s_xor_b32 s1, exec_lo, s0
	s_cbranch_execz .LBB11_57
; %bb.56:                               ;   in Loop: Header=BB11_3 Depth=1
	s_ashr_i32 s64, s51, 31
	s_delay_alu instid0(SALU_CYCLE_1) | instskip(SKIP_2) | instid1(SALU_CYCLE_1)
	s_add_u32 s66, s50, s64
	s_mov_b32 s65, s64
	s_addc_u32 s67, s51, s64
	s_xor_b64 s[66:67], s[66:67], s[64:65]
	s_delay_alu instid0(SALU_CYCLE_1) | instskip(SKIP_3) | instid1(VALU_DEP_1)
	v_cvt_f32_u32_e32 v2, s66
	v_cvt_f32_u32_e32 v23, s67
	s_sub_u32 s0, 0, s66
	s_subb_u32 s65, 0, s67
	v_fmac_f32_e32 v2, 0x4f800000, v23
	s_delay_alu instid0(VALU_DEP_1) | instskip(SKIP_2) | instid1(VALU_DEP_1)
	v_rcp_f32_e32 v2, v2
	s_waitcnt_depctr 0xfff
	v_mul_f32_e32 v2, 0x5f7ffffc, v2
	v_mul_f32_e32 v23, 0x2f800000, v2
	s_delay_alu instid0(VALU_DEP_1) | instskip(NEXT) | instid1(VALU_DEP_1)
	v_trunc_f32_e32 v23, v23
	v_fmac_f32_e32 v2, 0xcf800000, v23
	v_cvt_u32_f32_e32 v23, v23
	s_delay_alu instid0(VALU_DEP_2) | instskip(NEXT) | instid1(VALU_DEP_2)
	v_cvt_u32_f32_e32 v2, v2
	v_mul_lo_u32 v24, s0, v23
	s_delay_alu instid0(VALU_DEP_2) | instskip(SKIP_1) | instid1(VALU_DEP_2)
	v_mul_hi_u32 v25, s0, v2
	v_mul_lo_u32 v26, s65, v2
	v_add_nc_u32_e32 v24, v25, v24
	v_mul_lo_u32 v25, s0, v2
	s_delay_alu instid0(VALU_DEP_2) | instskip(NEXT) | instid1(VALU_DEP_2)
	v_add_nc_u32_e32 v24, v24, v26
	v_mul_hi_u32 v26, v2, v25
	s_delay_alu instid0(VALU_DEP_2)
	v_mul_lo_u32 v34, v2, v24
	v_mul_hi_u32 v35, v2, v24
	v_mul_hi_u32 v38, v23, v25
	v_mul_lo_u32 v25, v23, v25
	v_mul_hi_u32 v39, v23, v24
	v_mul_lo_u32 v24, v23, v24
	v_add_co_u32 v26, vcc_lo, v26, v34
	v_add_co_ci_u32_e32 v34, vcc_lo, 0, v35, vcc_lo
	s_delay_alu instid0(VALU_DEP_2) | instskip(NEXT) | instid1(VALU_DEP_2)
	v_add_co_u32 v25, vcc_lo, v26, v25
	v_add_co_ci_u32_e32 v25, vcc_lo, v34, v38, vcc_lo
	v_add_co_ci_u32_e32 v26, vcc_lo, 0, v39, vcc_lo
	s_delay_alu instid0(VALU_DEP_2) | instskip(NEXT) | instid1(VALU_DEP_2)
	v_add_co_u32 v24, vcc_lo, v25, v24
	v_add_co_ci_u32_e32 v25, vcc_lo, 0, v26, vcc_lo
	s_delay_alu instid0(VALU_DEP_2) | instskip(NEXT) | instid1(VALU_DEP_2)
	v_add_co_u32 v2, vcc_lo, v2, v24
	v_add_co_ci_u32_e32 v23, vcc_lo, v23, v25, vcc_lo
	s_delay_alu instid0(VALU_DEP_2) | instskip(SKIP_1) | instid1(VALU_DEP_3)
	v_mul_hi_u32 v24, s0, v2
	v_mul_lo_u32 v26, s65, v2
	v_mul_lo_u32 v25, s0, v23
	s_delay_alu instid0(VALU_DEP_1) | instskip(SKIP_1) | instid1(VALU_DEP_2)
	v_add_nc_u32_e32 v24, v24, v25
	v_mul_lo_u32 v25, s0, v2
	v_add_nc_u32_e32 v24, v24, v26
	s_delay_alu instid0(VALU_DEP_2) | instskip(NEXT) | instid1(VALU_DEP_2)
	v_mul_hi_u32 v26, v2, v25
	v_mul_lo_u32 v34, v2, v24
	v_mul_hi_u32 v35, v2, v24
	v_mul_hi_u32 v38, v23, v25
	v_mul_lo_u32 v25, v23, v25
	v_mul_hi_u32 v39, v23, v24
	v_mul_lo_u32 v24, v23, v24
	v_add_co_u32 v26, vcc_lo, v26, v34
	v_add_co_ci_u32_e32 v34, vcc_lo, 0, v35, vcc_lo
	s_delay_alu instid0(VALU_DEP_2) | instskip(NEXT) | instid1(VALU_DEP_2)
	v_add_co_u32 v25, vcc_lo, v26, v25
	v_add_co_ci_u32_e32 v25, vcc_lo, v34, v38, vcc_lo
	v_add_co_ci_u32_e32 v26, vcc_lo, 0, v39, vcc_lo
	v_add_co_u32 v34, vcc_lo, v3, v27
	v_add_co_ci_u32_e32 v35, vcc_lo, v4, v27, vcc_lo
	s_delay_alu instid0(VALU_DEP_4) | instskip(NEXT) | instid1(VALU_DEP_4)
	v_add_co_u32 v24, vcc_lo, v25, v24
	v_add_co_ci_u32_e32 v25, vcc_lo, 0, v26, vcc_lo
	s_delay_alu instid0(VALU_DEP_4) | instskip(NEXT) | instid1(VALU_DEP_3)
	v_xor_b32_e32 v38, v34, v27
	v_add_co_u32 v2, vcc_lo, v2, v24
	s_delay_alu instid0(VALU_DEP_3) | instskip(SKIP_1) | instid1(VALU_DEP_3)
	v_add_co_ci_u32_e32 v39, vcc_lo, v23, v25, vcc_lo
	v_xor_b32_e32 v40, v35, v27
	v_mul_hi_u32 v41, v38, v2
	s_delay_alu instid0(VALU_DEP_3) | instskip(NEXT) | instid1(VALU_DEP_3)
	v_mad_u64_u32 v[23:24], null, v38, v39, 0
	v_mad_u64_u32 v[25:26], null, v40, v2, 0
	v_mad_u64_u32 v[34:35], null, v40, v39, 0
	s_delay_alu instid0(VALU_DEP_3) | instskip(NEXT) | instid1(VALU_DEP_4)
	v_add_co_u32 v2, vcc_lo, v41, v23
	v_add_co_ci_u32_e32 v23, vcc_lo, 0, v24, vcc_lo
	s_delay_alu instid0(VALU_DEP_2) | instskip(NEXT) | instid1(VALU_DEP_2)
	v_add_co_u32 v2, vcc_lo, v2, v25
	v_add_co_ci_u32_e32 v2, vcc_lo, v23, v26, vcc_lo
	v_add_co_ci_u32_e32 v23, vcc_lo, 0, v35, vcc_lo
	s_delay_alu instid0(VALU_DEP_2) | instskip(NEXT) | instid1(VALU_DEP_2)
	v_add_co_u32 v2, vcc_lo, v2, v34
	v_add_co_ci_u32_e32 v25, vcc_lo, 0, v23, vcc_lo
	s_delay_alu instid0(VALU_DEP_2) | instskip(SKIP_1) | instid1(VALU_DEP_3)
	v_mul_lo_u32 v26, s67, v2
	v_mad_u64_u32 v[23:24], null, s66, v2, 0
	v_mul_lo_u32 v34, s66, v25
	s_delay_alu instid0(VALU_DEP_2) | instskip(NEXT) | instid1(VALU_DEP_2)
	v_sub_co_u32 v23, vcc_lo, v38, v23
	v_add3_u32 v24, v24, v34, v26
	s_delay_alu instid0(VALU_DEP_1) | instskip(NEXT) | instid1(VALU_DEP_1)
	v_sub_nc_u32_e32 v26, v40, v24
	v_subrev_co_ci_u32_e64 v26, s0, s67, v26, vcc_lo
	v_add_co_u32 v34, s0, v2, 2
	s_delay_alu instid0(VALU_DEP_1) | instskip(SKIP_3) | instid1(VALU_DEP_3)
	v_add_co_ci_u32_e64 v35, s0, 0, v25, s0
	v_sub_co_u32 v38, s0, v23, s66
	v_sub_co_ci_u32_e32 v24, vcc_lo, v40, v24, vcc_lo
	v_subrev_co_ci_u32_e64 v26, s0, 0, v26, s0
	v_cmp_le_u32_e32 vcc_lo, s66, v38
	s_delay_alu instid0(VALU_DEP_3) | instskip(SKIP_1) | instid1(VALU_DEP_4)
	v_cmp_eq_u32_e64 s0, s67, v24
	v_cndmask_b32_e64 v38, 0, -1, vcc_lo
	v_cmp_le_u32_e32 vcc_lo, s67, v26
	v_cndmask_b32_e64 v39, 0, -1, vcc_lo
	v_cmp_le_u32_e32 vcc_lo, s66, v23
	;; [unrolled: 2-line block ×3, first 2 shown]
	v_cndmask_b32_e64 v40, 0, -1, vcc_lo
	v_cmp_eq_u32_e32 vcc_lo, s67, v26
	s_delay_alu instid0(VALU_DEP_2) | instskip(SKIP_3) | instid1(VALU_DEP_3)
	v_cndmask_b32_e64 v23, v40, v23, s0
	v_cndmask_b32_e32 v26, v39, v38, vcc_lo
	v_add_co_u32 v38, vcc_lo, v2, 1
	v_add_co_ci_u32_e32 v39, vcc_lo, 0, v25, vcc_lo
	v_cmp_ne_u32_e32 vcc_lo, 0, v26
	s_delay_alu instid0(VALU_DEP_2) | instskip(NEXT) | instid1(VALU_DEP_4)
	v_cndmask_b32_e32 v24, v39, v35, vcc_lo
	v_cndmask_b32_e32 v26, v38, v34, vcc_lo
	v_cmp_ne_u32_e32 vcc_lo, 0, v23
	v_xor_b32_e32 v34, s64, v27
	s_delay_alu instid0(VALU_DEP_3) | instskip(NEXT) | instid1(VALU_DEP_1)
	v_dual_cndmask_b32 v2, v2, v26 :: v_dual_cndmask_b32 v23, v25, v24
	v_xor_b32_e32 v2, v2, v34
	s_delay_alu instid0(VALU_DEP_2) | instskip(NEXT) | instid1(VALU_DEP_2)
	v_xor_b32_e32 v24, v23, v34
	v_sub_co_u32 v23, vcc_lo, v2, v34
	s_delay_alu instid0(VALU_DEP_2)
	v_sub_co_ci_u32_e32 v24, vcc_lo, v24, v34, vcc_lo
.LBB11_57:                              ;   in Loop: Header=BB11_3 Depth=1
	s_and_not1_saveexec_b32 s0, s1
	s_cbranch_execz .LBB11_59
; %bb.58:                               ;   in Loop: Header=BB11_3 Depth=1
	v_cvt_f32_u32_e32 v2, s50
	s_sub_i32 s1, 0, s50
	s_delay_alu instid0(VALU_DEP_1) | instskip(SKIP_2) | instid1(VALU_DEP_1)
	v_rcp_iflag_f32_e32 v2, v2
	s_waitcnt_depctr 0xfff
	v_mul_f32_e32 v2, 0x4f7ffffe, v2
	v_cvt_u32_f32_e32 v2, v2
	s_delay_alu instid0(VALU_DEP_1) | instskip(NEXT) | instid1(VALU_DEP_1)
	v_mul_lo_u32 v23, s1, v2
	v_mul_hi_u32 v23, v2, v23
	s_delay_alu instid0(VALU_DEP_1) | instskip(NEXT) | instid1(VALU_DEP_1)
	v_add_nc_u32_e32 v2, v2, v23
	v_mul_hi_u32 v2, v3, v2
	s_delay_alu instid0(VALU_DEP_1) | instskip(SKIP_1) | instid1(VALU_DEP_2)
	v_mul_lo_u32 v23, v2, s50
	v_add_nc_u32_e32 v24, 1, v2
	v_sub_nc_u32_e32 v23, v3, v23
	s_delay_alu instid0(VALU_DEP_1) | instskip(SKIP_1) | instid1(VALU_DEP_2)
	v_subrev_nc_u32_e32 v25, s50, v23
	v_cmp_le_u32_e32 vcc_lo, s50, v23
	v_dual_cndmask_b32 v23, v23, v25 :: v_dual_cndmask_b32 v2, v2, v24
	s_delay_alu instid0(VALU_DEP_1) | instskip(NEXT) | instid1(VALU_DEP_2)
	v_cmp_le_u32_e32 vcc_lo, s50, v23
	v_add_nc_u32_e32 v24, 1, v2
	s_delay_alu instid0(VALU_DEP_1)
	v_dual_cndmask_b32 v23, v2, v24 :: v_dual_mov_b32 v24, v1
.LBB11_59:                              ;   in Loop: Header=BB11_3 Depth=1
	s_or_b32 exec_lo, exec_lo, s0
	s_delay_alu instid0(VALU_DEP_1) | instskip(NEXT) | instid1(VALU_DEP_2)
	v_mad_u64_u32 v[25:26], null, s74, v23, v[3:4]
	v_mul_lo_u32 v2, s74, v24
	v_mul_lo_u32 v34, s75, v23
	;; [unrolled: 1-line block ×4, first 2 shown]
	s_mov_b32 s0, exec_lo
	s_delay_alu instid0(VALU_DEP_3) | instskip(SKIP_3) | instid1(VALU_DEP_4)
	v_add3_u32 v2, v34, v26, v2
	v_mad_u64_u32 v[34:35], null, v23, s16, 0
	v_mul_lo_u32 v26, v25, s19
	v_mad_u64_u32 v[23:24], null, v25, s18, 0
	v_mul_lo_u32 v2, v2, s18
	s_delay_alu instid0(VALU_DEP_4) | instskip(NEXT) | instid1(VALU_DEP_2)
	v_add3_u32 v35, v35, v39, v38
	v_add3_u32 v24, v24, v26, v2
	s_delay_alu instid0(VALU_DEP_2) | instskip(NEXT) | instid1(VALU_DEP_2)
	v_lshlrev_b64 v[25:26], 1, v[34:35]
	v_lshlrev_b64 v[23:24], 1, v[23:24]
	s_delay_alu instid0(VALU_DEP_2) | instskip(NEXT) | instid1(VALU_DEP_3)
	v_add_co_u32 v2, vcc_lo, s48, v25
	v_add_co_ci_u32_e32 v25, vcc_lo, s49, v26, vcc_lo
	s_delay_alu instid0(VALU_DEP_2) | instskip(NEXT) | instid1(VALU_DEP_2)
	v_add_co_u32 v23, vcc_lo, v2, v23
	v_add_co_ci_u32_e32 v24, vcc_lo, v25, v24, vcc_lo
	v_or_b32_e32 v2, s55, v4
	global_load_u16 v34, v[23:24], off
                                        ; implicit-def: $vgpr23_vgpr24
	v_cmpx_ne_u64_e32 0, v[1:2]
	s_xor_b32 s1, exec_lo, s0
	s_cbranch_execz .LBB11_61
; %bb.60:                               ;   in Loop: Header=BB11_3 Depth=1
	s_ashr_i32 s64, s55, 31
	s_delay_alu instid0(SALU_CYCLE_1) | instskip(SKIP_2) | instid1(SALU_CYCLE_1)
	s_add_u32 s66, s54, s64
	s_mov_b32 s65, s64
	s_addc_u32 s67, s55, s64
	s_xor_b64 s[66:67], s[66:67], s[64:65]
	s_delay_alu instid0(SALU_CYCLE_1) | instskip(SKIP_3) | instid1(VALU_DEP_1)
	v_cvt_f32_u32_e32 v2, s66
	v_cvt_f32_u32_e32 v23, s67
	s_sub_u32 s0, 0, s66
	s_subb_u32 s65, 0, s67
	v_fmac_f32_e32 v2, 0x4f800000, v23
	s_delay_alu instid0(VALU_DEP_1) | instskip(SKIP_2) | instid1(VALU_DEP_1)
	v_rcp_f32_e32 v2, v2
	s_waitcnt_depctr 0xfff
	v_mul_f32_e32 v2, 0x5f7ffffc, v2
	v_mul_f32_e32 v23, 0x2f800000, v2
	s_delay_alu instid0(VALU_DEP_1) | instskip(NEXT) | instid1(VALU_DEP_1)
	v_trunc_f32_e32 v23, v23
	v_fmac_f32_e32 v2, 0xcf800000, v23
	v_cvt_u32_f32_e32 v23, v23
	s_delay_alu instid0(VALU_DEP_2) | instskip(NEXT) | instid1(VALU_DEP_2)
	v_cvt_u32_f32_e32 v2, v2
	v_mul_lo_u32 v24, s0, v23
	s_delay_alu instid0(VALU_DEP_2) | instskip(SKIP_1) | instid1(VALU_DEP_2)
	v_mul_hi_u32 v25, s0, v2
	v_mul_lo_u32 v26, s65, v2
	v_add_nc_u32_e32 v24, v25, v24
	v_mul_lo_u32 v25, s0, v2
	s_delay_alu instid0(VALU_DEP_2) | instskip(NEXT) | instid1(VALU_DEP_2)
	v_add_nc_u32_e32 v24, v24, v26
	v_mul_hi_u32 v26, v2, v25
	s_delay_alu instid0(VALU_DEP_2)
	v_mul_lo_u32 v35, v2, v24
	v_mul_hi_u32 v38, v2, v24
	v_mul_hi_u32 v39, v23, v25
	v_mul_lo_u32 v25, v23, v25
	v_mul_hi_u32 v40, v23, v24
	v_mul_lo_u32 v24, v23, v24
	v_add_co_u32 v26, vcc_lo, v26, v35
	v_add_co_ci_u32_e32 v35, vcc_lo, 0, v38, vcc_lo
	s_delay_alu instid0(VALU_DEP_2) | instskip(NEXT) | instid1(VALU_DEP_2)
	v_add_co_u32 v25, vcc_lo, v26, v25
	v_add_co_ci_u32_e32 v25, vcc_lo, v35, v39, vcc_lo
	v_add_co_ci_u32_e32 v26, vcc_lo, 0, v40, vcc_lo
	s_delay_alu instid0(VALU_DEP_2) | instskip(NEXT) | instid1(VALU_DEP_2)
	v_add_co_u32 v24, vcc_lo, v25, v24
	v_add_co_ci_u32_e32 v25, vcc_lo, 0, v26, vcc_lo
	s_delay_alu instid0(VALU_DEP_2) | instskip(NEXT) | instid1(VALU_DEP_2)
	v_add_co_u32 v2, vcc_lo, v2, v24
	v_add_co_ci_u32_e32 v23, vcc_lo, v23, v25, vcc_lo
	s_delay_alu instid0(VALU_DEP_2) | instskip(SKIP_1) | instid1(VALU_DEP_3)
	v_mul_hi_u32 v24, s0, v2
	v_mul_lo_u32 v26, s65, v2
	v_mul_lo_u32 v25, s0, v23
	s_delay_alu instid0(VALU_DEP_1) | instskip(SKIP_1) | instid1(VALU_DEP_2)
	v_add_nc_u32_e32 v24, v24, v25
	v_mul_lo_u32 v25, s0, v2
	v_add_nc_u32_e32 v24, v24, v26
	s_delay_alu instid0(VALU_DEP_2) | instskip(NEXT) | instid1(VALU_DEP_2)
	v_mul_hi_u32 v26, v2, v25
	v_mul_lo_u32 v35, v2, v24
	v_mul_hi_u32 v38, v2, v24
	v_mul_hi_u32 v39, v23, v25
	v_mul_lo_u32 v25, v23, v25
	v_mul_hi_u32 v40, v23, v24
	v_mul_lo_u32 v24, v23, v24
	v_add_co_u32 v26, vcc_lo, v26, v35
	v_add_co_ci_u32_e32 v35, vcc_lo, 0, v38, vcc_lo
	s_delay_alu instid0(VALU_DEP_2) | instskip(NEXT) | instid1(VALU_DEP_2)
	v_add_co_u32 v25, vcc_lo, v26, v25
	v_add_co_ci_u32_e32 v25, vcc_lo, v35, v39, vcc_lo
	v_add_co_ci_u32_e32 v26, vcc_lo, 0, v40, vcc_lo
	v_add_co_u32 v35, vcc_lo, v3, v27
	v_add_co_ci_u32_e32 v38, vcc_lo, v4, v27, vcc_lo
	s_delay_alu instid0(VALU_DEP_4) | instskip(NEXT) | instid1(VALU_DEP_4)
	v_add_co_u32 v24, vcc_lo, v25, v24
	v_add_co_ci_u32_e32 v25, vcc_lo, 0, v26, vcc_lo
	s_delay_alu instid0(VALU_DEP_4) | instskip(NEXT) | instid1(VALU_DEP_3)
	v_xor_b32_e32 v35, v35, v27
	v_add_co_u32 v2, vcc_lo, v2, v24
	s_delay_alu instid0(VALU_DEP_3) | instskip(SKIP_1) | instid1(VALU_DEP_3)
	v_add_co_ci_u32_e32 v40, vcc_lo, v23, v25, vcc_lo
	v_xor_b32_e32 v41, v38, v27
	v_mul_hi_u32 v42, v35, v2
	s_delay_alu instid0(VALU_DEP_3) | instskip(NEXT) | instid1(VALU_DEP_3)
	v_mad_u64_u32 v[23:24], null, v35, v40, 0
	v_mad_u64_u32 v[25:26], null, v41, v2, 0
	;; [unrolled: 1-line block ×3, first 2 shown]
	s_delay_alu instid0(VALU_DEP_3) | instskip(NEXT) | instid1(VALU_DEP_4)
	v_add_co_u32 v2, vcc_lo, v42, v23
	v_add_co_ci_u32_e32 v23, vcc_lo, 0, v24, vcc_lo
	s_delay_alu instid0(VALU_DEP_2) | instskip(NEXT) | instid1(VALU_DEP_2)
	v_add_co_u32 v2, vcc_lo, v2, v25
	v_add_co_ci_u32_e32 v2, vcc_lo, v23, v26, vcc_lo
	v_add_co_ci_u32_e32 v23, vcc_lo, 0, v39, vcc_lo
	s_delay_alu instid0(VALU_DEP_2) | instskip(NEXT) | instid1(VALU_DEP_2)
	v_add_co_u32 v2, vcc_lo, v2, v38
	v_add_co_ci_u32_e32 v25, vcc_lo, 0, v23, vcc_lo
	s_delay_alu instid0(VALU_DEP_2) | instskip(SKIP_1) | instid1(VALU_DEP_3)
	v_mul_lo_u32 v26, s67, v2
	v_mad_u64_u32 v[23:24], null, s66, v2, 0
	v_mul_lo_u32 v38, s66, v25
	s_delay_alu instid0(VALU_DEP_2) | instskip(NEXT) | instid1(VALU_DEP_2)
	v_sub_co_u32 v23, vcc_lo, v35, v23
	v_add3_u32 v24, v24, v38, v26
	s_delay_alu instid0(VALU_DEP_1) | instskip(NEXT) | instid1(VALU_DEP_1)
	v_sub_nc_u32_e32 v26, v41, v24
	v_subrev_co_ci_u32_e64 v26, s0, s67, v26, vcc_lo
	v_add_co_u32 v35, s0, v2, 2
	s_delay_alu instid0(VALU_DEP_1) | instskip(SKIP_3) | instid1(VALU_DEP_3)
	v_add_co_ci_u32_e64 v38, s0, 0, v25, s0
	v_sub_co_u32 v39, s0, v23, s66
	v_sub_co_ci_u32_e32 v24, vcc_lo, v41, v24, vcc_lo
	v_subrev_co_ci_u32_e64 v26, s0, 0, v26, s0
	v_cmp_le_u32_e32 vcc_lo, s66, v39
	s_delay_alu instid0(VALU_DEP_3) | instskip(SKIP_1) | instid1(VALU_DEP_4)
	v_cmp_eq_u32_e64 s0, s67, v24
	v_cndmask_b32_e64 v39, 0, -1, vcc_lo
	v_cmp_le_u32_e32 vcc_lo, s67, v26
	v_cndmask_b32_e64 v40, 0, -1, vcc_lo
	v_cmp_le_u32_e32 vcc_lo, s66, v23
	;; [unrolled: 2-line block ×3, first 2 shown]
	v_cndmask_b32_e64 v41, 0, -1, vcc_lo
	v_cmp_eq_u32_e32 vcc_lo, s67, v26
	s_delay_alu instid0(VALU_DEP_2) | instskip(SKIP_3) | instid1(VALU_DEP_3)
	v_cndmask_b32_e64 v23, v41, v23, s0
	v_cndmask_b32_e32 v26, v40, v39, vcc_lo
	v_add_co_u32 v39, vcc_lo, v2, 1
	v_add_co_ci_u32_e32 v40, vcc_lo, 0, v25, vcc_lo
	v_cmp_ne_u32_e32 vcc_lo, 0, v26
	s_delay_alu instid0(VALU_DEP_2) | instskip(NEXT) | instid1(VALU_DEP_4)
	v_cndmask_b32_e32 v24, v40, v38, vcc_lo
	v_cndmask_b32_e32 v26, v39, v35, vcc_lo
	v_cmp_ne_u32_e32 vcc_lo, 0, v23
	v_xor_b32_e32 v35, s64, v27
	s_delay_alu instid0(VALU_DEP_3) | instskip(NEXT) | instid1(VALU_DEP_1)
	v_dual_cndmask_b32 v2, v2, v26 :: v_dual_cndmask_b32 v23, v25, v24
	v_xor_b32_e32 v2, v2, v35
	s_delay_alu instid0(VALU_DEP_2) | instskip(NEXT) | instid1(VALU_DEP_2)
	v_xor_b32_e32 v24, v23, v35
	v_sub_co_u32 v23, vcc_lo, v2, v35
	s_delay_alu instid0(VALU_DEP_2)
	v_sub_co_ci_u32_e32 v24, vcc_lo, v24, v35, vcc_lo
.LBB11_61:                              ;   in Loop: Header=BB11_3 Depth=1
	s_and_not1_saveexec_b32 s0, s1
	s_cbranch_execz .LBB11_63
; %bb.62:                               ;   in Loop: Header=BB11_3 Depth=1
	v_cvt_f32_u32_e32 v2, s54
	s_sub_i32 s1, 0, s54
	s_delay_alu instid0(VALU_DEP_1) | instskip(SKIP_2) | instid1(VALU_DEP_1)
	v_rcp_iflag_f32_e32 v2, v2
	s_waitcnt_depctr 0xfff
	v_mul_f32_e32 v2, 0x4f7ffffe, v2
	v_cvt_u32_f32_e32 v2, v2
	s_delay_alu instid0(VALU_DEP_1) | instskip(NEXT) | instid1(VALU_DEP_1)
	v_mul_lo_u32 v23, s1, v2
	v_mul_hi_u32 v23, v2, v23
	s_delay_alu instid0(VALU_DEP_1) | instskip(NEXT) | instid1(VALU_DEP_1)
	v_add_nc_u32_e32 v2, v2, v23
	v_mul_hi_u32 v2, v3, v2
	s_delay_alu instid0(VALU_DEP_1) | instskip(SKIP_1) | instid1(VALU_DEP_2)
	v_mul_lo_u32 v23, v2, s54
	v_add_nc_u32_e32 v24, 1, v2
	v_sub_nc_u32_e32 v23, v3, v23
	s_delay_alu instid0(VALU_DEP_1) | instskip(SKIP_1) | instid1(VALU_DEP_2)
	v_subrev_nc_u32_e32 v25, s54, v23
	v_cmp_le_u32_e32 vcc_lo, s54, v23
	v_dual_cndmask_b32 v23, v23, v25 :: v_dual_cndmask_b32 v2, v2, v24
	s_delay_alu instid0(VALU_DEP_1) | instskip(NEXT) | instid1(VALU_DEP_2)
	v_cmp_le_u32_e32 vcc_lo, s54, v23
	v_add_nc_u32_e32 v24, 1, v2
	s_delay_alu instid0(VALU_DEP_1)
	v_dual_cndmask_b32 v23, v2, v24 :: v_dual_mov_b32 v24, v1
.LBB11_63:                              ;   in Loop: Header=BB11_3 Depth=1
	s_or_b32 exec_lo, exec_lo, s0
	v_or_b32_e32 v2, s59, v4
                                        ; implicit-def: $vgpr25_vgpr26
	s_mov_b32 s0, exec_lo
	s_delay_alu instid0(VALU_DEP_1)
	v_cmpx_ne_u64_e32 0, v[1:2]
	s_xor_b32 s1, exec_lo, s0
	s_cbranch_execz .LBB11_65
; %bb.64:                               ;   in Loop: Header=BB11_3 Depth=1
	s_ashr_i32 s64, s59, 31
	s_delay_alu instid0(SALU_CYCLE_1) | instskip(SKIP_2) | instid1(SALU_CYCLE_1)
	s_add_u32 s66, s58, s64
	s_mov_b32 s65, s64
	s_addc_u32 s67, s59, s64
	s_xor_b64 s[66:67], s[66:67], s[64:65]
	s_delay_alu instid0(SALU_CYCLE_1) | instskip(SKIP_3) | instid1(VALU_DEP_1)
	v_cvt_f32_u32_e32 v2, s66
	v_cvt_f32_u32_e32 v25, s67
	s_sub_u32 s0, 0, s66
	s_subb_u32 s65, 0, s67
	v_fmac_f32_e32 v2, 0x4f800000, v25
	s_delay_alu instid0(VALU_DEP_1) | instskip(SKIP_2) | instid1(VALU_DEP_1)
	v_rcp_f32_e32 v2, v2
	s_waitcnt_depctr 0xfff
	v_mul_f32_e32 v2, 0x5f7ffffc, v2
	v_mul_f32_e32 v25, 0x2f800000, v2
	s_delay_alu instid0(VALU_DEP_1) | instskip(NEXT) | instid1(VALU_DEP_1)
	v_trunc_f32_e32 v25, v25
	v_fmac_f32_e32 v2, 0xcf800000, v25
	v_cvt_u32_f32_e32 v25, v25
	s_delay_alu instid0(VALU_DEP_2) | instskip(NEXT) | instid1(VALU_DEP_2)
	v_cvt_u32_f32_e32 v2, v2
	v_mul_lo_u32 v26, s0, v25
	s_delay_alu instid0(VALU_DEP_2) | instskip(SKIP_1) | instid1(VALU_DEP_2)
	v_mul_hi_u32 v35, s0, v2
	v_mul_lo_u32 v38, s65, v2
	v_add_nc_u32_e32 v26, v35, v26
	v_mul_lo_u32 v35, s0, v2
	s_delay_alu instid0(VALU_DEP_2) | instskip(NEXT) | instid1(VALU_DEP_2)
	v_add_nc_u32_e32 v26, v26, v38
	v_mul_hi_u32 v38, v2, v35
	s_delay_alu instid0(VALU_DEP_2)
	v_mul_lo_u32 v39, v2, v26
	v_mul_hi_u32 v40, v2, v26
	v_mul_hi_u32 v41, v25, v35
	v_mul_lo_u32 v35, v25, v35
	v_mul_hi_u32 v42, v25, v26
	v_mul_lo_u32 v26, v25, v26
	v_add_co_u32 v38, vcc_lo, v38, v39
	v_add_co_ci_u32_e32 v39, vcc_lo, 0, v40, vcc_lo
	s_delay_alu instid0(VALU_DEP_2) | instskip(NEXT) | instid1(VALU_DEP_2)
	v_add_co_u32 v35, vcc_lo, v38, v35
	v_add_co_ci_u32_e32 v35, vcc_lo, v39, v41, vcc_lo
	v_add_co_ci_u32_e32 v38, vcc_lo, 0, v42, vcc_lo
	s_delay_alu instid0(VALU_DEP_2) | instskip(NEXT) | instid1(VALU_DEP_2)
	v_add_co_u32 v26, vcc_lo, v35, v26
	v_add_co_ci_u32_e32 v35, vcc_lo, 0, v38, vcc_lo
	s_delay_alu instid0(VALU_DEP_2) | instskip(NEXT) | instid1(VALU_DEP_2)
	v_add_co_u32 v2, vcc_lo, v2, v26
	v_add_co_ci_u32_e32 v25, vcc_lo, v25, v35, vcc_lo
	s_delay_alu instid0(VALU_DEP_2) | instskip(SKIP_1) | instid1(VALU_DEP_3)
	v_mul_hi_u32 v26, s0, v2
	v_mul_lo_u32 v38, s65, v2
	v_mul_lo_u32 v35, s0, v25
	s_delay_alu instid0(VALU_DEP_1) | instskip(SKIP_1) | instid1(VALU_DEP_2)
	v_add_nc_u32_e32 v26, v26, v35
	v_mul_lo_u32 v35, s0, v2
	v_add_nc_u32_e32 v26, v26, v38
	s_delay_alu instid0(VALU_DEP_2) | instskip(NEXT) | instid1(VALU_DEP_2)
	v_mul_hi_u32 v38, v2, v35
	v_mul_lo_u32 v39, v2, v26
	v_mul_hi_u32 v40, v2, v26
	v_mul_hi_u32 v41, v25, v35
	v_mul_lo_u32 v35, v25, v35
	v_mul_hi_u32 v42, v25, v26
	v_mul_lo_u32 v26, v25, v26
	v_add_co_u32 v38, vcc_lo, v38, v39
	v_add_co_ci_u32_e32 v39, vcc_lo, 0, v40, vcc_lo
	s_delay_alu instid0(VALU_DEP_2) | instskip(NEXT) | instid1(VALU_DEP_2)
	v_add_co_u32 v35, vcc_lo, v38, v35
	v_add_co_ci_u32_e32 v35, vcc_lo, v39, v41, vcc_lo
	v_add_co_ci_u32_e32 v38, vcc_lo, 0, v42, vcc_lo
	v_add_co_u32 v39, vcc_lo, v3, v27
	v_add_co_ci_u32_e32 v40, vcc_lo, v4, v27, vcc_lo
	s_delay_alu instid0(VALU_DEP_4) | instskip(NEXT) | instid1(VALU_DEP_4)
	v_add_co_u32 v26, vcc_lo, v35, v26
	v_add_co_ci_u32_e32 v35, vcc_lo, 0, v38, vcc_lo
	s_delay_alu instid0(VALU_DEP_4) | instskip(NEXT) | instid1(VALU_DEP_3)
	v_xor_b32_e32 v42, v39, v27
	v_add_co_u32 v2, vcc_lo, v2, v26
	s_delay_alu instid0(VALU_DEP_3) | instskip(SKIP_1) | instid1(VALU_DEP_3)
	v_add_co_ci_u32_e32 v35, vcc_lo, v25, v35, vcc_lo
	v_xor_b32_e32 v43, v40, v27
	v_mul_hi_u32 v44, v42, v2
	v_xor_b32_e32 v27, s64, v27
	s_delay_alu instid0(VALU_DEP_4) | instskip(NEXT) | instid1(VALU_DEP_4)
	v_mad_u64_u32 v[25:26], null, v42, v35, 0
	v_mad_u64_u32 v[38:39], null, v43, v2, 0
	;; [unrolled: 1-line block ×3, first 2 shown]
	s_delay_alu instid0(VALU_DEP_3) | instskip(NEXT) | instid1(VALU_DEP_4)
	v_add_co_u32 v2, vcc_lo, v44, v25
	v_add_co_ci_u32_e32 v25, vcc_lo, 0, v26, vcc_lo
	s_delay_alu instid0(VALU_DEP_2) | instskip(NEXT) | instid1(VALU_DEP_2)
	v_add_co_u32 v2, vcc_lo, v2, v38
	v_add_co_ci_u32_e32 v2, vcc_lo, v25, v39, vcc_lo
	v_add_co_ci_u32_e32 v25, vcc_lo, 0, v41, vcc_lo
	s_delay_alu instid0(VALU_DEP_2) | instskip(NEXT) | instid1(VALU_DEP_2)
	v_add_co_u32 v2, vcc_lo, v2, v40
	v_add_co_ci_u32_e32 v35, vcc_lo, 0, v25, vcc_lo
	s_delay_alu instid0(VALU_DEP_2) | instskip(SKIP_1) | instid1(VALU_DEP_3)
	v_mul_lo_u32 v38, s67, v2
	v_mad_u64_u32 v[25:26], null, s66, v2, 0
	v_mul_lo_u32 v39, s66, v35
	s_delay_alu instid0(VALU_DEP_2) | instskip(NEXT) | instid1(VALU_DEP_2)
	v_sub_co_u32 v25, vcc_lo, v42, v25
	v_add3_u32 v26, v26, v39, v38
	s_delay_alu instid0(VALU_DEP_1) | instskip(NEXT) | instid1(VALU_DEP_1)
	v_sub_nc_u32_e32 v38, v43, v26
	v_subrev_co_ci_u32_e64 v38, s0, s67, v38, vcc_lo
	v_add_co_u32 v39, s0, v2, 2
	s_delay_alu instid0(VALU_DEP_1) | instskip(SKIP_3) | instid1(VALU_DEP_3)
	v_add_co_ci_u32_e64 v40, s0, 0, v35, s0
	v_sub_co_u32 v41, s0, v25, s66
	v_sub_co_ci_u32_e32 v26, vcc_lo, v43, v26, vcc_lo
	v_subrev_co_ci_u32_e64 v38, s0, 0, v38, s0
	v_cmp_le_u32_e32 vcc_lo, s66, v41
	s_delay_alu instid0(VALU_DEP_3) | instskip(SKIP_1) | instid1(VALU_DEP_4)
	v_cmp_eq_u32_e64 s0, s67, v26
	v_cndmask_b32_e64 v41, 0, -1, vcc_lo
	v_cmp_le_u32_e32 vcc_lo, s67, v38
	v_cndmask_b32_e64 v42, 0, -1, vcc_lo
	v_cmp_le_u32_e32 vcc_lo, s66, v25
	;; [unrolled: 2-line block ×3, first 2 shown]
	v_cndmask_b32_e64 v43, 0, -1, vcc_lo
	v_cmp_eq_u32_e32 vcc_lo, s67, v38
	s_delay_alu instid0(VALU_DEP_2) | instskip(SKIP_3) | instid1(VALU_DEP_3)
	v_cndmask_b32_e64 v25, v43, v25, s0
	v_cndmask_b32_e32 v38, v42, v41, vcc_lo
	v_add_co_u32 v41, vcc_lo, v2, 1
	v_add_co_ci_u32_e32 v42, vcc_lo, 0, v35, vcc_lo
	v_cmp_ne_u32_e32 vcc_lo, 0, v38
	s_delay_alu instid0(VALU_DEP_2) | instskip(NEXT) | instid1(VALU_DEP_4)
	v_cndmask_b32_e32 v26, v42, v40, vcc_lo
	v_cndmask_b32_e32 v38, v41, v39, vcc_lo
	v_cmp_ne_u32_e32 vcc_lo, 0, v25
	s_delay_alu instid0(VALU_DEP_2) | instskip(NEXT) | instid1(VALU_DEP_4)
	v_cndmask_b32_e32 v2, v2, v38, vcc_lo
	v_cndmask_b32_e32 v25, v35, v26, vcc_lo
	s_delay_alu instid0(VALU_DEP_2) | instskip(NEXT) | instid1(VALU_DEP_2)
	v_xor_b32_e32 v2, v2, v27
	v_xor_b32_e32 v26, v25, v27
	s_delay_alu instid0(VALU_DEP_2) | instskip(NEXT) | instid1(VALU_DEP_2)
	v_sub_co_u32 v25, vcc_lo, v2, v27
	v_sub_co_ci_u32_e32 v26, vcc_lo, v26, v27, vcc_lo
.LBB11_65:                              ;   in Loop: Header=BB11_3 Depth=1
	s_and_not1_saveexec_b32 s0, s1
	s_cbranch_execz .LBB11_67
; %bb.66:                               ;   in Loop: Header=BB11_3 Depth=1
	v_cvt_f32_u32_e32 v2, s58
	s_sub_i32 s1, 0, s58
	s_delay_alu instid0(VALU_DEP_1) | instskip(SKIP_2) | instid1(VALU_DEP_1)
	v_rcp_iflag_f32_e32 v2, v2
	s_waitcnt_depctr 0xfff
	v_mul_f32_e32 v2, 0x4f7ffffe, v2
	v_cvt_u32_f32_e32 v2, v2
	s_delay_alu instid0(VALU_DEP_1) | instskip(NEXT) | instid1(VALU_DEP_1)
	v_mul_lo_u32 v25, s1, v2
	v_mul_hi_u32 v25, v2, v25
	s_delay_alu instid0(VALU_DEP_1) | instskip(NEXT) | instid1(VALU_DEP_1)
	v_add_nc_u32_e32 v2, v2, v25
	v_mul_hi_u32 v2, v3, v2
	s_delay_alu instid0(VALU_DEP_1) | instskip(SKIP_1) | instid1(VALU_DEP_2)
	v_mul_lo_u32 v25, v2, s58
	v_add_nc_u32_e32 v26, 1, v2
	v_sub_nc_u32_e32 v25, v3, v25
	s_delay_alu instid0(VALU_DEP_1) | instskip(SKIP_1) | instid1(VALU_DEP_2)
	v_subrev_nc_u32_e32 v27, s58, v25
	v_cmp_le_u32_e32 vcc_lo, s58, v25
	v_dual_cndmask_b32 v25, v25, v27 :: v_dual_cndmask_b32 v2, v2, v26
	s_delay_alu instid0(VALU_DEP_1) | instskip(NEXT) | instid1(VALU_DEP_2)
	v_cmp_le_u32_e32 vcc_lo, s58, v25
	v_add_nc_u32_e32 v26, 1, v2
	s_delay_alu instid0(VALU_DEP_1)
	v_dual_cndmask_b32 v25, v2, v26 :: v_dual_mov_b32 v26, v1
.LBB11_67:                              ;   in Loop: Header=BB11_3 Depth=1
	s_or_b32 exec_lo, exec_lo, s0
	v_dual_mov_b32 v35, 0 :: v_dual_mov_b32 v2, 0
	v_dual_mov_b32 v27, 0 :: v_dual_mov_b32 v38, 0
	;; [unrolled: 1-line block ×4, first 2 shown]
	s_and_not1_b32 vcc_lo, exec_lo, s33
	s_cbranch_vccnz .LBB11_69
; %bb.68:                               ;   in Loop: Header=BB11_3 Depth=1
	v_sub_co_u32 v2, vcc_lo, 1, v9
	v_sub_co_ci_u32_e32 v27, vcc_lo, 0, v10, vcc_lo
	v_mad_u64_u32 v[38:39], null, s72, v9, v[3:4]
	v_mul_lo_u32 v35, s72, v10
	v_mul_lo_u32 v42, s73, v9
	s_delay_alu instid0(VALU_DEP_4) | instskip(SKIP_2) | instid1(VALU_DEP_4)
	v_mul_lo_u32 v27, s4, v27
	v_mul_lo_u32 v43, s5, v2
	v_mad_u64_u32 v[40:41], null, s4, v2, v[3:4]
	v_add3_u32 v2, v42, v39, v35
	v_sub_co_u32 v39, vcc_lo, 2, v9
	s_delay_alu instid0(VALU_DEP_3) | instskip(SKIP_1) | instid1(VALU_DEP_3)
	v_add3_u32 v27, v43, v41, v27
	v_sub_co_ci_u32_e32 v43, vcc_lo, 0, v10, vcc_lo
	v_mul_lo_u32 v46, s5, v39
	v_mul_lo_u32 v35, v38, s43
	;; [unrolled: 1-line block ×3, first 2 shown]
	s_delay_alu instid0(VALU_DEP_4) | instskip(SKIP_4) | instid1(VALU_DEP_4)
	v_mul_lo_u32 v45, s4, v43
	v_mad_u64_u32 v[43:44], null, s4, v39, v[3:4]
	v_sub_co_u32 v39, vcc_lo, 3, v9
	v_sub_co_ci_u32_e32 v47, vcc_lo, 0, v10, vcc_lo
	v_mad_u64_u32 v[41:42], null, v38, s42, 0
	v_add3_u32 v51, v46, v44, v45
	s_delay_alu instid0(VALU_DEP_3)
	v_mul_lo_u32 v52, s4, v47
	v_mul_lo_u32 v53, s5, v39
	v_mad_u64_u32 v[44:45], null, s4, v39, v[3:4]
	v_mul_lo_u32 v49, v27, s42
	v_mul_lo_u32 v50, v40, s43
	v_mad_u64_u32 v[9:10], null, v40, s42, 0
	;; [unrolled: 3-line block ×3, first 2 shown]
	v_add3_u32 v42, v42, v35, v48
	v_add3_u32 v35, v53, v45, v52
	;; [unrolled: 1-line block ×3, first 2 shown]
	v_mul_lo_u32 v50, v44, s43
	v_mad_u64_u32 v[48:49], null, v44, s42, 0
	v_add3_u32 v47, v47, v54, v39
	v_mul_lo_u32 v39, v35, s42
	v_mul_lo_u32 v52, v38, s47
	;; [unrolled: 1-line block ×3, first 2 shown]
	v_lshlrev_b64 v[41:42], 1, v[41:42]
	v_lshlrev_b64 v[45:46], 1, v[46:47]
	v_mul_lo_u32 v27, v27, s46
	v_mul_lo_u32 v53, v40, s47
	v_lshlrev_b64 v[9:10], 1, v[9:10]
	v_add3_u32 v49, v49, v50, v39
	v_add_co_u32 v41, vcc_lo, s38, v41
	v_add_co_ci_u32_e32 v42, vcc_lo, s39, v42, vcc_lo
	s_delay_alu instid0(VALU_DEP_3)
	v_lshlrev_b64 v[47:48], 1, v[48:49]
	v_mad_u64_u32 v[49:50], null, v38, s46, 0
	v_mad_u64_u32 v[38:39], null, v40, s46, 0
	v_mul_lo_u32 v40, v43, s47
	v_add_co_u32 v9, vcc_lo, s38, v9
	v_add_co_ci_u32_e32 v10, vcc_lo, s39, v10, vcc_lo
	v_add3_u32 v50, v50, v52, v2
	v_mul_lo_u32 v2, v51, s46
	v_mad_u64_u32 v[51:52], null, v43, s46, 0
	v_add3_u32 v39, v39, v53, v27
	v_mul_lo_u32 v27, v35, s46
	v_mul_lo_u32 v35, v44, s47
	v_mad_u64_u32 v[53:54], null, v44, s46, 0
	v_add_co_u32 v45, vcc_lo, s38, v45
	v_lshlrev_b64 v[49:50], 1, v[49:50]
	v_add_co_ci_u32_e32 v46, vcc_lo, s39, v46, vcc_lo
	v_add_co_u32 v47, vcc_lo, s38, v47
	v_lshlrev_b64 v[38:39], 1, v[38:39]
	v_add3_u32 v52, v52, v40, v2
	v_add_co_ci_u32_e32 v48, vcc_lo, s39, v48, vcc_lo
	v_add_co_u32 v43, vcc_lo, s44, v49
	v_add3_u32 v54, v54, v35, v27
	v_add_co_ci_u32_e32 v44, vcc_lo, s45, v50, vcc_lo
	v_lshlrev_b64 v[49:50], 1, v[51:52]
	v_add_co_u32 v51, vcc_lo, s44, v38
	v_add_co_ci_u32_e32 v52, vcc_lo, s45, v39, vcc_lo
	v_lshlrev_b64 v[38:39], 1, v[53:54]
	s_delay_alu instid0(VALU_DEP_4) | instskip(SKIP_1) | instid1(VALU_DEP_3)
	v_add_co_u32 v49, vcc_lo, s44, v49
	v_add_co_ci_u32_e32 v50, vcc_lo, s45, v50, vcc_lo
	v_add_co_u32 v53, vcc_lo, s44, v38
	s_delay_alu instid0(VALU_DEP_4)
	v_add_co_ci_u32_e32 v54, vcc_lo, s45, v39, vcc_lo
	s_clause 0x3
	global_load_u16 v41, v[41:42], off
	global_load_u16 v40, v[9:10], off
	;; [unrolled: 1-line block ×4, first 2 shown]
	s_clause 0x3
	global_load_u16 v39, v[43:44], off
	global_load_u16 v27, v[51:52], off
	global_load_u16 v2, v[49:50], off
	global_load_u16 v35, v[53:54], off
.LBB11_69:                              ;   in Loop: Header=BB11_3 Depth=1
	s_waitcnt vmcnt(6)
	v_cvt_f32_f16_e32 v9, v30
	s_waitcnt vmcnt(2)
	v_cvt_f32_f16_e32 v10, v36
	v_cvt_f32_f16_e32 v30, v42
	s_waitcnt vmcnt(1)
	v_cvt_f32_f16_e32 v2, v2
	s_delay_alu instid0(VALU_DEP_3) | instskip(NEXT) | instid1(VALU_DEP_1)
	v_add_f32_e32 v9, v9, v10
                                        ; implicit-def: $vgpr10
	v_add_f32_e32 v9, v9, v30
	s_delay_alu instid0(VALU_DEP_1) | instskip(NEXT) | instid1(VALU_DEP_1)
	v_add_f32_e32 v2, v9, v2
	v_cmp_ngt_f32_e64 s0, 0x3f200000, |v2|
	s_delay_alu instid0(VALU_DEP_1) | instskip(NEXT) | instid1(SALU_CYCLE_1)
	s_and_saveexec_b32 s1, s0
	s_xor_b32 s0, exec_lo, s1
	s_cbranch_execz .LBB11_71
; %bb.70:                               ;   in Loop: Header=BB11_3 Depth=1
	v_add_f32_e64 v9, |v2|, |v2|
	s_delay_alu instid0(VALU_DEP_1) | instskip(SKIP_1) | instid1(VALU_DEP_2)
	v_mul_f32_e32 v10, 0x3fb8aa3b, v9
	v_cmp_ngt_f32_e32 vcc_lo, 0xc2ce8ed0, v9
	v_rndne_f32_e32 v30, v10
	v_fma_f32 v36, 0x3fb8aa3b, v9, -v10
	s_delay_alu instid0(VALU_DEP_2) | instskip(NEXT) | instid1(VALU_DEP_2)
	v_sub_f32_e32 v10, v10, v30
	v_fmac_f32_e32 v36, 0x32a5705f, v9
	v_cvt_i32_f32_e32 v30, v30
	s_delay_alu instid0(VALU_DEP_2) | instskip(NEXT) | instid1(VALU_DEP_1)
	v_add_f32_e32 v10, v10, v36
	v_exp_f32_e32 v10, v10
	s_waitcnt_depctr 0xfff
	v_ldexp_f32 v10, v10, v30
	s_delay_alu instid0(VALU_DEP_1) | instskip(SKIP_1) | instid1(VALU_DEP_2)
	v_cndmask_b32_e32 v10, 0, v10, vcc_lo
	v_cmp_nlt_f32_e32 vcc_lo, 0x42b17218, v9
	v_cndmask_b32_e32 v9, 0x7f800000, v10, vcc_lo
	s_delay_alu instid0(VALU_DEP_1) | instskip(NEXT) | instid1(VALU_DEP_1)
	v_add_f32_e32 v9, 1.0, v9
	v_rcp_f32_e32 v9, v9
	s_waitcnt_depctr 0xfff
	v_fma_f32 v10, v9, -2.0, 1.0
.LBB11_71:                              ;   in Loop: Header=BB11_3 Depth=1
	s_and_not1_saveexec_b32 s0, s0
; %bb.72:                               ;   in Loop: Header=BB11_3 Depth=1
	v_mul_f32_e32 v9, v2, v2
	s_delay_alu instid0(VALU_DEP_1) | instskip(NEXT) | instid1(VALU_DEP_1)
	v_fmaak_f32 v10, s80, v9, 0x3ca908c9
	v_fmaak_f32 v10, v9, v10, 0xbd5c1c4e
	s_delay_alu instid0(VALU_DEP_1) | instskip(NEXT) | instid1(VALU_DEP_1)
	v_fmaak_f32 v10, v9, v10, 0x3e088382
	v_fmaak_f32 v10, v9, v10, 0xbeaaaa99
	s_delay_alu instid0(VALU_DEP_1) | instskip(NEXT) | instid1(VALU_DEP_1)
	v_mul_f32_e64 v10, |v2|, v10
	v_fma_f32 v10, v9, v10, |v2|
; %bb.73:                               ;   in Loop: Header=BB11_3 Depth=1
	s_or_b32 exec_lo, exec_lo, s0
	v_cvt_f32_f16_e32 v9, v28
	v_cvt_f32_f16_e32 v28, v32
	;; [unrolled: 1-line block ×6, first 2 shown]
	v_add_f32_e32 v9, v9, v28
	v_cvt_f32_f16_e32 v28, v40
	v_add_f32_e32 v29, v29, v30
	v_cvt_f32_f16_e32 v30, v39
	v_bfi_b32 v2, 0x7fffffff, v10, v2
	v_add_f32_e32 v9, v9, v32
	s_delay_alu instid0(VALU_DEP_4) | instskip(NEXT) | instid1(VALU_DEP_2)
	v_add_f32_e32 v28, v29, v28
	v_add_f32_e32 v9, v9, v30
	s_delay_alu instid0(VALU_DEP_1) | instskip(NEXT) | instid1(VALU_DEP_1)
	v_dual_add_f32 v27, v28, v27 :: v_dual_mul_f32 v28, 0xbfb8aa3b, v9
	v_fma_f32 v30, 0xbfb8aa3b, v9, -v28
	v_rndne_f32_e32 v32, v28
	s_delay_alu instid0(VALU_DEP_1) | instskip(NEXT) | instid1(VALU_DEP_3)
	v_sub_f32_e32 v28, v28, v32
	v_fmac_f32_e32 v30, 0xb2a5705f, v9
	v_mul_f32_e32 v29, 0xbfb8aa3b, v27
	v_cmp_nlt_f32_e32 vcc_lo, 0x42ce8ed0, v9
	s_delay_alu instid0(VALU_DEP_3) | instskip(NEXT) | instid1(VALU_DEP_3)
	v_add_f32_e32 v28, v28, v30
	v_fma_f32 v33, 0xbfb8aa3b, v27, -v29
	v_rndne_f32_e32 v36, v29
	v_cvt_i32_f32_e32 v30, v32
	s_delay_alu instid0(VALU_DEP_4) | instskip(NEXT) | instid1(VALU_DEP_2)
	v_exp_f32_e32 v28, v28
	v_sub_f32_e32 v29, v29, v36
	v_cvt_i32_f32_e32 v32, v36
	s_waitcnt_depctr 0xfff
	v_ldexp_f32 v28, v28, v30
	s_delay_alu instid0(VALU_DEP_1) | instskip(NEXT) | instid1(VALU_DEP_1)
	v_dual_fmac_f32 v33, 0xb2a5705f, v27 :: v_dual_cndmask_b32 v28, 0, v28
	v_add_f32_e32 v29, v29, v33
	v_cmp_nlt_f32_e32 vcc_lo, 0x42ce8ed0, v27
	s_delay_alu instid0(VALU_DEP_2) | instskip(SKIP_2) | instid1(VALU_DEP_1)
	v_exp_f32_e32 v29, v29
	s_waitcnt_depctr 0xfff
	v_ldexp_f32 v29, v29, v32
	v_cndmask_b32_e32 v29, 0, v29, vcc_lo
	v_cmp_ngt_f32_e32 vcc_lo, 0xc2b17218, v9
	v_cndmask_b32_e32 v9, 0x7f800000, v28, vcc_lo
	v_cmp_ngt_f32_e32 vcc_lo, 0xc2b17218, v27
	s_delay_alu instid0(VALU_DEP_2) | instskip(NEXT) | instid1(VALU_DEP_1)
	v_add_f32_e32 v9, 1.0, v9
	v_div_scale_f32 v28, null, v9, v9, 1.0
	s_delay_alu instid0(VALU_DEP_1) | instskip(SKIP_2) | instid1(VALU_DEP_1)
	v_rcp_f32_e32 v30, v28
	s_waitcnt_depctr 0xfff
	v_fma_f32 v33, -v28, v30, 1.0
	v_dual_fmac_f32 v30, v33, v30 :: v_dual_cndmask_b32 v27, 0x7f800000, v29
	s_delay_alu instid0(VALU_DEP_1) | instskip(NEXT) | instid1(VALU_DEP_1)
	v_add_f32_e32 v27, 1.0, v27
	v_div_scale_f32 v29, null, v27, v27, 1.0
	v_div_scale_f32 v33, s0, 1.0, v27, 1.0
	s_delay_alu instid0(VALU_DEP_2) | instskip(SKIP_2) | instid1(VALU_DEP_1)
	v_rcp_f32_e32 v32, v29
	s_waitcnt_depctr 0xfff
	v_fma_f32 v36, -v29, v32, 1.0
	v_fmac_f32_e32 v32, v36, v32
	s_delay_alu instid0(VALU_DEP_1) | instskip(NEXT) | instid1(VALU_DEP_1)
	v_mul_f32_e32 v40, v33, v32
	v_fma_f32 v42, -v29, v40, v33
	s_delay_alu instid0(VALU_DEP_1) | instskip(SKIP_1) | instid1(VALU_DEP_2)
	v_fmac_f32_e32 v40, v42, v32
	v_div_scale_f32 v39, vcc_lo, 1.0, v9, 1.0
	v_fma_f32 v29, -v29, v40, v33
	s_delay_alu instid0(VALU_DEP_2) | instskip(NEXT) | instid1(VALU_DEP_1)
	v_mul_f32_e32 v36, v39, v30
	v_fma_f32 v41, -v28, v36, v39
	s_delay_alu instid0(VALU_DEP_1) | instskip(NEXT) | instid1(VALU_DEP_1)
	v_fmac_f32_e32 v36, v41, v30
	v_fma_f32 v28, -v28, v36, v39
	s_delay_alu instid0(VALU_DEP_1) | instskip(SKIP_2) | instid1(VALU_DEP_2)
	v_div_fmas_f32 v28, v28, v30, v36
	s_mov_b32 vcc_lo, s0
	v_div_fmas_f32 v29, v29, v32, v40
	v_div_fixup_f32 v9, v28, v9, 1.0
                                        ; implicit-def: $vgpr28
	s_delay_alu instid0(VALU_DEP_2) | instskip(NEXT) | instid1(VALU_DEP_2)
	v_div_fixup_f32 v10, v29, v27, 1.0
	v_mul_f32_e32 v27, v9, v2
	s_waitcnt vmcnt(0)
	s_delay_alu instid0(VALU_DEP_1) | instskip(NEXT) | instid1(VALU_DEP_1)
	v_fma_mix_f32 v27, v10, v34, v27 op_sel_hi:[0,1,0]
	v_cmp_ngt_f32_e64 s0, 0x3f200000, |v27|
	s_delay_alu instid0(VALU_DEP_1) | instskip(NEXT) | instid1(SALU_CYCLE_1)
	s_and_saveexec_b32 s1, s0
	s_xor_b32 s0, exec_lo, s1
	s_cbranch_execz .LBB11_75
; %bb.74:                               ;   in Loop: Header=BB11_3 Depth=1
	v_add_f32_e64 v28, |v27|, |v27|
	s_delay_alu instid0(VALU_DEP_1) | instskip(SKIP_1) | instid1(VALU_DEP_2)
	v_mul_f32_e32 v29, 0x3fb8aa3b, v28
	v_cmp_ngt_f32_e32 vcc_lo, 0xc2ce8ed0, v28
	v_rndne_f32_e32 v30, v29
	v_fma_f32 v32, 0x3fb8aa3b, v28, -v29
	s_delay_alu instid0(VALU_DEP_1) | instskip(SKIP_1) | instid1(VALU_DEP_2)
	v_dual_sub_f32 v29, v29, v30 :: v_dual_fmac_f32 v32, 0x32a5705f, v28
	v_cvt_i32_f32_e32 v30, v30
	v_add_f32_e32 v29, v29, v32
	s_delay_alu instid0(VALU_DEP_1) | instskip(SKIP_2) | instid1(VALU_DEP_1)
	v_exp_f32_e32 v29, v29
	s_waitcnt_depctr 0xfff
	v_ldexp_f32 v29, v29, v30
	v_cndmask_b32_e32 v29, 0, v29, vcc_lo
	v_cmp_nlt_f32_e32 vcc_lo, 0x42b17218, v28
	s_delay_alu instid0(VALU_DEP_2) | instskip(NEXT) | instid1(VALU_DEP_1)
	v_cndmask_b32_e32 v28, 0x7f800000, v29, vcc_lo
	v_add_f32_e32 v28, 1.0, v28
	s_delay_alu instid0(VALU_DEP_1)
	v_rcp_f32_e32 v28, v28
	s_waitcnt_depctr 0xfff
	v_fma_f32 v28, v28, -2.0, 1.0
.LBB11_75:                              ;   in Loop: Header=BB11_3 Depth=1
	s_and_not1_saveexec_b32 s0, s0
	s_cbranch_execz .LBB11_2
; %bb.76:                               ;   in Loop: Header=BB11_3 Depth=1
	v_mul_f32_e32 v28, v27, v27
	s_delay_alu instid0(VALU_DEP_1) | instskip(NEXT) | instid1(VALU_DEP_1)
	v_fmaak_f32 v29, s80, v28, 0x3ca908c9
	v_fmaak_f32 v29, v28, v29, 0xbd5c1c4e
	s_delay_alu instid0(VALU_DEP_1) | instskip(NEXT) | instid1(VALU_DEP_1)
	v_fmaak_f32 v29, v28, v29, 0x3e088382
	v_fmaak_f32 v29, v28, v29, 0xbeaaaa99
	s_delay_alu instid0(VALU_DEP_1) | instskip(NEXT) | instid1(VALU_DEP_1)
	v_mul_f32_e64 v29, |v27|, v29
	v_fma_f32 v28, v28, v29, |v27|
	s_branch .LBB11_2
.LBB11_77:
	s_nop 0
	s_sendmsg sendmsg(MSG_DEALLOC_VGPRS)
	s_endpgm
	.section	.rodata,"a",@progbits
	.p2align	6, 0x0
	.amdhsa_kernel _ZN2at6native12_GLOBAL__N_16kernel17lstm_cell_forwardIN3c104HalfEflLi2EEEvNS_4cuda6detail10TensorInfoIT_T1_EESB_SB_SB_SB_SB_SB_SB_SA_SA_
		.amdhsa_group_segment_fixed_size 0
		.amdhsa_private_segment_fixed_size 0
		.amdhsa_kernarg_size 3600
		.amdhsa_user_sgpr_count 15
		.amdhsa_user_sgpr_dispatch_ptr 0
		.amdhsa_user_sgpr_queue_ptr 0
		.amdhsa_user_sgpr_kernarg_segment_ptr 1
		.amdhsa_user_sgpr_dispatch_id 0
		.amdhsa_user_sgpr_private_segment_size 0
		.amdhsa_wavefront_size32 1
		.amdhsa_uses_dynamic_stack 0
		.amdhsa_enable_private_segment 0
		.amdhsa_system_sgpr_workgroup_id_x 1
		.amdhsa_system_sgpr_workgroup_id_y 0
		.amdhsa_system_sgpr_workgroup_id_z 0
		.amdhsa_system_sgpr_workgroup_info 0
		.amdhsa_system_vgpr_workitem_id 0
		.amdhsa_next_free_vgpr 55
		.amdhsa_next_free_sgpr 81
		.amdhsa_reserve_vcc 1
		.amdhsa_float_round_mode_32 0
		.amdhsa_float_round_mode_16_64 0
		.amdhsa_float_denorm_mode_32 3
		.amdhsa_float_denorm_mode_16_64 3
		.amdhsa_dx10_clamp 1
		.amdhsa_ieee_mode 1
		.amdhsa_fp16_overflow 0
		.amdhsa_workgroup_processor_mode 1
		.amdhsa_memory_ordered 1
		.amdhsa_forward_progress 0
		.amdhsa_shared_vgpr_count 0
		.amdhsa_exception_fp_ieee_invalid_op 0
		.amdhsa_exception_fp_denorm_src 0
		.amdhsa_exception_fp_ieee_div_zero 0
		.amdhsa_exception_fp_ieee_overflow 0
		.amdhsa_exception_fp_ieee_underflow 0
		.amdhsa_exception_fp_ieee_inexact 0
		.amdhsa_exception_int_div_zero 0
	.end_amdhsa_kernel
	.section	.text._ZN2at6native12_GLOBAL__N_16kernel17lstm_cell_forwardIN3c104HalfEflLi2EEEvNS_4cuda6detail10TensorInfoIT_T1_EESB_SB_SB_SB_SB_SB_SB_SA_SA_,"axG",@progbits,_ZN2at6native12_GLOBAL__N_16kernel17lstm_cell_forwardIN3c104HalfEflLi2EEEvNS_4cuda6detail10TensorInfoIT_T1_EESB_SB_SB_SB_SB_SB_SB_SA_SA_,comdat
.Lfunc_end11:
	.size	_ZN2at6native12_GLOBAL__N_16kernel17lstm_cell_forwardIN3c104HalfEflLi2EEEvNS_4cuda6detail10TensorInfoIT_T1_EESB_SB_SB_SB_SB_SB_SB_SA_SA_, .Lfunc_end11-_ZN2at6native12_GLOBAL__N_16kernel17lstm_cell_forwardIN3c104HalfEflLi2EEEvNS_4cuda6detail10TensorInfoIT_T1_EESB_SB_SB_SB_SB_SB_SB_SA_SA_
                                        ; -- End function
	.section	.AMDGPU.csdata,"",@progbits
; Kernel info:
; codeLenInByte = 21228
; NumSgprs: 83
; NumVgprs: 55
; ScratchSize: 0
; MemoryBound: 0
; FloatMode: 240
; IeeeMode: 1
; LDSByteSize: 0 bytes/workgroup (compile time only)
; SGPRBlocks: 10
; VGPRBlocks: 6
; NumSGPRsForWavesPerEU: 83
; NumVGPRsForWavesPerEU: 55
; Occupancy: 16
; WaveLimiterHint : 1
; COMPUTE_PGM_RSRC2:SCRATCH_EN: 0
; COMPUTE_PGM_RSRC2:USER_SGPR: 15
; COMPUTE_PGM_RSRC2:TRAP_HANDLER: 0
; COMPUTE_PGM_RSRC2:TGID_X_EN: 1
; COMPUTE_PGM_RSRC2:TGID_Y_EN: 0
; COMPUTE_PGM_RSRC2:TGID_Z_EN: 0
; COMPUTE_PGM_RSRC2:TIDIG_COMP_CNT: 0
	.section	.text._ZN2at6native12_GLOBAL__N_16kernel17lstm_cell_forwardIN3c108BFloat16EfiLi1EEEvNS_4cuda6detail10TensorInfoIT_T1_EESB_SB_SB_SB_SB_SB_SB_SA_SA_,"axG",@progbits,_ZN2at6native12_GLOBAL__N_16kernel17lstm_cell_forwardIN3c108BFloat16EfiLi1EEEvNS_4cuda6detail10TensorInfoIT_T1_EESB_SB_SB_SB_SB_SB_SB_SA_SA_,comdat
	.globl	_ZN2at6native12_GLOBAL__N_16kernel17lstm_cell_forwardIN3c108BFloat16EfiLi1EEEvNS_4cuda6detail10TensorInfoIT_T1_EESB_SB_SB_SB_SB_SB_SB_SA_SA_ ; -- Begin function _ZN2at6native12_GLOBAL__N_16kernel17lstm_cell_forwardIN3c108BFloat16EfiLi1EEEvNS_4cuda6detail10TensorInfoIT_T1_EESB_SB_SB_SB_SB_SB_SB_SA_SA_
	.p2align	8
	.type	_ZN2at6native12_GLOBAL__N_16kernel17lstm_cell_forwardIN3c108BFloat16EfiLi1EEEvNS_4cuda6detail10TensorInfoIT_T1_EESB_SB_SB_SB_SB_SB_SB_SA_SA_,@function
_ZN2at6native12_GLOBAL__N_16kernel17lstm_cell_forwardIN3c108BFloat16EfiLi1EEEvNS_4cuda6detail10TensorInfoIT_T1_EESB_SB_SB_SB_SB_SB_SB_SA_SA_: ; @_ZN2at6native12_GLOBAL__N_16kernel17lstm_cell_forwardIN3c108BFloat16EfiLi1EEEvNS_4cuda6detail10TensorInfoIT_T1_EESB_SB_SB_SB_SB_SB_SB_SA_SA_
; %bb.0:
	s_clause 0x1
	s_load_b32 s4, s[0:1], 0x6d4
	s_load_b64 s[2:3], s[0:1], 0x6c0
	s_add_u32 s8, s0, 0x6c8
	s_addc_u32 s9, s1, 0
	s_waitcnt lgkmcnt(0)
	s_and_b32 s28, s4, 0xffff
	s_mov_b32 s4, exec_lo
	v_mad_u64_u32 v[1:2], null, s15, s28, v[0:1]
	s_delay_alu instid0(VALU_DEP_1)
	v_cmpx_gt_i32_e64 s3, v1
	s_cbranch_execz .LBB12_13
; %bb.1:
	s_clause 0x3
	s_load_b64 s[4:5], s[0:1], 0x1b0
	s_load_b32 s20, s[0:1], 0x21c
	s_load_b64 s[6:7], s[0:1], 0x288
	s_load_b32 s21, s[0:1], 0x2f4
	s_load_b32 s29, s[8:9], 0x0
	s_clause 0x9
	s_load_b64 s[8:9], s[0:1], 0x360
	s_load_b32 s31, s[0:1], 0x3cc
	s_load_b64 s[10:11], s[0:1], 0x438
	s_load_b32 s33, s[0:1], 0x4a4
	s_load_b32 s34, s[0:1], 0x57c
	s_load_b64 s[12:13], s[0:1], 0x510
	s_load_b64 s[14:15], s[0:1], 0x0
	s_load_b32 s24, s[0:1], 0x6c
	s_load_b64 s[16:17], s[0:1], 0xd8
	s_load_b32 s25, s[0:1], 0x144
	s_mov_b32 s26, 0
	s_mul_i32 s27, s2, 3
	s_mov_b32 s35, 0xbbbac73d
	s_waitcnt lgkmcnt(0)
	s_cmp_lg_u64 s[4:5], 0
	s_cselect_b32 s22, -1, 0
	s_abs_i32 s23, s2
	v_mul_lo_u32 v4, v1, s33
	v_cvt_f32_u32_e32 v0, s23
	s_sub_i32 s18, 0, s23
	v_mul_lo_u32 v6, v1, s34
	s_mul_i32 s28, s29, s28
	s_ashr_i32 s29, s2, 31
	v_rcp_iflag_f32_e32 v0, v0
	s_sub_i32 s30, 0, s2
	s_mul_i32 s33, s28, s33
	s_mul_i32 s34, s28, s34
	s_waitcnt_depctr 0xfff
	v_mul_f32_e32 v0, 0x4f7ffffe, v0
	s_delay_alu instid0(VALU_DEP_1) | instskip(NEXT) | instid1(VALU_DEP_1)
	v_cvt_u32_f32_e32 v0, v0
	v_mul_lo_u32 v2, s18, v0
	s_clause 0x1
	s_load_b64 s[18:19], s[0:1], 0x5e8
	s_load_b32 s1, s[0:1], 0x654
	s_delay_alu instid0(VALU_DEP_1) | instskip(SKIP_2) | instid1(VALU_DEP_2)
	v_mul_hi_u32 v3, v0, v2
	v_mul_lo_u32 v2, v1, s31
	s_mul_i32 s31, s28, s31
	v_add_nc_u32_e32 v0, v0, v3
	s_branch .LBB12_3
.LBB12_2:                               ;   in Loop: Header=BB12_3 Depth=1
	s_or_b32 exec_lo, exec_lo, s0
	v_lshlrev_b32_e32 v5, 16, v5
	v_lshlrev_b32_e32 v15, 16, v15
	;; [unrolled: 1-line block ×3, first 2 shown]
	s_waitcnt_depctr 0xfff
	v_bfi_b32 v26, 0x7fffffff, v17, v10
	s_waitcnt lgkmcnt(0)
	v_mul_lo_u32 v18, v9, s1
	v_bfe_u32 v9, v10, 16, 1
	v_mul_lo_u32 v20, v7, s1
	v_dual_add_f32 v5, v5, v8 :: v_dual_lshlrev_b32 v8, 16, v14
	v_ashrrev_i32_e32 v7, 31, v6
	v_bfe_u32 v19, v16, 16, 1
	v_bfe_u32 v21, v12, 16, 1
	s_delay_alu instid0(VALU_DEP_4)
	v_add_f32_e32 v5, v5, v15
	v_add_nc_u32_e32 v1, s28, v1
	v_lshlrev_b64 v[24:25], 1, v[6:7]
	v_add3_u32 v27, v16, v19, 0x7fff
	v_add3_u32 v28, v12, v21, 0x7fff
	v_add_f32_e32 v5, v5, v8
	v_ashrrev_i32_e32 v19, 31, v18
	v_ashrrev_i32_e32 v21, 31, v20
	v_lshrrev_b32_e32 v27, 16, v27
	v_lshrrev_b32_e32 v28, 16, v28
	v_mul_f32_e32 v8, 0xbfb8aa3b, v5
	v_cmp_le_i32_e64 s0, s3, v1
	v_add_nc_u32_e32 v6, s34, v6
	s_delay_alu instid0(VALU_DEP_3) | instskip(SKIP_1) | instid1(VALU_DEP_4)
	v_fma_f32 v14, 0xbfb8aa3b, v5, -v8
	v_rndne_f32_e32 v15, v8
	s_or_b32 s26, s0, s26
	s_delay_alu instid0(VALU_DEP_2) | instskip(NEXT) | instid1(VALU_DEP_2)
	v_fmac_f32_e32 v14, 0xb2a5705f, v5
	v_sub_f32_e32 v8, v8, v15
	s_delay_alu instid0(VALU_DEP_1) | instskip(SKIP_3) | instid1(VALU_DEP_4)
	v_add_f32_e32 v8, v8, v14
	v_cvt_i32_f32_e32 v14, v15
	v_cmp_nlt_f32_e32 vcc_lo, 0x42ce8ed0, v5
	v_bfe_u32 v15, v13, 16, 1
	v_exp_f32_e32 v8, v8
	s_delay_alu instid0(VALU_DEP_1) | instskip(NEXT) | instid1(VALU_DEP_1)
	v_add3_u32 v7, v13, v15, 0x7fff
	v_lshrrev_b32_e32 v32, 16, v7
	s_waitcnt_depctr 0xfff
	v_ldexp_f32 v8, v8, v14
	v_mul_lo_u32 v14, v3, s1
	s_delay_alu instid0(VALU_DEP_2) | instskip(SKIP_1) | instid1(VALU_DEP_3)
	v_cndmask_b32_e32 v8, 0, v8, vcc_lo
	v_cmp_ngt_f32_e32 vcc_lo, 0xc2b17218, v5
	v_ashrrev_i32_e32 v15, 31, v14
	s_delay_alu instid0(VALU_DEP_3) | instskip(SKIP_1) | instid1(VALU_DEP_3)
	v_cndmask_b32_e32 v5, 0x7f800000, v8, vcc_lo
	v_mul_lo_u32 v8, v11, s1
	v_lshlrev_b64 v[14:15], 1, v[14:15]
	s_delay_alu instid0(VALU_DEP_3) | instskip(SKIP_1) | instid1(VALU_DEP_2)
	v_add_f32_e32 v11, 1.0, v5
	v_ashrrev_i32_e32 v5, 31, v4
	v_div_scale_f32 v3, null, v11, v11, 1.0
	s_delay_alu instid0(VALU_DEP_2) | instskip(SKIP_2) | instid1(VALU_DEP_4)
	v_lshlrev_b64 v[22:23], 1, v[4:5]
	v_add3_u32 v5, v10, v9, 0x7fff
	v_div_scale_f32 v29, vcc_lo, 1.0, v11, 1.0
	v_rcp_f32_e32 v17, v3
	v_add_nc_u32_e32 v4, s33, v4
	s_delay_alu instid0(VALU_DEP_3) | instskip(SKIP_1) | instid1(VALU_DEP_1)
	v_lshrrev_b32_e32 v5, 16, v5
	v_add_co_u32 v22, s0, s10, v22
	v_add_co_ci_u32_e64 v23, s0, s11, v23, s0
	v_add_co_u32 v24, s0, s12, v24
	s_delay_alu instid0(VALU_DEP_1) | instskip(NEXT) | instid1(TRANS32_DEP_1)
	v_add_co_ci_u32_e64 v25, s0, s13, v25, s0
	v_fma_f32 v9, -v3, v17, 1.0
	s_delay_alu instid0(VALU_DEP_1) | instskip(SKIP_1) | instid1(VALU_DEP_2)
	v_dual_fmac_f32 v17, v9, v17 :: v_dual_add_nc_u32 v2, s31, v2
	v_ashrrev_i32_e32 v9, 31, v8
	v_mul_f32_e32 v30, v29, v17
	s_delay_alu instid0(VALU_DEP_2) | instskip(NEXT) | instid1(VALU_DEP_2)
	v_lshlrev_b64 v[7:8], 1, v[8:9]
	v_fma_f32 v31, -v3, v30, v29
	s_delay_alu instid0(VALU_DEP_1) | instskip(NEXT) | instid1(VALU_DEP_1)
	v_fmac_f32_e32 v30, v31, v17
	v_fma_f32 v3, -v3, v30, v29
	s_delay_alu instid0(VALU_DEP_1) | instskip(SKIP_3) | instid1(VALU_DEP_4)
	v_div_fmas_f32 v3, v3, v17, v30
	v_cmp_o_f32_e32 vcc_lo, v10, v10
	v_lshlrev_b64 v[17:18], 1, v[18:19]
	v_lshlrev_b64 v[19:20], 1, v[20:21]
	v_div_fixup_f32 v3, v3, v11, 1.0
	v_cndmask_b32_e32 v5, 0x7fc0, v5, vcc_lo
	v_cmp_o_f32_e32 vcc_lo, v13, v13
	s_delay_alu instid0(VALU_DEP_3) | instskip(SKIP_3) | instid1(VALU_DEP_4)
	v_mul_f32_e32 v13, v3, v26
	v_bfe_u32 v11, v3, 16, 1
	v_cndmask_b32_e32 v21, 0x7fc0, v32, vcc_lo
	v_cmp_o_f32_e32 vcc_lo, v16, v16
	v_bfe_u32 v9, v13, 16, 1
	v_cndmask_b32_e32 v16, 0x7fc0, v27, vcc_lo
	v_cmp_o_f32_e32 vcc_lo, v12, v12
	s_delay_alu instid0(VALU_DEP_3)
	v_add3_u32 v12, v13, v9, 0x7fff
	v_cndmask_b32_e32 v26, 0x7fc0, v28, vcc_lo
	v_add_co_u32 v7, vcc_lo, s18, v7
	v_add_co_ci_u32_e32 v8, vcc_lo, s19, v8, vcc_lo
	v_add_co_u32 v9, vcc_lo, s18, v14
	v_add_co_ci_u32_e32 v10, vcc_lo, s19, v15, vcc_lo
	v_add3_u32 v14, v3, v11, 0x7fff
	v_add_co_u32 v11, vcc_lo, s18, v17
	v_lshrrev_b32_e32 v15, 16, v12
	v_add_co_ci_u32_e32 v12, vcc_lo, s19, v18, vcc_lo
	v_cmp_o_f32_e32 vcc_lo, v13, v13
	v_lshrrev_b32_e32 v17, 16, v14
	s_delay_alu instid0(VALU_DEP_4)
	v_cndmask_b32_e32 v15, 0x7fc0, v15, vcc_lo
	v_add_co_u32 v13, vcc_lo, s18, v19
	v_add_co_ci_u32_e32 v14, vcc_lo, s19, v20, vcc_lo
	v_cmp_o_f32_e32 vcc_lo, v3, v3
	v_cndmask_b32_e32 v3, 0x7fc0, v17, vcc_lo
	global_store_b16 v[22:23], v15, off
	global_store_b16 v[24:25], v5, off
	s_clause 0x3
	global_store_b16 v[7:8], v21, off
	global_store_b16 v[9:10], v16, off
	;; [unrolled: 1-line block ×4, first 2 shown]
	s_and_not1_b32 exec_lo, exec_lo, s26
	s_cbranch_execz .LBB12_13
.LBB12_3:                               ; =>This Inner Loop Header: Depth=1
	v_sub_nc_u32_e32 v3, 0, v1
	s_delay_alu instid0(VALU_DEP_1) | instskip(NEXT) | instid1(VALU_DEP_1)
	v_max_i32_e32 v3, v1, v3
	v_mul_hi_u32 v5, v3, v0
	s_delay_alu instid0(VALU_DEP_1) | instskip(NEXT) | instid1(VALU_DEP_1)
	v_mul_lo_u32 v7, v5, s23
	v_sub_nc_u32_e32 v3, v3, v7
	v_add_nc_u32_e32 v7, 1, v5
	s_delay_alu instid0(VALU_DEP_2) | instskip(SKIP_1) | instid1(VALU_DEP_3)
	v_subrev_nc_u32_e32 v8, s23, v3
	v_cmp_le_u32_e32 vcc_lo, s23, v3
	v_cndmask_b32_e32 v5, v5, v7, vcc_lo
	s_delay_alu instid0(VALU_DEP_3) | instskip(SKIP_1) | instid1(VALU_DEP_3)
	v_cndmask_b32_e32 v3, v3, v8, vcc_lo
	v_ashrrev_i32_e32 v7, 31, v1
	v_add_nc_u32_e32 v8, 1, v5
	s_delay_alu instid0(VALU_DEP_3) | instskip(NEXT) | instid1(VALU_DEP_3)
	v_cmp_le_u32_e32 vcc_lo, s23, v3
	v_xor_b32_e32 v18, s29, v7
	s_delay_alu instid0(VALU_DEP_3) | instskip(NEXT) | instid1(VALU_DEP_2)
	v_cndmask_b32_e32 v3, v5, v8, vcc_lo
	v_mul_i32_i24_e32 v5, 3, v18
	s_delay_alu instid0(VALU_DEP_2) | instskip(SKIP_1) | instid1(VALU_DEP_2)
	v_xor_b32_e32 v19, v3, v18
	v_ashrrev_i32_e32 v3, 31, v2
	v_lshl_add_u32 v7, v19, 1, v19
	v_sub_nc_u32_e32 v20, v19, v18
	s_delay_alu instid0(VALU_DEP_2) | instskip(NEXT) | instid1(VALU_DEP_2)
	v_sub_nc_u32_e32 v5, v7, v5
	v_mad_u64_u32 v[11:12], null, s27, v20, v[1:2]
	v_lshlrev_b64 v[12:13], 1, v[2:3]
	s_delay_alu instid0(VALU_DEP_3) | instskip(SKIP_4) | instid1(VALU_DEP_4)
	v_mul_lo_u32 v3, s2, v5
	v_add_nc_u32_e32 v7, 2, v5
	v_add_nc_u32_e32 v5, 3, v5
	v_mul_lo_u32 v14, v11, s24
	v_mul_lo_u32 v16, v11, s25
	v_mad_u64_u32 v[9:10], null, s2, v7, v[1:2]
	v_add3_u32 v3, v3, s2, v1
	v_mad_u64_u32 v[7:8], null, s2, v5, v[1:2]
	v_add_co_u32 v23, vcc_lo, s8, v12
	v_ashrrev_i32_e32 v15, 31, v14
	s_delay_alu instid0(VALU_DEP_4)
	v_mul_lo_u32 v12, v3, s24
	v_ashrrev_i32_e32 v17, 31, v16
	v_mul_lo_u32 v21, v9, s24
	v_mul_lo_u32 v25, v7, s24
	v_lshlrev_b64 v[14:15], 1, v[14:15]
	v_add_co_ci_u32_e32 v24, vcc_lo, s9, v13, vcc_lo
	v_lshlrev_b64 v[16:17], 1, v[16:17]
	v_ashrrev_i32_e32 v13, 31, v12
	v_mul_lo_u32 v27, v3, s25
	v_mul_lo_u32 v29, v9, s25
	;; [unrolled: 1-line block ×3, first 2 shown]
	v_ashrrev_i32_e32 v22, 31, v21
	v_add_co_u32 v14, vcc_lo, s14, v14
	v_add_co_ci_u32_e32 v15, vcc_lo, s15, v15, vcc_lo
	v_lshlrev_b64 v[12:13], 1, v[12:13]
	v_ashrrev_i32_e32 v26, 31, v25
	v_add_co_u32 v33, vcc_lo, s16, v16
	v_add_co_ci_u32_e32 v34, vcc_lo, s17, v17, vcc_lo
	v_lshlrev_b64 v[16:17], 1, v[21:22]
	v_ashrrev_i32_e32 v28, 31, v27
	v_ashrrev_i32_e32 v30, 31, v29
	;; [unrolled: 1-line block ×3, first 2 shown]
	v_lshlrev_b64 v[21:22], 1, v[25:26]
	v_add_co_u32 v12, vcc_lo, s14, v12
	v_add_co_ci_u32_e32 v13, vcc_lo, s15, v13, vcc_lo
	v_lshlrev_b64 v[25:26], 1, v[27:28]
	v_lshlrev_b64 v[27:28], 1, v[29:30]
	;; [unrolled: 1-line block ×3, first 2 shown]
	v_add_co_u32 v31, vcc_lo, s14, v16
	v_add_co_ci_u32_e32 v32, vcc_lo, s15, v17, vcc_lo
	v_add_co_u32 v35, vcc_lo, s14, v21
	v_add_co_ci_u32_e32 v36, vcc_lo, s15, v22, vcc_lo
	;; [unrolled: 2-line block ×5, first 2 shown]
	s_clause 0x3
	global_load_u16 v16, v[14:15], off
	global_load_u16 v12, v[12:13], off
	;; [unrolled: 1-line block ×4, first 2 shown]
	s_clause 0x3
	global_load_u16 v17, v[33:34], off
	global_load_u16 v13, v[25:26], off
	;; [unrolled: 1-line block ×5, first 2 shown]
	v_mov_b32_e32 v26, 0
	v_dual_mov_b32 v14, 0 :: v_dual_mov_b32 v27, 0
	v_dual_mov_b32 v23, 0 :: v_dual_mov_b32 v24, 0
	v_dual_mov_b32 v15, 0 :: v_dual_mov_b32 v28, 0
	v_mov_b32_e32 v25, 0
	s_and_not1_b32 vcc_lo, exec_lo, s22
	s_cbranch_vccnz .LBB12_5
; %bb.4:                                ;   in Loop: Header=BB12_3 Depth=1
	v_sub_nc_u32_e32 v18, v18, v19
	v_mad_u64_u32 v[14:15], null, s30, v20, v[1:2]
	s_delay_alu instid0(VALU_DEP_2) | instskip(SKIP_2) | instid1(VALU_DEP_4)
	v_mul_lo_u32 v15, s2, v18
	v_add_nc_u32_e32 v19, 2, v18
	v_add_nc_u32_e32 v20, 3, v18
	v_mul_lo_u32 v18, v14, s20
	v_mul_lo_u32 v14, v14, s21
	s_delay_alu instid0(VALU_DEP_4) | instskip(SKIP_3) | instid1(VALU_DEP_3)
	v_mad_u64_u32 v[23:24], null, s2, v19, v[1:2]
	v_add3_u32 v28, v15, s2, v1
	v_mad_u64_u32 v[24:25], null, s2, v20, v[1:2]
	v_ashrrev_i32_e32 v19, 31, v18
	v_mul_lo_u32 v25, v28, s20
	v_mul_lo_u32 v27, v23, s20
	;; [unrolled: 1-line block ×3, first 2 shown]
	v_ashrrev_i32_e32 v15, 31, v14
	v_mul_lo_u32 v29, v24, s20
	v_lshlrev_b64 v[18:19], 1, v[18:19]
	v_mul_lo_u32 v23, v23, s21
	s_delay_alu instid0(VALU_DEP_4) | instskip(SKIP_4) | instid1(VALU_DEP_4)
	v_lshlrev_b64 v[14:15], 1, v[14:15]
	v_ashrrev_i32_e32 v26, 31, v25
	v_ashrrev_i32_e32 v28, 31, v27
	v_add_co_u32 v18, vcc_lo, s4, v18
	v_ashrrev_i32_e32 v30, 31, v29
	v_lshlrev_b64 v[25:26], 1, v[25:26]
	s_delay_alu instid0(VALU_DEP_4) | instskip(SKIP_1) | instid1(VALU_DEP_4)
	v_lshlrev_b64 v[27:28], 1, v[27:28]
	v_add_co_ci_u32_e32 v19, vcc_lo, s5, v19, vcc_lo
	v_lshlrev_b64 v[29:30], 1, v[29:30]
	v_ashrrev_i32_e32 v32, 31, v31
	v_add_co_u32 v33, vcc_lo, s4, v25
	v_mul_lo_u32 v25, v24, s21
	v_add_co_ci_u32_e32 v34, vcc_lo, s5, v26, vcc_lo
	v_add_co_u32 v27, vcc_lo, s4, v27
	v_add_co_ci_u32_e32 v28, vcc_lo, s5, v28, vcc_lo
	v_add_co_u32 v29, vcc_lo, s4, v29
	v_ashrrev_i32_e32 v24, 31, v23
	v_add_co_ci_u32_e32 v30, vcc_lo, s5, v30, vcc_lo
	v_lshlrev_b64 v[31:32], 1, v[31:32]
	v_add_co_u32 v35, vcc_lo, s6, v14
	v_ashrrev_i32_e32 v26, 31, v25
	v_add_co_ci_u32_e32 v36, vcc_lo, s7, v15, vcc_lo
	v_lshlrev_b64 v[14:15], 1, v[23:24]
	v_add_co_u32 v31, vcc_lo, s6, v31
	s_delay_alu instid0(VALU_DEP_4) | instskip(SKIP_1) | instid1(VALU_DEP_4)
	v_lshlrev_b64 v[23:24], 1, v[25:26]
	v_add_co_ci_u32_e32 v32, vcc_lo, s7, v32, vcc_lo
	v_add_co_u32 v37, vcc_lo, s6, v14
	v_add_co_ci_u32_e32 v38, vcc_lo, s7, v15, vcc_lo
	s_delay_alu instid0(VALU_DEP_4)
	v_add_co_u32 v39, vcc_lo, s6, v23
	v_add_co_ci_u32_e32 v40, vcc_lo, s7, v24, vcc_lo
	s_clause 0x3
	global_load_u16 v26, v[18:19], off
	global_load_u16 v25, v[33:34], off
	;; [unrolled: 1-line block ×4, first 2 shown]
	s_clause 0x3
	global_load_u16 v24, v[35:36], off
	global_load_u16 v23, v[31:32], off
	;; [unrolled: 1-line block ×4, first 2 shown]
.LBB12_5:                               ;   in Loop: Header=BB12_3 Depth=1
	s_waitcnt vmcnt(6)
	v_lshlrev_b32_e32 v18, 16, v21
	s_waitcnt vmcnt(5)
	v_lshlrev_b32_e32 v20, 16, v28
	;; [unrolled: 2-line block ×3, first 2 shown]
	s_delay_alu instid0(VALU_DEP_1) | instskip(SKIP_1) | instid1(VALU_DEP_1)
	v_add_f32_e32 v18, v18, v19
	s_waitcnt vmcnt(1)
	v_dual_add_f32 v18, v18, v20 :: v_dual_lshlrev_b32 v19, 16, v27
	s_delay_alu instid0(VALU_DEP_1) | instskip(NEXT) | instid1(VALU_DEP_1)
	v_add_f32_e32 v18, v18, v19
                                        ; implicit-def: $vgpr19
	v_cmp_ngt_f32_e64 s0, 0x3f200000, |v18|
	s_delay_alu instid0(VALU_DEP_1) | instskip(NEXT) | instid1(SALU_CYCLE_1)
	s_and_saveexec_b32 s36, s0
	s_xor_b32 s0, exec_lo, s36
	s_cbranch_execz .LBB12_7
; %bb.6:                                ;   in Loop: Header=BB12_3 Depth=1
	v_add_f32_e64 v19, |v18|, |v18|
	s_delay_alu instid0(VALU_DEP_1) | instskip(SKIP_1) | instid1(VALU_DEP_2)
	v_mul_f32_e32 v20, 0x3fb8aa3b, v19
	v_cmp_ngt_f32_e32 vcc_lo, 0xc2ce8ed0, v19
	v_rndne_f32_e32 v21, v20
	v_fma_f32 v22, 0x3fb8aa3b, v19, -v20
	s_delay_alu instid0(VALU_DEP_2) | instskip(NEXT) | instid1(VALU_DEP_2)
	v_sub_f32_e32 v20, v20, v21
	v_fmac_f32_e32 v22, 0x32a5705f, v19
	v_cvt_i32_f32_e32 v21, v21
	s_delay_alu instid0(VALU_DEP_2) | instskip(NEXT) | instid1(VALU_DEP_1)
	v_add_f32_e32 v20, v20, v22
	v_exp_f32_e32 v20, v20
	s_waitcnt_depctr 0xfff
	v_ldexp_f32 v20, v20, v21
	s_delay_alu instid0(VALU_DEP_1) | instskip(SKIP_1) | instid1(VALU_DEP_2)
	v_cndmask_b32_e32 v20, 0, v20, vcc_lo
	v_cmp_nlt_f32_e32 vcc_lo, 0x42b17218, v19
	v_cndmask_b32_e32 v19, 0x7f800000, v20, vcc_lo
	s_delay_alu instid0(VALU_DEP_1) | instskip(NEXT) | instid1(VALU_DEP_1)
	v_add_f32_e32 v19, 1.0, v19
	v_rcp_f32_e32 v19, v19
	s_waitcnt_depctr 0xfff
	v_fma_f32 v19, v19, -2.0, 1.0
.LBB12_7:                               ;   in Loop: Header=BB12_3 Depth=1
	s_and_not1_saveexec_b32 s0, s0
; %bb.8:                                ;   in Loop: Header=BB12_3 Depth=1
	v_mul_f32_e32 v19, v18, v18
	s_delay_alu instid0(VALU_DEP_1) | instskip(NEXT) | instid1(VALU_DEP_1)
	v_fmaak_f32 v20, s35, v19, 0x3ca908c9
	v_fmaak_f32 v20, v19, v20, 0xbd5c1c4e
	s_delay_alu instid0(VALU_DEP_1) | instskip(NEXT) | instid1(VALU_DEP_1)
	v_fmaak_f32 v20, v19, v20, 0x3e088382
	v_fmaak_f32 v20, v19, v20, 0xbeaaaa99
	s_delay_alu instid0(VALU_DEP_1) | instskip(NEXT) | instid1(VALU_DEP_1)
	v_mul_f32_e64 v20, |v18|, v20
	v_fma_f32 v19, v19, v20, |v18|
; %bb.9:                                ;   in Loop: Header=BB12_3 Depth=1
	s_or_b32 exec_lo, exec_lo, s0
	v_lshlrev_b32_e32 v16, 16, v16
	v_lshlrev_b32_e32 v20, 16, v26
	;; [unrolled: 1-line block ×3, first 2 shown]
	s_delay_alu instid0(VALU_DEP_1) | instskip(NEXT) | instid1(VALU_DEP_1)
	v_add_f32_e32 v16, v16, v17
	v_dual_add_f32 v16, v16, v20 :: v_dual_lshlrev_b32 v17, 16, v25
	v_lshlrev_b32_e32 v12, 16, v12
	v_lshlrev_b32_e32 v20, 16, v23
	;; [unrolled: 1-line block ×3, first 2 shown]
	s_delay_alu instid0(VALU_DEP_1) | instskip(NEXT) | instid1(VALU_DEP_1)
	v_dual_add_f32 v12, v12, v13 :: v_dual_lshlrev_b32 v13, 16, v24
	v_add_f32_e32 v12, v12, v17
	s_delay_alu instid0(VALU_DEP_2) | instskip(NEXT) | instid1(VALU_DEP_2)
	v_add_f32_e32 v13, v16, v13
	v_add_f32_e32 v12, v12, v20
	s_delay_alu instid0(VALU_DEP_2) | instskip(SKIP_1) | instid1(VALU_DEP_3)
	v_mul_f32_e32 v16, 0xbfb8aa3b, v13
	v_cmp_nlt_f32_e32 vcc_lo, 0x42ce8ed0, v13
	v_mul_f32_e32 v17, 0xbfb8aa3b, v12
	s_delay_alu instid0(VALU_DEP_3) | instskip(SKIP_1) | instid1(VALU_DEP_3)
	v_fma_f32 v20, 0xbfb8aa3b, v13, -v16
	v_rndne_f32_e32 v21, v16
	v_fma_f32 v22, 0xbfb8aa3b, v12, -v17
	v_rndne_f32_e32 v23, v17
	s_delay_alu instid0(VALU_DEP_4) | instskip(NEXT) | instid1(VALU_DEP_4)
	v_fmac_f32_e32 v20, 0xb2a5705f, v13
	v_sub_f32_e32 v16, v16, v21
	s_delay_alu instid0(VALU_DEP_3) | instskip(NEXT) | instid1(VALU_DEP_2)
	v_dual_fmac_f32 v22, 0xb2a5705f, v12 :: v_dual_sub_f32 v17, v17, v23
	v_add_f32_e32 v16, v16, v20
	v_cvt_i32_f32_e32 v20, v21
	v_cvt_i32_f32_e32 v21, v23
	s_delay_alu instid0(VALU_DEP_4) | instskip(NEXT) | instid1(VALU_DEP_4)
	v_add_f32_e32 v17, v17, v22
	v_exp_f32_e32 v16, v16
	s_delay_alu instid0(VALU_DEP_1) | instskip(SKIP_3) | instid1(VALU_DEP_2)
	v_exp_f32_e32 v17, v17
	s_waitcnt_depctr 0xfff
	v_ldexp_f32 v16, v16, v20
	v_ldexp_f32 v17, v17, v21
	v_cndmask_b32_e32 v16, 0, v16, vcc_lo
	v_cmp_nlt_f32_e32 vcc_lo, 0x42ce8ed0, v12
	s_delay_alu instid0(VALU_DEP_3) | instskip(SKIP_1) | instid1(VALU_DEP_4)
	v_cndmask_b32_e32 v17, 0, v17, vcc_lo
	v_cmp_ngt_f32_e32 vcc_lo, 0xc2b17218, v13
	v_cndmask_b32_e32 v13, 0x7f800000, v16, vcc_lo
	v_cmp_ngt_f32_e32 vcc_lo, 0xc2b17218, v12
	s_delay_alu instid0(VALU_DEP_2) | instskip(SKIP_1) | instid1(VALU_DEP_2)
	v_add_f32_e32 v13, 1.0, v13
	v_cndmask_b32_e32 v12, 0x7f800000, v17, vcc_lo
	v_div_scale_f32 v24, vcc_lo, 1.0, v13, 1.0
	s_delay_alu instid0(VALU_DEP_2) | instskip(SKIP_1) | instid1(VALU_DEP_2)
	v_add_f32_e32 v16, 1.0, v12
	v_div_scale_f32 v12, null, v13, v13, 1.0
	v_div_scale_f32 v17, null, v16, v16, 1.0
	s_delay_alu instid0(VALU_DEP_2) | instskip(NEXT) | instid1(VALU_DEP_1)
	v_rcp_f32_e32 v20, v12
	v_rcp_f32_e32 v21, v17
	s_waitcnt_depctr 0xfff
	v_fma_f32 v22, -v12, v20, 1.0
	v_fma_f32 v23, -v17, v21, 1.0
	s_delay_alu instid0(VALU_DEP_1) | instskip(SKIP_1) | instid1(VALU_DEP_1)
	v_dual_fmac_f32 v21, v23, v21 :: v_dual_fmac_f32 v20, v22, v20
	v_div_scale_f32 v22, s0, 1.0, v16, 1.0
	v_mul_f32_e32 v25, v22, v21
	s_delay_alu instid0(VALU_DEP_1) | instskip(NEXT) | instid1(VALU_DEP_1)
	v_fma_f32 v27, -v17, v25, v22
	v_fmac_f32_e32 v25, v27, v21
	v_mul_f32_e32 v23, v24, v20
	s_delay_alu instid0(VALU_DEP_2) | instskip(NEXT) | instid1(VALU_DEP_2)
	v_fma_f32 v17, -v17, v25, v22
	v_fma_f32 v26, -v12, v23, v24
	s_delay_alu instid0(VALU_DEP_1) | instskip(NEXT) | instid1(VALU_DEP_1)
	v_fmac_f32_e32 v23, v26, v20
	v_fma_f32 v12, -v12, v23, v24
	s_delay_alu instid0(VALU_DEP_1) | instskip(SKIP_2) | instid1(VALU_DEP_2)
	v_div_fmas_f32 v12, v12, v20, v23
	s_mov_b32 vcc_lo, s0
	v_div_fmas_f32 v17, v17, v21, v25
	v_div_fixup_f32 v13, v12, v13, 1.0
	v_bfi_b32 v12, 0x7fffffff, v19, v18
	s_delay_alu instid0(VALU_DEP_3) | instskip(SKIP_1) | instid1(VALU_DEP_2)
	v_div_fixup_f32 v16, v17, v16, 1.0
	s_waitcnt vmcnt(0)
	v_dual_mul_f32 v10, v13, v12 :: v_dual_lshlrev_b32 v17, 16, v10
	s_delay_alu instid0(VALU_DEP_1) | instskip(NEXT) | instid1(VALU_DEP_1)
	v_fmac_f32_e32 v10, v16, v17
                                        ; implicit-def: $vgpr17
	v_cmp_ngt_f32_e64 s0, 0x3f200000, |v10|
	s_delay_alu instid0(VALU_DEP_1) | instskip(NEXT) | instid1(SALU_CYCLE_1)
	s_and_saveexec_b32 s36, s0
	s_xor_b32 s0, exec_lo, s36
	s_cbranch_execz .LBB12_11
; %bb.10:                               ;   in Loop: Header=BB12_3 Depth=1
	v_add_f32_e64 v17, |v10|, |v10|
	s_delay_alu instid0(VALU_DEP_1) | instskip(SKIP_1) | instid1(VALU_DEP_2)
	v_mul_f32_e32 v18, 0x3fb8aa3b, v17
	v_cmp_ngt_f32_e32 vcc_lo, 0xc2ce8ed0, v17
	v_rndne_f32_e32 v19, v18
	v_fma_f32 v20, 0x3fb8aa3b, v17, -v18
	s_delay_alu instid0(VALU_DEP_2) | instskip(NEXT) | instid1(VALU_DEP_2)
	v_sub_f32_e32 v18, v18, v19
	v_fmac_f32_e32 v20, 0x32a5705f, v17
	v_cvt_i32_f32_e32 v19, v19
	s_delay_alu instid0(VALU_DEP_2) | instskip(NEXT) | instid1(VALU_DEP_1)
	v_add_f32_e32 v18, v18, v20
	v_exp_f32_e32 v18, v18
	s_waitcnt_depctr 0xfff
	v_ldexp_f32 v18, v18, v19
	s_delay_alu instid0(VALU_DEP_1) | instskip(SKIP_1) | instid1(VALU_DEP_2)
	v_cndmask_b32_e32 v18, 0, v18, vcc_lo
	v_cmp_nlt_f32_e32 vcc_lo, 0x42b17218, v17
	v_cndmask_b32_e32 v17, 0x7f800000, v18, vcc_lo
	s_delay_alu instid0(VALU_DEP_1) | instskip(NEXT) | instid1(VALU_DEP_1)
	v_add_f32_e32 v17, 1.0, v17
	v_rcp_f32_e32 v17, v17
	s_waitcnt_depctr 0xfff
	v_fma_f32 v17, v17, -2.0, 1.0
.LBB12_11:                              ;   in Loop: Header=BB12_3 Depth=1
	s_and_not1_saveexec_b32 s0, s0
	s_cbranch_execz .LBB12_2
; %bb.12:                               ;   in Loop: Header=BB12_3 Depth=1
	v_mul_f32_e32 v17, v10, v10
	s_delay_alu instid0(VALU_DEP_1) | instskip(NEXT) | instid1(VALU_DEP_1)
	v_fmaak_f32 v18, s35, v17, 0x3ca908c9
	v_fmaak_f32 v18, v17, v18, 0xbd5c1c4e
	s_delay_alu instid0(VALU_DEP_1) | instskip(NEXT) | instid1(VALU_DEP_1)
	v_fmaak_f32 v18, v17, v18, 0x3e088382
	v_fmaak_f32 v18, v17, v18, 0xbeaaaa99
	s_delay_alu instid0(VALU_DEP_1) | instskip(NEXT) | instid1(VALU_DEP_1)
	v_mul_f32_e64 v18, |v10|, v18
	v_fma_f32 v17, v17, v18, |v10|
	s_branch .LBB12_2
.LBB12_13:
	s_nop 0
	s_sendmsg sendmsg(MSG_DEALLOC_VGPRS)
	s_endpgm
	.section	.rodata,"a",@progbits
	.p2align	6, 0x0
	.amdhsa_kernel _ZN2at6native12_GLOBAL__N_16kernel17lstm_cell_forwardIN3c108BFloat16EfiLi1EEEvNS_4cuda6detail10TensorInfoIT_T1_EESB_SB_SB_SB_SB_SB_SB_SA_SA_
		.amdhsa_group_segment_fixed_size 0
		.amdhsa_private_segment_fixed_size 0
		.amdhsa_kernarg_size 1992
		.amdhsa_user_sgpr_count 15
		.amdhsa_user_sgpr_dispatch_ptr 0
		.amdhsa_user_sgpr_queue_ptr 0
		.amdhsa_user_sgpr_kernarg_segment_ptr 1
		.amdhsa_user_sgpr_dispatch_id 0
		.amdhsa_user_sgpr_private_segment_size 0
		.amdhsa_wavefront_size32 1
		.amdhsa_uses_dynamic_stack 0
		.amdhsa_enable_private_segment 0
		.amdhsa_system_sgpr_workgroup_id_x 1
		.amdhsa_system_sgpr_workgroup_id_y 0
		.amdhsa_system_sgpr_workgroup_id_z 0
		.amdhsa_system_sgpr_workgroup_info 0
		.amdhsa_system_vgpr_workitem_id 0
		.amdhsa_next_free_vgpr 41
		.amdhsa_next_free_sgpr 37
		.amdhsa_reserve_vcc 1
		.amdhsa_float_round_mode_32 0
		.amdhsa_float_round_mode_16_64 0
		.amdhsa_float_denorm_mode_32 3
		.amdhsa_float_denorm_mode_16_64 3
		.amdhsa_dx10_clamp 1
		.amdhsa_ieee_mode 1
		.amdhsa_fp16_overflow 0
		.amdhsa_workgroup_processor_mode 1
		.amdhsa_memory_ordered 1
		.amdhsa_forward_progress 0
		.amdhsa_shared_vgpr_count 0
		.amdhsa_exception_fp_ieee_invalid_op 0
		.amdhsa_exception_fp_denorm_src 0
		.amdhsa_exception_fp_ieee_div_zero 0
		.amdhsa_exception_fp_ieee_overflow 0
		.amdhsa_exception_fp_ieee_underflow 0
		.amdhsa_exception_fp_ieee_inexact 0
		.amdhsa_exception_int_div_zero 0
	.end_amdhsa_kernel
	.section	.text._ZN2at6native12_GLOBAL__N_16kernel17lstm_cell_forwardIN3c108BFloat16EfiLi1EEEvNS_4cuda6detail10TensorInfoIT_T1_EESB_SB_SB_SB_SB_SB_SB_SA_SA_,"axG",@progbits,_ZN2at6native12_GLOBAL__N_16kernel17lstm_cell_forwardIN3c108BFloat16EfiLi1EEEvNS_4cuda6detail10TensorInfoIT_T1_EESB_SB_SB_SB_SB_SB_SB_SA_SA_,comdat
.Lfunc_end12:
	.size	_ZN2at6native12_GLOBAL__N_16kernel17lstm_cell_forwardIN3c108BFloat16EfiLi1EEEvNS_4cuda6detail10TensorInfoIT_T1_EESB_SB_SB_SB_SB_SB_SB_SA_SA_, .Lfunc_end12-_ZN2at6native12_GLOBAL__N_16kernel17lstm_cell_forwardIN3c108BFloat16EfiLi1EEEvNS_4cuda6detail10TensorInfoIT_T1_EESB_SB_SB_SB_SB_SB_SB_SA_SA_
                                        ; -- End function
	.section	.AMDGPU.csdata,"",@progbits
; Kernel info:
; codeLenInByte = 3160
; NumSgprs: 39
; NumVgprs: 41
; ScratchSize: 0
; MemoryBound: 0
; FloatMode: 240
; IeeeMode: 1
; LDSByteSize: 0 bytes/workgroup (compile time only)
; SGPRBlocks: 4
; VGPRBlocks: 5
; NumSGPRsForWavesPerEU: 39
; NumVGPRsForWavesPerEU: 41
; Occupancy: 16
; WaveLimiterHint : 1
; COMPUTE_PGM_RSRC2:SCRATCH_EN: 0
; COMPUTE_PGM_RSRC2:USER_SGPR: 15
; COMPUTE_PGM_RSRC2:TRAP_HANDLER: 0
; COMPUTE_PGM_RSRC2:TGID_X_EN: 1
; COMPUTE_PGM_RSRC2:TGID_Y_EN: 0
; COMPUTE_PGM_RSRC2:TGID_Z_EN: 0
; COMPUTE_PGM_RSRC2:TIDIG_COMP_CNT: 0
	.section	.text._ZN2at6native12_GLOBAL__N_16kernel17lstm_cell_forwardIN3c108BFloat16EfiLi2EEEvNS_4cuda6detail10TensorInfoIT_T1_EESB_SB_SB_SB_SB_SB_SB_SA_SA_,"axG",@progbits,_ZN2at6native12_GLOBAL__N_16kernel17lstm_cell_forwardIN3c108BFloat16EfiLi2EEEvNS_4cuda6detail10TensorInfoIT_T1_EESB_SB_SB_SB_SB_SB_SB_SA_SA_,comdat
	.globl	_ZN2at6native12_GLOBAL__N_16kernel17lstm_cell_forwardIN3c108BFloat16EfiLi2EEEvNS_4cuda6detail10TensorInfoIT_T1_EESB_SB_SB_SB_SB_SB_SB_SA_SA_ ; -- Begin function _ZN2at6native12_GLOBAL__N_16kernel17lstm_cell_forwardIN3c108BFloat16EfiLi2EEEvNS_4cuda6detail10TensorInfoIT_T1_EESB_SB_SB_SB_SB_SB_SB_SA_SA_
	.p2align	8
	.type	_ZN2at6native12_GLOBAL__N_16kernel17lstm_cell_forwardIN3c108BFloat16EfiLi2EEEvNS_4cuda6detail10TensorInfoIT_T1_EESB_SB_SB_SB_SB_SB_SB_SA_SA_,@function
_ZN2at6native12_GLOBAL__N_16kernel17lstm_cell_forwardIN3c108BFloat16EfiLi2EEEvNS_4cuda6detail10TensorInfoIT_T1_EESB_SB_SB_SB_SB_SB_SB_SA_SA_: ; @_ZN2at6native12_GLOBAL__N_16kernel17lstm_cell_forwardIN3c108BFloat16EfiLi2EEEvNS_4cuda6detail10TensorInfoIT_T1_EESB_SB_SB_SB_SB_SB_SB_SA_SA_
; %bb.0:
	s_clause 0x1
	s_load_b32 s6, s[0:1], 0x6d4
	s_load_b64 s[4:5], s[0:1], 0x6c0
	s_add_u32 s2, s0, 0x6c8
	s_addc_u32 s3, s1, 0
	s_waitcnt lgkmcnt(0)
	s_and_b32 s44, s6, 0xffff
	s_mov_b32 s6, exec_lo
	v_mad_u64_u32 v[1:2], null, s15, s44, v[0:1]
	s_delay_alu instid0(VALU_DEP_1)
	v_cmpx_gt_i32_e64 s5, v1
	s_cbranch_execz .LBB13_13
; %bb.1:
	s_clause 0x9
	s_load_b64 s[6:7], s[0:1], 0x1b0
	s_load_b32 s33, s[0:1], 0xe4
	s_load_b64 s[8:9], s[0:1], 0x144
	s_load_b64 s[10:11], s[0:1], 0x0
	s_load_b32 s36, s[0:1], 0xc
	s_load_b32 s37, s[0:1], 0x21c
	s_load_b64 s[12:13], s[0:1], 0x288
	s_load_b32 s38, s[0:1], 0x2f4
	s_load_b64 s[14:15], s[0:1], 0x360
	s_load_b32 s59, s[0:1], 0x36c
	s_load_b32 s2, s[2:3], 0x0
	s_clause 0xb
	s_load_b64 s[16:17], s[0:1], 0x3cc
	s_load_b64 s[18:19], s[0:1], 0x438
	s_load_b32 s3, s[0:1], 0x444
	s_load_b32 s39, s[0:1], 0x5f4
	s_load_b64 s[20:21], s[0:1], 0x510
	s_load_b32 s61, s[0:1], 0x51c
	s_load_b64 s[22:23], s[0:1], 0x6c
	s_load_b64 s[24:25], s[0:1], 0xd8
	;; [unrolled: 1-line block ×6, first 2 shown]
	s_waitcnt lgkmcnt(0)
	s_cmp_lg_u64 s[6:7], 0
	s_mov_b32 s42, 0
	s_cselect_b32 s40, -1, 0
	s_abs_i32 s41, s4
	s_abs_i32 s46, s33
	v_cvt_f32_u32_e32 v0, s41
	v_cvt_f32_u32_e32 v3, s46
	s_abs_i32 s43, s36
	s_sub_i32 s0, 0, s41
	v_cvt_f32_u32_e32 v2, s43
	v_rcp_iflag_f32_e32 v0, v0
	v_rcp_iflag_f32_e32 v3, v3
	s_abs_i32 s48, s59
	s_abs_i32 s49, s3
	v_rcp_iflag_f32_e32 v2, v2
	v_cvt_f32_u32_e32 v5, s48
	s_abs_i32 s47, s39
	s_abs_i32 s50, s61
	v_cvt_f32_u32_e32 v4, s47
	v_cvt_f32_u32_e32 v8, s50
	s_waitcnt_depctr 0xfff
	v_dual_mul_f32 v0, 0x4f7ffffe, v0 :: v_dual_mul_f32 v3, 0x4f7ffffe, v3
	v_rcp_iflag_f32_e32 v5, v5
	v_rcp_iflag_f32_e32 v4, v4
	v_mul_f32_e32 v2, 0x4f7ffffe, v2
	s_delay_alu instid0(VALU_DEP_2)
	v_cvt_u32_f32_e32 v0, v0
	v_cvt_u32_f32_e32 v3, v3
	v_rcp_iflag_f32_e32 v8, v8
	v_cvt_f32_u32_e32 v6, s49
	s_sub_i32 s1, 0, s47
	v_mul_lo_u32 v7, s0, v0
	s_sub_i32 s0, 0, s43
	v_mul_f32_e32 v5, 0x4f7ffffe, v5
	v_cvt_u32_f32_e32 v2, v2
	v_rcp_iflag_f32_e32 v6, v6
	s_mul_i32 s44, s2, s44
	s_ashr_i32 s45, s4, 31
	v_cvt_u32_f32_e32 v11, v5
	v_mul_hi_u32 v7, v0, v7
	v_mul_lo_u32 v9, s0, v2
	s_sub_i32 s0, 0, s46
	s_ashr_i32 s51, s36, 31
	s_ashr_i32 s52, s33, 31
	;; [unrolled: 1-line block ×5, first 2 shown]
	v_add_nc_u32_e32 v0, v0, v7
	v_mul_lo_u32 v7, s0, v3
	s_sub_i32 s0, 0, s48
	s_ashr_i32 s56, s61, 31
	v_mul_lo_u32 v5, s0, v11
	s_sub_i32 s0, 0, s50
	s_mul_i32 s57, s4, 3
	s_sub_i32 s58, 0, s4
	s_sub_i32 s59, 0, s59
	v_mul_hi_u32 v7, v3, v7
	v_mul_f32_e32 v4, 0x4f7ffffe, v4
	s_sub_i32 s60, 0, s3
	s_sub_i32 s61, 0, s61
	s_mov_b32 s62, 0xbbbac73d
	s_delay_alu instid0(VALU_DEP_1) | instskip(SKIP_1) | instid1(VALU_DEP_2)
	v_cvt_u32_f32_e32 v10, v4
	v_mul_hi_u32 v4, v2, v9
	v_mul_lo_u32 v9, s1, v10
	s_sub_i32 s1, 0, s49
	s_delay_alu instid0(VALU_DEP_2) | instskip(SKIP_2) | instid1(VALU_DEP_4)
	v_add_nc_u32_e32 v4, v2, v4
	v_mul_hi_u32 v2, v11, v5
	v_dual_mul_f32 v8, 0x4f7ffffe, v8 :: v_dual_add_nc_u32 v5, v3, v7
	v_mul_hi_u32 v9, v10, v9
	s_delay_alu instid0(VALU_DEP_3) | instskip(NEXT) | instid1(VALU_DEP_3)
	v_add_nc_u32_e32 v7, v11, v2
	v_cvt_u32_f32_e32 v13, v8
	s_delay_alu instid0(VALU_DEP_1) | instskip(NEXT) | instid1(VALU_DEP_1)
	v_mul_lo_u32 v8, s0, v13
	v_mul_hi_u32 v3, v13, v8
	v_mul_f32_e32 v6, 0x4f7ffffe, v6
	s_delay_alu instid0(VALU_DEP_1) | instskip(NEXT) | instid1(VALU_DEP_1)
	v_cvt_u32_f32_e32 v12, v6
	v_mul_lo_u32 v6, s1, v12
	s_delay_alu instid0(VALU_DEP_1) | instskip(SKIP_2) | instid1(VALU_DEP_3)
	v_mul_hi_u32 v14, v12, v6
	v_add_nc_u32_e32 v6, v10, v9
	v_add_nc_u32_e32 v9, v13, v3
	;; [unrolled: 1-line block ×3, first 2 shown]
	s_branch .LBB13_3
.LBB13_2:                               ;   in Loop: Header=BB13_3 Depth=1
	s_or_b32 exec_lo, exec_lo, s0
	v_lshlrev_b32_e32 v25, 16, v25
	v_lshlrev_b32_e32 v27, 16, v27
	;; [unrolled: 1-line block ×3, first 2 shown]
	v_mul_hi_u32 v31, v17, v6
	v_xor_b32_e32 v21, s53, v21
	v_xor_b32_e32 v19, s53, v19
	v_add_f32_e32 v25, v25, v27
	v_lshlrev_b32_e32 v27, 16, v30
	v_mul_hi_u32 v30, v14, v6
	v_mul_hi_u32 v33, v11, v8
	v_xor_b32_e32 v18, s53, v18
	v_mul_lo_u32 v42, v31, s47
	v_xor_b32_e32 v20, s53, v20
	v_mul_hi_u32 v35, v11, v9
	v_xor_b32_e32 v32, s55, v10
	v_mul_lo_u32 v36, v30, s47
	v_add_nc_u32_e32 v37, 1, v30
	v_mul_lo_u32 v46, v33, s49
	v_sub_nc_u32_e32 v17, v17, v42
	s_delay_alu instid0(VALU_DEP_4) | instskip(NEXT) | instid1(VALU_DEP_2)
	v_sub_nc_u32_e32 v14, v14, v36
	v_cmp_le_u32_e64 s1, s47, v17
	s_delay_alu instid0(VALU_DEP_4) | instskip(NEXT) | instid1(VALU_DEP_3)
	v_sub_nc_u32_e32 v36, v11, v46
	v_cmp_le_u32_e32 vcc_lo, s47, v14
	v_cndmask_b32_e32 v30, v30, v37, vcc_lo
	v_add_f32_e32 v25, v25, v29
	v_mul_hi_u32 v29, v15, v6
	s_delay_alu instid0(VALU_DEP_1) | instskip(NEXT) | instid1(VALU_DEP_1)
	v_mul_lo_u32 v38, v29, s47
	v_sub_nc_u32_e32 v15, v15, v38
	v_subrev_nc_u32_e32 v38, s47, v14
	s_delay_alu instid0(VALU_DEP_2) | instskip(NEXT) | instid1(VALU_DEP_2)
	v_cmp_le_u32_e64 s0, s47, v15
	v_dual_cndmask_b32 v14, v14, v38 :: v_dual_add_f32 v25, v25, v27
	v_mul_hi_u32 v27, v16, v6
	s_delay_alu instid0(VALU_DEP_2) | instskip(NEXT) | instid1(VALU_DEP_3)
	v_cmp_le_u32_e32 vcc_lo, s47, v14
	v_mul_f32_e32 v34, 0xbfb8aa3b, v25
	v_cmp_nlt_f32_e64 s2, 0x42ce8ed0, v25
	v_cmp_ngt_f32_e64 s3, 0xc2b17218, v25
	v_mul_lo_u32 v44, v27, s47
	s_delay_alu instid0(VALU_DEP_4) | instskip(SKIP_2) | instid1(VALU_DEP_2)
	v_fma_f32 v39, 0xbfb8aa3b, v25, -v34
	v_rndne_f32_e32 v40, v34
	v_add_nc_u32_e32 v45, 1, v27
	v_dual_fmac_f32 v39, 0xb2a5705f, v25 :: v_dual_sub_f32 v34, v34, v40
	v_cvt_i32_f32_e32 v37, v40
	v_sub_nc_u32_e32 v16, v16, v44
	v_subrev_nc_u32_e32 v40, s47, v15
	s_delay_alu instid0(VALU_DEP_4) | instskip(SKIP_1) | instid1(VALU_DEP_3)
	v_add_f32_e32 v34, v34, v39
	v_mul_lo_u32 v39, v35, s50
	v_cndmask_b32_e64 v15, v15, v40, s0
	s_delay_alu instid0(VALU_DEP_3) | instskip(NEXT) | instid1(VALU_DEP_2)
	v_exp_f32_e32 v34, v34
	v_sub_nc_u32_e32 v11, v11, v39
	s_waitcnt_depctr 0xfff
	v_ldexp_f32 v34, v34, v37
	v_subrev_nc_u32_e32 v37, s47, v17
	s_delay_alu instid0(VALU_DEP_2) | instskip(SKIP_1) | instid1(VALU_DEP_3)
	v_cndmask_b32_e64 v34, 0, v34, s2
	v_cmp_le_u32_e64 s2, s47, v16
	v_cndmask_b32_e64 v17, v17, v37, s1
	s_delay_alu instid0(VALU_DEP_3) | instskip(SKIP_4) | instid1(VALU_DEP_4)
	v_cndmask_b32_e64 v25, 0x7f800000, v34, s3
	v_add_nc_u32_e32 v34, 1, v30
	v_add_nc_u32_e32 v41, 1, v29
	v_cndmask_b32_e64 v27, v27, v45, s2
	v_cmp_le_u32_e64 s3, s49, v36
	v_dual_add_f32 v25, 1.0, v25 :: v_dual_cndmask_b32 v14, v30, v34
	s_delay_alu instid0(VALU_DEP_4) | instskip(SKIP_2) | instid1(VALU_DEP_4)
	v_cndmask_b32_e64 v29, v29, v41, s0
	v_cmp_le_u32_e32 vcc_lo, s47, v15
	v_subrev_nc_u32_e32 v41, s47, v16
	v_xor_b32_e32 v14, v14, v21
	s_delay_alu instid0(VALU_DEP_2) | instskip(NEXT) | instid1(VALU_DEP_2)
	v_cndmask_b32_e64 v16, v16, v41, s2
	v_sub_nc_u32_e32 v21, v14, v21
	v_add_nc_u32_e32 v14, 1, v27
	v_add_nc_u32_e32 v43, 1, v31
	v_div_scale_f32 v30, null, v25, v25, 1.0
	s_delay_alu instid0(VALU_DEP_2) | instskip(NEXT) | instid1(VALU_DEP_1)
	v_cndmask_b32_e64 v31, v31, v43, s1
	v_add_nc_u32_e32 v34, 1, v31
	v_add_nc_u32_e32 v38, 1, v29
	s_delay_alu instid0(VALU_DEP_1) | instskip(SKIP_2) | instid1(VALU_DEP_2)
	v_cndmask_b32_e32 v15, v29, v38, vcc_lo
	v_rcp_f32_e32 v29, v30
	v_cmp_le_u32_e32 vcc_lo, s47, v17
	v_xor_b32_e32 v15, v15, v19
	v_cndmask_b32_e32 v17, v31, v34, vcc_lo
	v_cmp_le_u32_e32 vcc_lo, s47, v16
	s_delay_alu instid0(VALU_DEP_3) | instskip(SKIP_1) | instid1(TRANS32_DEP_1)
	v_sub_nc_u32_e32 v19, v15, v19
	v_mul_lo_u32 v15, v21, s39
	v_fma_f32 v31, -v30, v29, 1.0
	v_cndmask_b32_e32 v14, v27, v14, vcc_lo
	v_div_scale_f32 v27, vcc_lo, 1.0, v25, 1.0
	v_mul_lo_u32 v16, v19, s39
	v_xor_b32_e32 v17, v17, v20
	s_delay_alu instid0(VALU_DEP_4)
	v_xor_b32_e32 v14, v14, v18
	v_sub_nc_u32_e32 v12, v12, v15
	v_fmac_f32_e32 v29, v31, v29
	v_subrev_nc_u32_e32 v15, s49, v36
	v_sub_nc_u32_e32 v20, v17, v20
	v_sub_nc_u32_e32 v34, v14, v18
	v_add_nc_u32_e32 v12, v1, v12
	v_sub_nc_u32_e32 v16, v2, v16
	v_mul_f32_e32 v31, v27, v29
	v_cndmask_b32_e64 v18, v36, v15, s3
	v_mul_lo_u32 v36, v34, s39
	v_mul_lo_u32 v2, v12, s35
	v_add_nc_u32_e32 v12, v1, v16
	v_fma_f32 v14, -v30, v31, v27
	v_mul_lo_u32 v16, v20, s39
	s_delay_alu instid0(VALU_DEP_3) | instskip(NEXT) | instid1(VALU_DEP_3)
	v_mul_lo_u32 v12, v12, s35
	v_fmac_f32_e32 v31, v14, v29
	v_mad_u64_u32 v[14:15], null, v21, s34, v[2:3]
	v_sub_nc_u32_e32 v3, v3, v36
	v_sub_nc_u32_e32 v13, v13, v16
	s_delay_alu instid0(VALU_DEP_4) | instskip(SKIP_1) | instid1(VALU_DEP_4)
	v_fma_f32 v2, -v30, v31, v27
	v_add_nc_u32_e32 v27, 1, v35
	v_add_nc_u32_e32 v3, v1, v3
	s_delay_alu instid0(VALU_DEP_4) | instskip(NEXT) | instid1(VALU_DEP_4)
	v_mad_u64_u32 v[16:17], null, v19, s34, v[12:13]
	v_div_fmas_f32 v2, v2, v29, v31
	v_cmp_le_u32_e32 vcc_lo, s49, v18
	v_subrev_nc_u32_e32 v12, s50, v11
	v_add_nc_u32_e32 v13, v1, v13
	v_xor_b32_e32 v18, s56, v10
	v_div_fixup_f32 v25, v2, v25, 1.0
	v_add_nc_u32_e32 v47, 1, v33
	v_mul_lo_u32 v3, v3, s35
	v_ashrrev_i32_e32 v15, 31, v14
	s_delay_alu instid0(VALU_DEP_4) | instskip(NEXT) | instid1(VALU_DEP_4)
	v_cmp_o_f32_e64 s0, v25, v25
	v_cndmask_b32_e64 v33, v33, v47, s3
	s_delay_alu instid0(VALU_DEP_1) | instskip(NEXT) | instid1(VALU_DEP_1)
	v_add_nc_u32_e32 v21, 1, v33
	v_cndmask_b32_e32 v2, v33, v21, vcc_lo
	v_cmp_le_u32_e32 vcc_lo, s50, v11
	s_delay_alu instid0(VALU_DEP_2) | instskip(SKIP_2) | instid1(VALU_DEP_3)
	v_xor_b32_e32 v2, v2, v32
	v_cndmask_b32_e32 v17, v35, v27, vcc_lo
	v_cndmask_b32_e32 v11, v11, v12, vcc_lo
	v_sub_nc_u32_e32 v27, v2, v32
	v_mul_lo_u32 v2, v13, s35
	s_delay_alu instid0(VALU_DEP_4) | instskip(NEXT) | instid1(VALU_DEP_4)
	v_add_nc_u32_e32 v12, 1, v17
	v_cmp_le_u32_e32 vcc_lo, s50, v11
	s_delay_alu instid0(VALU_DEP_2) | instskip(NEXT) | instid1(VALU_DEP_4)
	v_cndmask_b32_e32 v12, v17, v12, vcc_lo
	v_mad_u64_u32 v[10:11], null, s60, v27, v[1:2]
	v_ashrrev_i32_e32 v17, 31, v16
	s_delay_alu instid0(VALU_DEP_3) | instskip(SKIP_3) | instid1(VALU_DEP_4)
	v_xor_b32_e32 v19, v12, v18
	v_lshlrev_b64 v[11:12], 1, v[14:15]
	v_mad_u64_u32 v[13:14], null, v20, s34, v[2:3]
	v_mul_lo_u32 v2, v10, s27
	v_sub_nc_u32_e32 v31, v19, v18
	v_mad_u64_u32 v[18:19], null, v34, s34, v[3:4]
	v_lshlrev_b64 v[15:16], 1, v[16:17]
	v_add_co_u32 v10, vcc_lo, s30, v11
	v_ashrrev_i32_e32 v14, 31, v13
	v_mad_u64_u32 v[20:21], null, s61, v31, v[1:2]
	v_mad_u64_u32 v[29:30], null, v27, s26, v[2:3]
	v_ashrrev_i32_e32 v19, 31, v18
	v_bfi_b32 v3, 0x7fffffff, v28, v26
	v_add_co_ci_u32_e32 v11, vcc_lo, s31, v12, vcc_lo
	v_mul_lo_u32 v2, v20, s29
	s_delay_alu instid0(VALU_DEP_4)
	v_lshlrev_b64 v[17:18], 1, v[18:19]
	v_lshlrev_b64 v[12:13], 1, v[13:14]
	v_add_co_u32 v15, vcc_lo, s30, v15
	v_ashrrev_i32_e32 v30, 31, v29
	v_add_co_ci_u32_e32 v16, vcc_lo, s31, v16, vcc_lo
	v_mad_u64_u32 v[19:20], null, v31, s28, v[2:3]
	v_mul_f32_e32 v14, v25, v3
	v_add_co_u32 v2, vcc_lo, s30, v12
	v_add_co_ci_u32_e32 v3, vcc_lo, s31, v13, vcc_lo
	v_lshlrev_b64 v[12:13], 1, v[29:30]
	v_ashrrev_i32_e32 v20, 31, v19
	v_bfe_u32 v21, v14, 16, 1
	v_add_co_u32 v17, vcc_lo, s30, v17
	v_add_co_ci_u32_e32 v18, vcc_lo, s31, v18, vcc_lo
	s_delay_alu instid0(VALU_DEP_4)
	v_lshlrev_b64 v[19:20], 1, v[19:20]
	v_add_co_u32 v12, vcc_lo, s18, v12
	v_add3_u32 v21, v14, v21, 0x7fff
	v_bfe_u32 v27, v26, 16, 1
	v_add_co_ci_u32_e32 v13, vcc_lo, s19, v13, vcc_lo
	v_add_co_u32 v19, vcc_lo, s20, v19
	v_add_co_ci_u32_e32 v20, vcc_lo, s21, v20, vcc_lo
	v_lshrrev_b32_e32 v21, 16, v21
	v_add3_u32 v27, v26, v27, 0x7fff
	v_cmp_o_f32_e32 vcc_lo, v14, v14
	v_bfe_u32 v28, v24, 16, 1
	v_add_nc_u32_e32 v1, s44, v1
	s_delay_alu instid0(VALU_DEP_4)
	v_lshrrev_b32_e32 v27, 16, v27
	v_cndmask_b32_e32 v14, 0x7fc0, v21, vcc_lo
	v_cmp_o_f32_e32 vcc_lo, v26, v26
	v_add3_u32 v26, v24, v28, 0x7fff
	global_store_b16 v[12:13], v14, off
	v_cndmask_b32_e32 v21, 0x7fc0, v27, vcc_lo
	v_bfe_u32 v27, v23, 16, 1
	v_bfe_u32 v12, v22, 16, 1
	v_lshrrev_b32_e32 v13, 16, v26
	v_cmp_o_f32_e32 vcc_lo, v24, v24
	global_store_b16 v[19:20], v21, off
	v_add3_u32 v14, v23, v27, 0x7fff
	v_bfe_u32 v19, v25, 16, 1
	v_add3_u32 v12, v22, v12, 0x7fff
	v_cndmask_b32_e32 v13, 0x7fc0, v13, vcc_lo
	v_cmp_o_f32_e32 vcc_lo, v23, v23
	v_lshrrev_b32_e32 v14, 16, v14
	v_add3_u32 v19, v25, v19, 0x7fff
	v_lshrrev_b32_e32 v12, 16, v12
	s_delay_alu instid0(VALU_DEP_3) | instskip(SKIP_1) | instid1(VALU_DEP_4)
	v_cndmask_b32_e32 v14, 0x7fc0, v14, vcc_lo
	v_cmp_o_f32_e32 vcc_lo, v22, v22
	v_lshrrev_b32_e32 v19, 16, v19
	s_clause 0x1
	global_store_b16 v[10:11], v13, off
	global_store_b16 v[15:16], v14, off
	v_cndmask_b32_e32 v12, 0x7fc0, v12, vcc_lo
	v_cmp_le_i32_e32 vcc_lo, s5, v1
	v_cndmask_b32_e64 v19, 0x7fc0, v19, s0
	s_clause 0x1
	global_store_b16 v[2:3], v12, off
	global_store_b16 v[17:18], v19, off
	s_or_b32 s42, vcc_lo, s42
	s_delay_alu instid0(SALU_CYCLE_1)
	s_and_not1_b32 exec_lo, exec_lo, s42
	s_cbranch_execz .LBB13_13
.LBB13_3:                               ; =>This Inner Loop Header: Depth=1
	v_sub_nc_u32_e32 v2, 0, v1
	s_delay_alu instid0(VALU_DEP_1) | instskip(NEXT) | instid1(VALU_DEP_1)
	v_max_i32_e32 v11, v1, v2
	v_mul_hi_u32 v2, v11, v0
	s_delay_alu instid0(VALU_DEP_1) | instskip(NEXT) | instid1(VALU_DEP_1)
	v_mul_lo_u32 v3, v2, s41
	v_sub_nc_u32_e32 v3, v11, v3
	s_delay_alu instid0(VALU_DEP_1) | instskip(SKIP_1) | instid1(VALU_DEP_2)
	v_subrev_nc_u32_e32 v12, s41, v3
	v_cmp_le_u32_e32 vcc_lo, s41, v3
	v_dual_cndmask_b32 v3, v3, v12 :: v_dual_add_nc_u32 v10, 1, v2
	s_delay_alu instid0(VALU_DEP_1) | instskip(SKIP_1) | instid1(VALU_DEP_3)
	v_cndmask_b32_e32 v2, v2, v10, vcc_lo
	v_ashrrev_i32_e32 v10, 31, v1
	v_cmp_le_u32_e32 vcc_lo, s41, v3
	s_delay_alu instid0(VALU_DEP_3) | instskip(NEXT) | instid1(VALU_DEP_3)
	v_add_nc_u32_e32 v12, 1, v2
	v_xor_b32_e32 v22, s45, v10
	s_delay_alu instid0(VALU_DEP_2) | instskip(NEXT) | instid1(VALU_DEP_1)
	v_cndmask_b32_e32 v2, v2, v12, vcc_lo
	v_xor_b32_e32 v23, v2, v22
	v_mul_i32_i24_e32 v2, 3, v22
	s_delay_alu instid0(VALU_DEP_2) | instskip(SKIP_1) | instid1(VALU_DEP_2)
	v_lshl_add_u32 v3, v23, 1, v23
	v_sub_nc_u32_e32 v24, v23, v22
	v_sub_nc_u32_e32 v13, v3, v2
	s_delay_alu instid0(VALU_DEP_2) | instskip(NEXT) | instid1(VALU_DEP_2)
	v_mul_lo_u32 v12, s57, v24
	v_add_nc_u32_e32 v15, 3, v13
	v_mad_u64_u32 v[2:3], null, s4, v13, s[4:5]
	v_add_nc_u32_e32 v3, 2, v13
	s_delay_alu instid0(VALU_DEP_1) | instskip(NEXT) | instid1(VALU_DEP_4)
	v_mul_lo_u32 v13, s4, v3
	v_mul_lo_u32 v3, s4, v15
	s_delay_alu instid0(VALU_DEP_2) | instskip(NEXT) | instid1(VALU_DEP_2)
	v_add_nc_u32_e32 v16, v1, v13
	v_add_nc_u32_e32 v17, v1, v3
	s_delay_alu instid0(VALU_DEP_2) | instskip(NEXT) | instid1(VALU_DEP_2)
	v_ashrrev_i32_e32 v20, 31, v16
	v_ashrrev_i32_e32 v18, 31, v17
	s_delay_alu instid0(VALU_DEP_2) | instskip(NEXT) | instid1(VALU_DEP_2)
	v_add3_u32 v16, v20, v13, v1
	v_add3_u32 v31, v18, v3, v1
	v_xor_b32_e32 v29, s51, v20
	v_xor_b32_e32 v30, s51, v18
	;; [unrolled: 1-line block ×5, first 2 shown]
	s_delay_alu instid0(VALU_DEP_2) | instskip(NEXT) | instid1(VALU_DEP_2)
	v_mul_hi_u32 v42, v17, v5
	v_mul_hi_u32 v43, v16, v5
	;; [unrolled: 1-line block ×4, first 2 shown]
	s_delay_alu instid0(VALU_DEP_4)
	v_mul_lo_u32 v52, v42, s46
	v_add_nc_u32_e32 v53, 1, v42
	v_add_nc_u32_e32 v55, 1, v43
	v_mul_lo_u32 v48, v40, s43
	v_mul_lo_u32 v50, v41, s43
	;; [unrolled: 1-line block ×3, first 2 shown]
	v_add_nc_u32_e32 v49, 1, v40
	v_sub_nc_u32_e32 v52, v17, v52
	v_add_nc_u32_e32 v14, v1, v12
	v_sub_nc_u32_e32 v48, v17, v48
	v_sub_nc_u32_e32 v50, v16, v50
	;; [unrolled: 1-line block ×3, first 2 shown]
	s_delay_alu instid0(VALU_DEP_4) | instskip(SKIP_2) | instid1(VALU_DEP_3)
	v_ashrrev_i32_e32 v21, 31, v14
	v_add_nc_u32_e32 v14, v1, v2
	v_add_nc_u32_e32 v51, 1, v41
	v_add3_u32 v15, v21, v12, v1
	s_delay_alu instid0(VALU_DEP_3) | instskip(SKIP_2) | instid1(VALU_DEP_4)
	v_ashrrev_i32_e32 v19, 31, v14
	v_xor_b32_e32 v25, s51, v21
	v_xor_b32_e32 v27, s52, v21
	;; [unrolled: 1-line block ×3, first 2 shown]
	s_delay_alu instid0(VALU_DEP_4) | instskip(SKIP_2) | instid1(VALU_DEP_4)
	v_add3_u32 v15, v19, v2, v1
	v_xor_b32_e32 v26, s51, v19
	v_xor_b32_e32 v35, s52, v19
	v_mul_hi_u32 v28, v14, v4
	s_delay_alu instid0(VALU_DEP_4) | instskip(SKIP_1) | instid1(VALU_DEP_2)
	v_xor_b32_e32 v15, v15, v19
	v_mul_hi_u32 v32, v14, v5
	v_mul_hi_u32 v33, v15, v4
	;; [unrolled: 1-line block ×3, first 2 shown]
	v_mul_lo_u32 v34, v28, s43
	s_delay_alu instid0(VALU_DEP_4) | instskip(NEXT) | instid1(VALU_DEP_4)
	v_mul_lo_u32 v38, v32, s46
	v_mul_lo_u32 v44, v33, s43
	v_add_nc_u32_e32 v45, 1, v33
	s_delay_alu instid0(VALU_DEP_4) | instskip(SKIP_2) | instid1(VALU_DEP_3)
	v_sub_nc_u32_e32 v34, v14, v34
	v_mul_lo_u32 v46, v31, s46
	v_sub_nc_u32_e32 v38, v14, v38
	v_cmp_le_u32_e32 vcc_lo, s43, v34
	v_sub_nc_u32_e32 v44, v15, v44
	v_add_nc_u32_e32 v37, 1, v28
	s_delay_alu instid0(VALU_DEP_4) | instskip(SKIP_1) | instid1(VALU_DEP_3)
	v_cmp_le_u32_e64 s0, s46, v38
	v_sub_nc_u32_e32 v46, v15, v46
	v_cndmask_b32_e32 v28, v28, v37, vcc_lo
	v_subrev_nc_u32_e32 v37, s43, v34
	s_delay_alu instid0(VALU_DEP_1) | instskip(NEXT) | instid1(VALU_DEP_1)
	v_dual_cndmask_b32 v34, v34, v37 :: v_dual_add_nc_u32 v39, 1, v32
	v_cndmask_b32_e64 v32, v32, v39, s0
	v_subrev_nc_u32_e32 v39, s46, v38
	v_cmp_le_u32_e32 vcc_lo, s43, v44
	v_add_nc_u32_e32 v37, 1, v28
	v_cmp_le_u32_e64 s1, s43, v34
	s_delay_alu instid0(VALU_DEP_4)
	v_cndmask_b32_e64 v38, v38, v39, s0
	v_cndmask_b32_e32 v33, v33, v45, vcc_lo
	v_subrev_nc_u32_e32 v45, s43, v44
	v_add_nc_u32_e32 v39, 1, v32
	v_cndmask_b32_e64 v28, v28, v37, s1
	v_cmp_le_u32_e64 s2, s46, v38
	v_add_nc_u32_e32 v37, 1, v33
	v_cndmask_b32_e32 v34, v44, v45, vcc_lo
	v_cmp_le_u32_e32 vcc_lo, s43, v48
	v_subrev_nc_u32_e32 v44, s43, v48
	v_cndmask_b32_e64 v32, v32, v39, s2
	v_add_nc_u32_e32 v47, 1, v31
	v_cmp_le_u32_e64 s2, s43, v34
	v_cndmask_b32_e32 v40, v40, v49, vcc_lo
	v_cmp_le_u32_e64 s1, s43, v50
	v_subrev_nc_u32_e32 v45, s43, v50
	v_cndmask_b32_e32 v34, v48, v44, vcc_lo
	v_xor_b32_e32 v28, v28, v25
	v_cndmask_b32_e64 v33, v33, v37, s2
	v_cndmask_b32_e64 v41, v41, v51, s1
	v_add_nc_u32_e32 v37, 1, v40
	v_cndmask_b32_e64 v38, v50, v45, s1
	v_cmp_le_u32_e32 vcc_lo, s43, v34
	v_sub_nc_u32_e32 v44, v28, v25
	v_xor_b32_e32 v25, v33, v26
	v_add_nc_u32_e32 v39, 1, v41
	v_cmp_le_u32_e64 s0, s46, v46
	v_cndmask_b32_e32 v28, v40, v37, vcc_lo
	v_cmp_le_u32_e32 vcc_lo, s43, v38
	v_sub_nc_u32_e32 v37, v25, v26
	v_mul_lo_u32 v34, v44, s36
	v_cndmask_b32_e64 v31, v31, v47, s0
	v_xor_b32_e32 v25, v28, v29
	v_cndmask_b32_e32 v33, v41, v39, vcc_lo
	v_mul_lo_u32 v38, v37, s36
	v_subrev_nc_u32_e32 v47, s46, v46
	v_cmp_le_u32_e32 vcc_lo, s46, v52
	v_sub_nc_u32_e32 v39, v25, v29
	v_xor_b32_e32 v33, v33, v30
	v_sub_nc_u32_e32 v25, v12, v34
	v_cndmask_b32_e64 v26, v46, v47, s0
	v_subrev_nc_u32_e32 v29, s46, v52
	v_add_nc_u32_e32 v28, 1, v31
	v_sub_nc_u32_e32 v41, v33, v30
	v_sub_nc_u32_e32 v33, v2, v38
	v_add_nc_u32_e32 v25, v1, v25
	v_mul_lo_u32 v30, v39, s36
	v_cmp_le_u32_e64 s0, s46, v26
	v_mul_lo_u32 v34, v41, s36
	v_add_nc_u32_e32 v33, v1, v33
	v_mul_lo_u32 v25, v25, s23
	v_xor_b32_e32 v32, v32, v27
	v_cndmask_b32_e32 v45, v52, v29, vcc_lo
	v_cndmask_b32_e32 v40, v42, v53, vcc_lo
	v_mul_lo_u32 v26, v33, s23
	v_sub_nc_u32_e32 v30, v13, v30
	v_sub_nc_u32_e32 v29, v3, v34
	v_cndmask_b32_e64 v42, v31, v28, s0
	v_sub_nc_u32_e32 v46, v32, v27
	v_subrev_nc_u32_e32 v38, s46, v54
	v_add_nc_u32_e32 v30, v1, v30
	v_cmp_le_u32_e64 s0, s46, v45
	v_mad_u64_u32 v[27:28], null, v44, s22, v[25:26]
	v_add_nc_u32_e32 v28, v1, v29
	s_delay_alu instid0(VALU_DEP_4) | instskip(SKIP_1) | instid1(VALU_DEP_4)
	v_mul_lo_u32 v25, v30, s23
	v_mul_lo_u32 v33, v46, s33
	v_mad_u64_u32 v[29:30], null, v37, s22, v[26:27]
	s_delay_alu instid0(VALU_DEP_4) | instskip(SKIP_2) | instid1(VALU_DEP_2)
	v_mul_lo_u32 v26, v28, s23
	v_ashrrev_i32_e32 v28, 31, v27
	v_add_nc_u32_e32 v37, 1, v40
	v_lshlrev_b64 v[27:28], 1, v[27:28]
	v_ashrrev_i32_e32 v30, 31, v29
	v_mad_u64_u32 v[31:32], null, v39, s22, v[25:26]
	v_xor_b32_e32 v39, v42, v35
	v_sub_nc_u32_e32 v42, v12, v33
	v_mad_u64_u32 v[33:34], null, v41, s22, v[26:27]
	v_lshlrev_b64 v[25:26], 1, v[29:30]
	v_add_co_u32 v27, vcc_lo, s10, v27
	v_ashrrev_i32_e32 v32, 31, v31
	v_add_co_ci_u32_e32 v28, vcc_lo, s11, v28, vcc_lo
	s_delay_alu instid0(VALU_DEP_4) | instskip(NEXT) | instid1(VALU_DEP_3)
	v_add_co_u32 v25, vcc_lo, s10, v25
	v_lshlrev_b64 v[29:30], 1, v[31:32]
	v_add_co_ci_u32_e32 v26, vcc_lo, s11, v26, vcc_lo
	v_cndmask_b32_e64 v32, v40, v37, s0
	v_mul_hi_u32 v37, v11, v7
	v_sub_nc_u32_e32 v41, v39, v35
	v_add_co_u32 v29, vcc_lo, s10, v29
	v_add_co_ci_u32_e32 v30, vcc_lo, s11, v30, vcc_lo
	v_cmp_le_u32_e32 vcc_lo, s46, v54
	v_xor_b32_e32 v32, v32, v36
	v_xor_b32_e32 v39, s52, v18
	v_dual_cndmask_b32 v31, v43, v55 :: v_dual_cndmask_b32 v34, v54, v38
	s_delay_alu instid0(VALU_DEP_3) | instskip(SKIP_2) | instid1(VALU_DEP_4)
	v_sub_nc_u32_e32 v43, v32, v36
	v_add_nc_u32_e32 v36, v1, v42
	v_mul_lo_u32 v38, v41, s33
	v_add_nc_u32_e32 v35, 1, v31
	v_cmp_le_u32_e32 vcc_lo, s46, v34
	v_ashrrev_i32_e32 v34, 31, v33
	v_mul_lo_u32 v42, v43, s33
	s_delay_alu instid0(VALU_DEP_4) | instskip(SKIP_2) | instid1(VALU_DEP_3)
	v_cndmask_b32_e32 v31, v31, v35, vcc_lo
	v_mul_lo_u32 v35, v37, s48
	v_sub_nc_u32_e32 v38, v2, v38
	v_xor_b32_e32 v40, v31, v39
	v_lshlrev_b64 v[31:32], 1, v[33:34]
	v_mul_lo_u32 v33, v36, s9
	s_delay_alu instid0(VALU_DEP_4) | instskip(SKIP_4) | instid1(VALU_DEP_4)
	v_add_nc_u32_e32 v38, v1, v38
	v_sub_nc_u32_e32 v34, v11, v35
	v_sub_nc_u32_e32 v44, v40, v39
	v_add_nc_u32_e32 v35, 1, v37
	v_sub_nc_u32_e32 v39, v13, v42
	v_subrev_nc_u32_e32 v42, s48, v34
	v_cmp_le_u32_e32 vcc_lo, s48, v34
	v_mul_lo_u32 v40, v44, s33
	s_delay_alu instid0(VALU_DEP_4) | instskip(SKIP_4) | instid1(VALU_DEP_4)
	v_add_nc_u32_e32 v39, v1, v39
	v_cndmask_b32_e32 v37, v37, v35, vcc_lo
	v_mad_u64_u32 v[35:36], null, v46, s8, v[33:34]
	v_cndmask_b32_e32 v34, v34, v42, vcc_lo
	v_xor_b32_e32 v42, s54, v10
	v_add_nc_u32_e32 v36, 1, v37
	v_mul_lo_u32 v33, v38, s9
	v_sub_nc_u32_e32 v40, v3, v40
	v_cmp_le_u32_e32 vcc_lo, s48, v34
	s_delay_alu instid0(VALU_DEP_4) | instskip(SKIP_2) | instid1(VALU_DEP_3)
	v_cndmask_b32_e32 v34, v37, v36, vcc_lo
	v_add_co_u32 v37, vcc_lo, s10, v31
	v_add_co_ci_u32_e32 v38, vcc_lo, s11, v32, vcc_lo
	v_xor_b32_e32 v32, v34, v42
	v_mul_lo_u32 v31, v39, s9
	v_add_nc_u32_e32 v34, v1, v40
	v_ashrrev_i32_e32 v36, 31, v35
	s_delay_alu instid0(VALU_DEP_4) | instskip(NEXT) | instid1(VALU_DEP_3)
	v_sub_nc_u32_e32 v45, v32, v42
	v_mad_u64_u32 v[39:40], null, v41, s8, v[33:34]
	v_mad_u64_u32 v[32:33], null, v43, s8, v[31:32]
	s_delay_alu instid0(VALU_DEP_3)
	v_mad_u64_u32 v[42:43], null, s59, v45, v[1:2]
	v_mul_lo_u32 v41, v34, s9
	s_clause 0x3
	global_load_u16 v31, v[27:28], off
	global_load_u16 v28, v[25:26], off
	;; [unrolled: 1-line block ×4, first 2 shown]
	v_ashrrev_i32_e32 v40, 31, v39
	v_lshlrev_b64 v[26:27], 1, v[35:36]
	v_ashrrev_i32_e32 v33, 31, v32
	v_mul_lo_u32 v29, v42, s17
	s_delay_alu instid0(VALU_DEP_4)
	v_lshlrev_b64 v[37:38], 1, v[39:40]
	v_mad_u64_u32 v[35:36], null, v44, s8, v[41:42]
	v_add_co_u32 v26, vcc_lo, s24, v26
	v_add_co_ci_u32_e32 v27, vcc_lo, s25, v27, vcc_lo
	v_mad_u64_u32 v[39:40], null, v45, s16, v[29:30]
	v_lshlrev_b64 v[29:30], 1, v[32:33]
	v_ashrrev_i32_e32 v36, 31, v35
	v_add_co_u32 v37, vcc_lo, s24, v37
	v_add_co_ci_u32_e32 v38, vcc_lo, s25, v38, vcc_lo
	v_ashrrev_i32_e32 v40, 31, v39
	s_delay_alu instid0(VALU_DEP_4) | instskip(SKIP_2) | instid1(VALU_DEP_4)
	v_lshlrev_b64 v[32:33], 1, v[35:36]
	v_add_co_u32 v35, vcc_lo, s24, v29
	v_add_co_ci_u32_e32 v36, vcc_lo, s25, v30, vcc_lo
	v_lshlrev_b64 v[29:30], 1, v[39:40]
	s_delay_alu instid0(VALU_DEP_4) | instskip(SKIP_2) | instid1(VALU_DEP_4)
	v_add_co_u32 v39, vcc_lo, s24, v32
	v_add_co_ci_u32_e32 v40, vcc_lo, s25, v33, vcc_lo
	v_mov_b32_e32 v32, 0
	v_add_co_u32 v41, vcc_lo, s14, v29
	v_add_co_ci_u32_e32 v42, vcc_lo, s15, v30, vcc_lo
	s_clause 0x3
	global_load_u16 v33, v[26:27], off
	global_load_u16 v29, v[37:38], off
	;; [unrolled: 1-line block ×5, first 2 shown]
	v_dual_mov_b32 v39, 0 :: v_dual_mov_b32 v30, 0
	v_mov_b32_e32 v40, 0
	v_dual_mov_b32 v36, 0 :: v_dual_mov_b32 v37, 0
	v_dual_mov_b32 v41, 0 :: v_dual_mov_b32 v38, 0
	s_and_not1_b32 vcc_lo, exec_lo, s40
	s_cbranch_vccnz .LBB13_5
; %bb.4:                                ;   in Loop: Header=BB13_3 Depth=1
	v_sub_nc_u32_e32 v30, v22, v23
	v_mad_u64_u32 v[22:23], null, s58, v24, v[1:2]
	s_delay_alu instid0(VALU_DEP_2) | instskip(SKIP_2) | instid1(VALU_DEP_4)
	v_mul_lo_u32 v24, s4, v30
	v_add_nc_u32_e32 v32, 2, v30
	v_add_nc_u32_e32 v30, 3, v30
	v_mul_lo_u32 v23, v22, s37
	s_delay_alu instid0(VALU_DEP_3) | instskip(SKIP_1) | instid1(VALU_DEP_4)
	v_mad_u64_u32 v[36:37], null, s4, v32, v[1:2]
	v_add3_u32 v32, v24, s4, v1
	v_mad_u64_u32 v[37:38], null, s4, v30, v[1:2]
	v_mul_lo_u32 v38, v22, s38
	v_ashrrev_i32_e32 v24, 31, v23
	s_delay_alu instid0(VALU_DEP_4)
	v_mul_lo_u32 v40, v32, s37
	v_mul_lo_u32 v22, v36, s37
	;; [unrolled: 1-line block ×5, first 2 shown]
	v_lshlrev_b64 v[44:45], 1, v[23:24]
	v_ashrrev_i32_e32 v39, 31, v38
	v_mul_lo_u32 v48, v37, s38
	v_ashrrev_i32_e32 v41, 31, v40
	v_ashrrev_i32_e32 v23, 31, v22
	;; [unrolled: 1-line block ×3, first 2 shown]
	v_add_co_u32 v44, vcc_lo, s6, v44
	s_delay_alu instid0(VALU_DEP_4) | instskip(SKIP_4) | instid1(VALU_DEP_4)
	v_lshlrev_b64 v[40:41], 1, v[40:41]
	v_ashrrev_i32_e32 v43, 31, v42
	v_lshlrev_b64 v[22:23], 1, v[22:23]
	v_add_co_ci_u32_e32 v45, vcc_lo, s7, v45, vcc_lo
	v_lshlrev_b64 v[38:39], 1, v[38:39]
	v_lshlrev_b64 v[42:43], 1, v[42:43]
	v_add_co_u32 v40, vcc_lo, s6, v40
	v_add_co_ci_u32_e32 v41, vcc_lo, s7, v41, vcc_lo
	v_add_co_u32 v22, vcc_lo, s6, v22
	v_ashrrev_i32_e32 v37, 31, v36
	v_add_co_ci_u32_e32 v23, vcc_lo, s7, v23, vcc_lo
	v_add_co_u32 v42, vcc_lo, s6, v42
	v_lshlrev_b64 v[46:47], 1, v[46:47]
	v_ashrrev_i32_e32 v49, 31, v48
	v_add_co_ci_u32_e32 v43, vcc_lo, s7, v43, vcc_lo
	v_add_co_u32 v50, vcc_lo, s12, v38
	v_lshlrev_b64 v[36:37], 1, v[36:37]
	v_add_co_ci_u32_e32 v51, vcc_lo, s13, v39, vcc_lo
	v_add_co_u32 v46, vcc_lo, s12, v46
	v_lshlrev_b64 v[38:39], 1, v[48:49]
	v_add_co_ci_u32_e32 v47, vcc_lo, s13, v47, vcc_lo
	v_add_co_u32 v48, vcc_lo, s12, v36
	v_add_co_ci_u32_e32 v49, vcc_lo, s13, v37, vcc_lo
	s_delay_alu instid0(VALU_DEP_4)
	v_add_co_u32 v52, vcc_lo, s12, v38
	v_add_co_ci_u32_e32 v53, vcc_lo, s13, v39, vcc_lo
	s_clause 0x3
	global_load_u16 v39, v[44:45], off
	global_load_u16 v38, v[40:41], off
	;; [unrolled: 1-line block ×4, first 2 shown]
	s_clause 0x3
	global_load_u16 v37, v[50:51], off
	global_load_u16 v36, v[46:47], off
	;; [unrolled: 1-line block ×4, first 2 shown]
.LBB13_5:                               ;   in Loop: Header=BB13_3 Depth=1
	s_waitcnt vmcnt(6)
	v_lshlrev_b32_e32 v22, 16, v34
	s_waitcnt vmcnt(5)
	v_lshlrev_b32_e32 v24, 16, v41
	;; [unrolled: 2-line block ×3, first 2 shown]
	s_waitcnt vmcnt(1)
	s_delay_alu instid0(VALU_DEP_1) | instskip(NEXT) | instid1(VALU_DEP_1)
	v_dual_add_f32 v22, v22, v23 :: v_dual_lshlrev_b32 v23, 16, v40
	v_add_f32_e32 v22, v22, v24
	s_delay_alu instid0(VALU_DEP_1) | instskip(NEXT) | instid1(VALU_DEP_1)
	v_add_f32_e32 v22, v22, v23
                                        ; implicit-def: $vgpr23
	v_cmp_ngt_f32_e64 s0, 0x3f200000, |v22|
	s_delay_alu instid0(VALU_DEP_1) | instskip(NEXT) | instid1(SALU_CYCLE_1)
	s_and_saveexec_b32 s1, s0
	s_xor_b32 s0, exec_lo, s1
	s_cbranch_execz .LBB13_7
; %bb.6:                                ;   in Loop: Header=BB13_3 Depth=1
	v_add_f32_e64 v23, |v22|, |v22|
	s_delay_alu instid0(VALU_DEP_1) | instskip(SKIP_1) | instid1(VALU_DEP_2)
	v_mul_f32_e32 v24, 0x3fb8aa3b, v23
	v_cmp_ngt_f32_e32 vcc_lo, 0xc2ce8ed0, v23
	v_rndne_f32_e32 v34, v24
	v_fma_f32 v35, 0x3fb8aa3b, v23, -v24
	s_delay_alu instid0(VALU_DEP_1) | instskip(SKIP_1) | instid1(VALU_DEP_2)
	v_dual_sub_f32 v24, v24, v34 :: v_dual_fmac_f32 v35, 0x32a5705f, v23
	v_cvt_i32_f32_e32 v34, v34
	v_add_f32_e32 v24, v24, v35
	s_delay_alu instid0(VALU_DEP_1) | instskip(SKIP_2) | instid1(VALU_DEP_1)
	v_exp_f32_e32 v24, v24
	s_waitcnt_depctr 0xfff
	v_ldexp_f32 v24, v24, v34
	v_cndmask_b32_e32 v24, 0, v24, vcc_lo
	v_cmp_nlt_f32_e32 vcc_lo, 0x42b17218, v23
	s_delay_alu instid0(VALU_DEP_2) | instskip(NEXT) | instid1(VALU_DEP_1)
	v_cndmask_b32_e32 v23, 0x7f800000, v24, vcc_lo
	v_add_f32_e32 v23, 1.0, v23
	s_delay_alu instid0(VALU_DEP_1)
	v_rcp_f32_e32 v23, v23
	s_waitcnt_depctr 0xfff
	v_fma_f32 v23, v23, -2.0, 1.0
.LBB13_7:                               ;   in Loop: Header=BB13_3 Depth=1
	s_and_not1_saveexec_b32 s0, s0
; %bb.8:                                ;   in Loop: Header=BB13_3 Depth=1
	v_mul_f32_e32 v23, v22, v22
	s_delay_alu instid0(VALU_DEP_1) | instskip(NEXT) | instid1(VALU_DEP_1)
	v_fmaak_f32 v24, s62, v23, 0x3ca908c9
	v_fmaak_f32 v24, v23, v24, 0xbd5c1c4e
	s_delay_alu instid0(VALU_DEP_1) | instskip(NEXT) | instid1(VALU_DEP_1)
	v_fmaak_f32 v24, v23, v24, 0x3e088382
	v_fmaak_f32 v24, v23, v24, 0xbeaaaa99
	s_delay_alu instid0(VALU_DEP_1) | instskip(NEXT) | instid1(VALU_DEP_1)
	v_mul_f32_e64 v24, |v22|, v24
	v_fma_f32 v23, v23, v24, |v22|
; %bb.9:                                ;   in Loop: Header=BB13_3 Depth=1
	s_or_b32 exec_lo, exec_lo, s0
	v_lshlrev_b32_e32 v24, 16, v31
	v_lshlrev_b32_e32 v31, 16, v33
	;; [unrolled: 1-line block ×4, first 2 shown]
	v_bfi_b32 v22, 0x7fffffff, v23, v22
	s_delay_alu instid0(VALU_DEP_4) | instskip(NEXT) | instid1(VALU_DEP_3)
	v_add_f32_e32 v24, v24, v31
	v_dual_add_f32 v28, v28, v29 :: v_dual_lshlrev_b32 v33, 16, v39
	s_delay_alu instid0(VALU_DEP_1) | instskip(NEXT) | instid1(VALU_DEP_1)
	v_dual_add_f32 v24, v24, v33 :: v_dual_lshlrev_b32 v31, 16, v38
	v_dual_add_f32 v28, v28, v31 :: v_dual_lshlrev_b32 v29, 16, v37
	s_delay_alu instid0(VALU_DEP_1) | instskip(NEXT) | instid1(VALU_DEP_1)
	v_dual_add_f32 v24, v24, v29 :: v_dual_lshlrev_b32 v33, 16, v36
	v_dual_add_f32 v28, v28, v33 :: v_dual_mul_f32 v29, 0xbfb8aa3b, v24
	v_cmp_nlt_f32_e32 vcc_lo, 0x42ce8ed0, v24
	s_delay_alu instid0(VALU_DEP_2) | instskip(NEXT) | instid1(VALU_DEP_3)
	v_mul_f32_e32 v31, 0xbfb8aa3b, v28
	v_fma_f32 v33, 0xbfb8aa3b, v24, -v29
	v_rndne_f32_e32 v34, v29
	s_delay_alu instid0(VALU_DEP_3) | instskip(SKIP_1) | instid1(VALU_DEP_4)
	v_fma_f32 v35, 0xbfb8aa3b, v28, -v31
	v_rndne_f32_e32 v36, v31
	v_fmac_f32_e32 v33, 0xb2a5705f, v24
	s_delay_alu instid0(VALU_DEP_4) | instskip(NEXT) | instid1(VALU_DEP_4)
	v_sub_f32_e32 v29, v29, v34
	v_fmac_f32_e32 v35, 0xb2a5705f, v28
	s_delay_alu instid0(VALU_DEP_2) | instskip(SKIP_2) | instid1(VALU_DEP_3)
	v_add_f32_e32 v29, v29, v33
	v_cvt_i32_f32_e32 v33, v34
	v_cvt_i32_f32_e32 v34, v36
	v_exp_f32_e32 v29, v29
	s_waitcnt_depctr 0xfff
	v_ldexp_f32 v29, v29, v33
	s_delay_alu instid0(VALU_DEP_1) | instskip(SKIP_2) | instid1(VALU_DEP_2)
	v_cndmask_b32_e32 v29, 0, v29, vcc_lo
	v_sub_f32_e32 v31, v31, v36
	v_cmp_nlt_f32_e32 vcc_lo, 0x42ce8ed0, v28
	v_add_f32_e32 v31, v31, v35
	s_delay_alu instid0(VALU_DEP_1) | instskip(SKIP_2) | instid1(VALU_DEP_1)
	v_exp_f32_e32 v31, v31
	s_waitcnt_depctr 0xfff
	v_ldexp_f32 v31, v31, v34
	v_cndmask_b32_e32 v31, 0, v31, vcc_lo
	v_cmp_ngt_f32_e32 vcc_lo, 0xc2b17218, v24
	v_cndmask_b32_e32 v24, 0x7f800000, v29, vcc_lo
	v_cmp_ngt_f32_e32 vcc_lo, 0xc2b17218, v28
	s_delay_alu instid0(VALU_DEP_2) | instskip(SKIP_1) | instid1(VALU_DEP_2)
	v_add_f32_e32 v24, 1.0, v24
	v_cndmask_b32_e32 v28, 0x7f800000, v31, vcc_lo
	v_div_scale_f32 v29, null, v24, v24, 1.0
	s_delay_alu instid0(VALU_DEP_2) | instskip(SKIP_1) | instid1(VALU_DEP_3)
	v_add_f32_e32 v28, 1.0, v28
	v_div_scale_f32 v37, vcc_lo, 1.0, v24, 1.0
	v_rcp_f32_e32 v33, v29
	s_delay_alu instid0(VALU_DEP_2) | instskip(NEXT) | instid1(VALU_DEP_1)
	v_div_scale_f32 v31, null, v28, v28, 1.0
	v_rcp_f32_e32 v34, v31
	s_waitcnt_depctr 0xfff
	v_fma_f32 v35, -v29, v33, 1.0
	v_fma_f32 v36, -v31, v34, 1.0
	s_delay_alu instid0(VALU_DEP_1) | instskip(SKIP_1) | instid1(VALU_DEP_1)
	v_dual_fmac_f32 v34, v36, v34 :: v_dual_fmac_f32 v33, v35, v33
	v_div_scale_f32 v35, s0, 1.0, v28, 1.0
	v_mul_f32_e32 v38, v35, v34
	s_delay_alu instid0(VALU_DEP_1) | instskip(NEXT) | instid1(VALU_DEP_1)
	v_fma_f32 v40, -v31, v38, v35
	v_fmac_f32_e32 v38, v40, v34
	v_mul_f32_e32 v36, v37, v33
	s_delay_alu instid0(VALU_DEP_2) | instskip(NEXT) | instid1(VALU_DEP_2)
	v_fma_f32 v31, -v31, v38, v35
	v_fma_f32 v39, -v29, v36, v37
	s_delay_alu instid0(VALU_DEP_1) | instskip(NEXT) | instid1(VALU_DEP_1)
	v_fmac_f32_e32 v36, v39, v33
	v_fma_f32 v29, -v29, v36, v37
	s_delay_alu instid0(VALU_DEP_1) | instskip(SKIP_2) | instid1(VALU_DEP_2)
	v_div_fmas_f32 v29, v29, v33, v36
	s_mov_b32 vcc_lo, s0
	v_div_fmas_f32 v31, v31, v34, v38
	v_div_fixup_f32 v24, v29, v24, 1.0
	s_delay_alu instid0(VALU_DEP_2) | instskip(SKIP_2) | instid1(VALU_DEP_3)
	v_div_fixup_f32 v23, v31, v28, 1.0
	s_waitcnt vmcnt(0)
	v_lshlrev_b32_e32 v28, 16, v26
	v_mul_f32_e32 v26, v24, v22
	s_delay_alu instid0(VALU_DEP_1) | instskip(NEXT) | instid1(VALU_DEP_1)
	v_fmac_f32_e32 v26, v23, v28
                                        ; implicit-def: $vgpr28
	v_cmp_ngt_f32_e64 s0, 0x3f200000, |v26|
	s_delay_alu instid0(VALU_DEP_1) | instskip(NEXT) | instid1(SALU_CYCLE_1)
	s_and_saveexec_b32 s1, s0
	s_xor_b32 s0, exec_lo, s1
	s_cbranch_execz .LBB13_11
; %bb.10:                               ;   in Loop: Header=BB13_3 Depth=1
	v_add_f32_e64 v28, |v26|, |v26|
	s_delay_alu instid0(VALU_DEP_1) | instskip(SKIP_1) | instid1(VALU_DEP_2)
	v_mul_f32_e32 v29, 0x3fb8aa3b, v28
	v_cmp_ngt_f32_e32 vcc_lo, 0xc2ce8ed0, v28
	v_rndne_f32_e32 v31, v29
	v_fma_f32 v33, 0x3fb8aa3b, v28, -v29
	s_delay_alu instid0(VALU_DEP_2) | instskip(NEXT) | instid1(VALU_DEP_2)
	v_sub_f32_e32 v29, v29, v31
	v_fmac_f32_e32 v33, 0x32a5705f, v28
	v_cvt_i32_f32_e32 v31, v31
	s_delay_alu instid0(VALU_DEP_2) | instskip(NEXT) | instid1(VALU_DEP_1)
	v_add_f32_e32 v29, v29, v33
	v_exp_f32_e32 v29, v29
	s_waitcnt_depctr 0xfff
	v_ldexp_f32 v29, v29, v31
	s_delay_alu instid0(VALU_DEP_1) | instskip(SKIP_1) | instid1(VALU_DEP_2)
	v_cndmask_b32_e32 v29, 0, v29, vcc_lo
	v_cmp_nlt_f32_e32 vcc_lo, 0x42b17218, v28
	v_cndmask_b32_e32 v28, 0x7f800000, v29, vcc_lo
	s_delay_alu instid0(VALU_DEP_1) | instskip(NEXT) | instid1(VALU_DEP_1)
	v_add_f32_e32 v28, 1.0, v28
	v_rcp_f32_e32 v28, v28
	s_waitcnt_depctr 0xfff
	v_fma_f32 v28, v28, -2.0, 1.0
.LBB13_11:                              ;   in Loop: Header=BB13_3 Depth=1
	s_and_not1_saveexec_b32 s0, s0
	s_cbranch_execz .LBB13_2
; %bb.12:                               ;   in Loop: Header=BB13_3 Depth=1
	v_mul_f32_e32 v28, v26, v26
	s_delay_alu instid0(VALU_DEP_1) | instskip(NEXT) | instid1(VALU_DEP_1)
	v_fmaak_f32 v29, s62, v28, 0x3ca908c9
	v_fmaak_f32 v29, v28, v29, 0xbd5c1c4e
	s_delay_alu instid0(VALU_DEP_1) | instskip(NEXT) | instid1(VALU_DEP_1)
	v_fmaak_f32 v29, v28, v29, 0x3e088382
	v_fmaak_f32 v29, v28, v29, 0xbeaaaa99
	s_delay_alu instid0(VALU_DEP_1) | instskip(NEXT) | instid1(VALU_DEP_1)
	v_mul_f32_e64 v29, |v26|, v29
	v_fma_f32 v28, v28, v29, |v26|
	s_branch .LBB13_2
.LBB13_13:
	s_nop 0
	s_sendmsg sendmsg(MSG_DEALLOC_VGPRS)
	s_endpgm
	.section	.rodata,"a",@progbits
	.p2align	6, 0x0
	.amdhsa_kernel _ZN2at6native12_GLOBAL__N_16kernel17lstm_cell_forwardIN3c108BFloat16EfiLi2EEEvNS_4cuda6detail10TensorInfoIT_T1_EESB_SB_SB_SB_SB_SB_SB_SA_SA_
		.amdhsa_group_segment_fixed_size 0
		.amdhsa_private_segment_fixed_size 0
		.amdhsa_kernarg_size 1992
		.amdhsa_user_sgpr_count 15
		.amdhsa_user_sgpr_dispatch_ptr 0
		.amdhsa_user_sgpr_queue_ptr 0
		.amdhsa_user_sgpr_kernarg_segment_ptr 1
		.amdhsa_user_sgpr_dispatch_id 0
		.amdhsa_user_sgpr_private_segment_size 0
		.amdhsa_wavefront_size32 1
		.amdhsa_uses_dynamic_stack 0
		.amdhsa_enable_private_segment 0
		.amdhsa_system_sgpr_workgroup_id_x 1
		.amdhsa_system_sgpr_workgroup_id_y 0
		.amdhsa_system_sgpr_workgroup_id_z 0
		.amdhsa_system_sgpr_workgroup_info 0
		.amdhsa_system_vgpr_workitem_id 0
		.amdhsa_next_free_vgpr 56
		.amdhsa_next_free_sgpr 63
		.amdhsa_reserve_vcc 1
		.amdhsa_float_round_mode_32 0
		.amdhsa_float_round_mode_16_64 0
		.amdhsa_float_denorm_mode_32 3
		.amdhsa_float_denorm_mode_16_64 3
		.amdhsa_dx10_clamp 1
		.amdhsa_ieee_mode 1
		.amdhsa_fp16_overflow 0
		.amdhsa_workgroup_processor_mode 1
		.amdhsa_memory_ordered 1
		.amdhsa_forward_progress 0
		.amdhsa_shared_vgpr_count 0
		.amdhsa_exception_fp_ieee_invalid_op 0
		.amdhsa_exception_fp_denorm_src 0
		.amdhsa_exception_fp_ieee_div_zero 0
		.amdhsa_exception_fp_ieee_overflow 0
		.amdhsa_exception_fp_ieee_underflow 0
		.amdhsa_exception_fp_ieee_inexact 0
		.amdhsa_exception_int_div_zero 0
	.end_amdhsa_kernel
	.section	.text._ZN2at6native12_GLOBAL__N_16kernel17lstm_cell_forwardIN3c108BFloat16EfiLi2EEEvNS_4cuda6detail10TensorInfoIT_T1_EESB_SB_SB_SB_SB_SB_SB_SA_SA_,"axG",@progbits,_ZN2at6native12_GLOBAL__N_16kernel17lstm_cell_forwardIN3c108BFloat16EfiLi2EEEvNS_4cuda6detail10TensorInfoIT_T1_EESB_SB_SB_SB_SB_SB_SB_SA_SA_,comdat
.Lfunc_end13:
	.size	_ZN2at6native12_GLOBAL__N_16kernel17lstm_cell_forwardIN3c108BFloat16EfiLi2EEEvNS_4cuda6detail10TensorInfoIT_T1_EESB_SB_SB_SB_SB_SB_SB_SA_SA_, .Lfunc_end13-_ZN2at6native12_GLOBAL__N_16kernel17lstm_cell_forwardIN3c108BFloat16EfiLi2EEEvNS_4cuda6detail10TensorInfoIT_T1_EESB_SB_SB_SB_SB_SB_SB_SA_SA_
                                        ; -- End function
	.section	.AMDGPU.csdata,"",@progbits
; Kernel info:
; codeLenInByte = 5168
; NumSgprs: 65
; NumVgprs: 56
; ScratchSize: 0
; MemoryBound: 0
; FloatMode: 240
; IeeeMode: 1
; LDSByteSize: 0 bytes/workgroup (compile time only)
; SGPRBlocks: 8
; VGPRBlocks: 6
; NumSGPRsForWavesPerEU: 65
; NumVGPRsForWavesPerEU: 56
; Occupancy: 16
; WaveLimiterHint : 1
; COMPUTE_PGM_RSRC2:SCRATCH_EN: 0
; COMPUTE_PGM_RSRC2:USER_SGPR: 15
; COMPUTE_PGM_RSRC2:TRAP_HANDLER: 0
; COMPUTE_PGM_RSRC2:TGID_X_EN: 1
; COMPUTE_PGM_RSRC2:TGID_Y_EN: 0
; COMPUTE_PGM_RSRC2:TGID_Z_EN: 0
; COMPUTE_PGM_RSRC2:TIDIG_COMP_CNT: 0
	.section	.text._ZN2at6native12_GLOBAL__N_16kernel17lstm_cell_forwardIN3c108BFloat16EflLi1EEEvNS_4cuda6detail10TensorInfoIT_T1_EESB_SB_SB_SB_SB_SB_SB_SA_SA_,"axG",@progbits,_ZN2at6native12_GLOBAL__N_16kernel17lstm_cell_forwardIN3c108BFloat16EflLi1EEEvNS_4cuda6detail10TensorInfoIT_T1_EESB_SB_SB_SB_SB_SB_SB_SA_SA_,comdat
	.globl	_ZN2at6native12_GLOBAL__N_16kernel17lstm_cell_forwardIN3c108BFloat16EflLi1EEEvNS_4cuda6detail10TensorInfoIT_T1_EESB_SB_SB_SB_SB_SB_SB_SA_SA_ ; -- Begin function _ZN2at6native12_GLOBAL__N_16kernel17lstm_cell_forwardIN3c108BFloat16EflLi1EEEvNS_4cuda6detail10TensorInfoIT_T1_EESB_SB_SB_SB_SB_SB_SB_SA_SA_
	.p2align	8
	.type	_ZN2at6native12_GLOBAL__N_16kernel17lstm_cell_forwardIN3c108BFloat16EflLi1EEEvNS_4cuda6detail10TensorInfoIT_T1_EESB_SB_SB_SB_SB_SB_SB_SA_SA_,@function
_ZN2at6native12_GLOBAL__N_16kernel17lstm_cell_forwardIN3c108BFloat16EflLi1EEEvNS_4cuda6detail10TensorInfoIT_T1_EESB_SB_SB_SB_SB_SB_SB_SA_SA_: ; @_ZN2at6native12_GLOBAL__N_16kernel17lstm_cell_forwardIN3c108BFloat16EflLi1EEEvNS_4cuda6detail10TensorInfoIT_T1_EESB_SB_SB_SB_SB_SB_SB_SA_SA_
; %bb.0:
	s_clause 0x1
	s_load_b32 s2, s[0:1], 0xd1c
	s_load_b128 s[4:7], s[0:1], 0xd00
	v_mov_b32_e32 v1, 0
	s_add_u32 s8, s0, 0xd10
	s_addc_u32 s9, s1, 0
	s_waitcnt lgkmcnt(0)
	s_and_b32 s26, s2, 0xffff
	s_mov_b32 s2, exec_lo
	v_mad_u64_u32 v[3:4], null, s15, s26, v[0:1]
	v_mov_b32_e32 v4, v1
	s_delay_alu instid0(VALU_DEP_1)
	v_cmpx_gt_i64_e64 s[6:7], v[3:4]
	s_cbranch_execz .LBB14_17
; %bb.1:
	s_clause 0x2
	s_load_b64 s[2:3], s[0:1], 0x340
	s_load_b64 s[28:29], s[0:1], 0x750
	;; [unrolled: 1-line block ×3, first 2 shown]
	s_load_b32 s27, s[8:9], 0x0
	s_clause 0xc
	s_load_b64 s[8:9], s[0:1], 0x0
	s_load_b64 s[10:11], s[0:1], 0xd0
	;; [unrolled: 1-line block ×13, first 2 shown]
	v_cvt_f32_u32_e32 v11, s4
	s_mul_i32 s0, s5, 3
	s_mov_b32 s38, 0
	s_waitcnt lgkmcnt(0)
	s_cmp_lg_u64 s[2:3], 0
	v_mul_lo_u32 v0, 0, s28
	v_mul_lo_u32 v2, v3, s29
	v_mad_u64_u32 v[5:6], null, v3, s28, 0
	s_mul_i32 s33, s27, s26
	s_mul_hi_u32 s26, s4, 3
	s_cselect_b32 s1, -1, 0
	s_add_i32 s39, s26, s0
	v_mad_u64_u32 v[7:8], null, v3, s46, 0
	s_delay_alu instid0(VALU_DEP_2) | instskip(SKIP_3) | instid1(VALU_DEP_4)
	v_add3_u32 v6, v6, v2, v0
	v_mul_lo_u32 v0, 0, s46
	v_mul_lo_u32 v2, v3, s47
	v_mad_u64_u32 v[9:10], null, v3, s30, 0
	v_lshlrev_b64 v[5:6], 1, v[5:6]
	s_mul_i32 s0, s33, s29
	s_mul_hi_u32 s26, s33, s28
	s_sub_u32 s41, 0, s4
	s_subb_u32 s42, 0, s5
	s_delay_alu instid0(VALU_DEP_3) | instskip(SKIP_3) | instid1(VALU_DEP_4)
	v_add3_u32 v8, v8, v2, v0
	v_mul_lo_u32 v0, 0, s30
	v_mul_lo_u32 v2, v3, s31
	v_add_co_u32 v5, vcc_lo, s36, v5
	v_lshlrev_b64 v[7:8], 1, v[7:8]
	v_add_co_ci_u32_e32 v6, vcc_lo, s37, v6, vcc_lo
	s_add_i32 s27, s26, s0
	s_mul_i32 s26, s33, s28
	s_delay_alu instid0(VALU_DEP_4) | instskip(SKIP_3) | instid1(VALU_DEP_2)
	v_add3_u32 v10, v10, v2, v0
	v_rcp_iflag_f32_e32 v0, v11
	v_add_co_u32 v7, vcc_lo, s44, v7
	s_mul_i32 s0, s33, s47
	v_lshlrev_b64 v[9:10], 1, v[9:10]
	s_mul_hi_u32 s28, s33, s46
	v_add_co_ci_u32_e32 v8, vcc_lo, s45, v8, vcc_lo
	s_add_i32 s29, s28, s0
	s_mul_i32 s0, s33, s31
	s_waitcnt_depctr 0xfff
	v_mul_f32_e32 v0, 0x4f7ffffe, v0
	v_add_co_u32 v9, vcc_lo, s34, v9
	s_mul_hi_u32 s31, s33, s30
	v_add_co_ci_u32_e32 v10, vcc_lo, s35, v10, vcc_lo
	s_delay_alu instid0(VALU_DEP_3)
	v_cvt_u32_f32_e32 v0, v0
	s_mul_i32 s28, s33, s46
	s_add_i32 s31, s31, s0
	s_mul_i32 s30, s33, s30
	s_mul_i32 s40, s4, 3
	s_lshl_b64 s[26:27], s[26:27], 1
	s_lshl_b64 s[28:29], s[28:29], 1
	;; [unrolled: 1-line block ×3, first 2 shown]
	s_ashr_i32 s34, s5, 31
	s_mov_b32 s43, 0xbbbac73d
	s_branch .LBB14_3
.LBB14_2:                               ;   in Loop: Header=BB14_3 Depth=1
	s_or_b32 exec_lo, exec_lo, s0
	v_lshlrev_b32_e32 v20, 16, v20
	v_lshlrev_b32_e32 v21, 16, v21
	;; [unrolled: 1-line block ×3, first 2 shown]
	s_waitcnt_depctr 0xfff
	v_bfi_b32 v35, 0x7fffffff, v24, v22
	v_bfe_u32 v38, v17, 16, 1
	v_mul_lo_u32 v19, v19, s24
	v_dual_add_f32 v20, v20, v21 :: v_dual_lshlrev_b32 v21, 16, v27
	v_mul_lo_u32 v29, v12, s25
	v_mul_lo_u32 v27, v11, s25
	;; [unrolled: 1-line block ×3, first 2 shown]
	s_delay_alu instid0(VALU_DEP_4)
	v_add_f32_e32 v20, v20, v25
	v_mul_lo_u32 v33, v14, s24
	v_mul_lo_u32 v34, v13, s25
	v_add3_u32 v38, v17, v38, 0x7fff
	v_mul_lo_u32 v2, v2, s24
	v_add_f32_e32 v20, v20, v21
	v_bfe_u32 v24, v18, 16, 1
	v_mul_lo_u32 v16, v16, s24
	v_bfe_u32 v37, v23, 16, 1
	v_add_co_u32 v3, s0, v3, s33
	v_mul_f32_e32 v21, 0xbfb8aa3b, v20
	v_cmp_nlt_f32_e32 vcc_lo, 0x42ce8ed0, v20
	v_add3_u32 v24, v18, v24, 0x7fff
	v_add3_u32 v37, v23, v37, 0x7fff
	v_add_co_ci_u32_e64 v4, s0, 0, v4, s0
	v_fma_f32 v25, 0xbfb8aa3b, v20, -v21
	v_rndne_f32_e32 v26, v21
	v_add_co_u32 v5, s0, v5, s26
	s_delay_alu instid0(VALU_DEP_1) | instskip(NEXT) | instid1(VALU_DEP_4)
	v_add_co_ci_u32_e64 v6, s0, s27, v6, s0
	v_fmac_f32_e32 v25, 0xb2a5705f, v20
	s_delay_alu instid0(VALU_DEP_4) | instskip(SKIP_1) | instid1(VALU_DEP_2)
	v_sub_f32_e32 v21, v21, v26
	v_cmp_le_i64_e64 s0, s[6:7], v[3:4]
	v_add_f32_e32 v21, v21, v25
	v_cvt_i32_f32_e32 v25, v26
	s_delay_alu instid0(VALU_DEP_3) | instskip(NEXT) | instid1(VALU_DEP_2)
	s_or_b32 s38, s0, s38
	v_exp_f32_e32 v21, v21
	s_waitcnt_depctr 0xfff
	v_ldexp_f32 v21, v21, v25
	v_mad_u64_u32 v[25:26], null, v12, s24, 0
	s_delay_alu instid0(VALU_DEP_2) | instskip(SKIP_1) | instid1(VALU_DEP_3)
	v_cndmask_b32_e32 v21, 0, v21, vcc_lo
	v_cmp_ngt_f32_e32 vcc_lo, 0xc2b17218, v20
	v_add3_u32 v26, v26, v29, v19
	v_lshrrev_b32_e32 v29, 16, v38
	s_delay_alu instid0(VALU_DEP_4) | instskip(NEXT) | instid1(VALU_DEP_1)
	v_cndmask_b32_e32 v20, 0x7f800000, v21, vcc_lo
	v_add_f32_e32 v28, 1.0, v20
	v_mad_u64_u32 v[20:21], null, v11, s24, 0
	v_mad_u64_u32 v[11:12], null, v15, s24, 0
	s_delay_alu instid0(VALU_DEP_3) | instskip(SKIP_2) | instid1(VALU_DEP_3)
	v_div_scale_f32 v30, null, v28, v28, 1.0
	v_div_scale_f32 v39, vcc_lo, 1.0, v28, 1.0
	v_mad_u64_u32 v[14:15], null, v13, s24, 0
	v_rcp_f32_e32 v32, v30
	v_bfe_u32 v13, v22, 16, 1
	v_add3_u32 v21, v21, v27, v2
	v_add3_u32 v12, v12, v31, v16
	v_lshrrev_b32_e32 v16, 16, v24
	v_lshrrev_b32_e32 v27, 16, v37
	v_add3_u32 v13, v22, v13, 0x7fff
	v_lshlrev_b64 v[19:20], 1, v[20:21]
	v_lshlrev_b64 v[24:25], 1, v[25:26]
	v_add3_u32 v15, v15, v34, v33
	v_fma_f32 v36, -v30, v32, 1.0
	v_lshrrev_b32_e32 v2, 16, v13
	v_lshlrev_b64 v[11:12], 1, v[11:12]
	s_delay_alu instid0(VALU_DEP_3) | instskip(NEXT) | instid1(VALU_DEP_1)
	v_fmac_f32_e32 v32, v36, v32
	v_mul_f32_e32 v36, v39, v32
	s_delay_alu instid0(VALU_DEP_1) | instskip(NEXT) | instid1(VALU_DEP_1)
	v_fma_f32 v40, -v30, v36, v39
	v_fmac_f32_e32 v36, v40, v32
	s_delay_alu instid0(VALU_DEP_1) | instskip(NEXT) | instid1(VALU_DEP_1)
	v_fma_f32 v13, -v30, v36, v39
	v_div_fmas_f32 v30, v13, v32, v36
	v_cmp_o_f32_e32 vcc_lo, v22, v22
	v_lshlrev_b64 v[13:14], 1, v[14:15]
	s_delay_alu instid0(VALU_DEP_3) | instskip(SKIP_2) | instid1(VALU_DEP_3)
	v_div_fixup_f32 v21, v30, v28, 1.0
	v_cndmask_b32_e32 v2, 0x7fc0, v2, vcc_lo
	v_cmp_o_f32_e32 vcc_lo, v18, v18
	v_mul_f32_e32 v26, v21, v35
	v_cndmask_b32_e32 v22, 0x7fc0, v16, vcc_lo
	v_cmp_o_f32_e32 vcc_lo, v23, v23
	v_cndmask_b32_e32 v23, 0x7fc0, v27, vcc_lo
	v_cmp_o_f32_e32 vcc_lo, v17, v17
	v_bfe_u32 v17, v26, 16, 1
	v_cndmask_b32_e32 v27, 0x7fc0, v29, vcc_lo
	v_add_co_u32 v15, vcc_lo, s22, v19
	v_add_co_ci_u32_e32 v16, vcc_lo, s23, v20, vcc_lo
	s_delay_alu instid0(VALU_DEP_4)
	v_add3_u32 v20, v26, v17, 0x7fff
	v_add_co_u32 v17, vcc_lo, s22, v24
	v_add_co_ci_u32_e32 v18, vcc_lo, s23, v25, vcc_lo
	v_add_co_u32 v11, vcc_lo, s22, v11
	v_bfe_u32 v19, v21, 16, 1
	v_add_co_ci_u32_e32 v12, vcc_lo, s23, v12, vcc_lo
	v_lshrrev_b32_e32 v20, 16, v20
	v_cmp_o_f32_e32 vcc_lo, v26, v26
	s_delay_alu instid0(VALU_DEP_4) | instskip(NEXT) | instid1(VALU_DEP_3)
	v_add3_u32 v19, v21, v19, 0x7fff
	v_cndmask_b32_e32 v20, 0x7fc0, v20, vcc_lo
	v_add_co_u32 v13, vcc_lo, s22, v13
	v_add_co_ci_u32_e32 v14, vcc_lo, s23, v14, vcc_lo
	s_delay_alu instid0(VALU_DEP_4)
	v_lshrrev_b32_e32 v19, 16, v19
	v_cmp_o_f32_e32 vcc_lo, v21, v21
	global_store_b16 v[7:8], v20, off
	global_store_b16 v[9:10], v2, off
	s_clause 0x1
	global_store_b16 v[15:16], v22, off
	global_store_b16 v[17:18], v23, off
	v_cndmask_b32_e32 v19, 0x7fc0, v19, vcc_lo
	v_add_co_u32 v7, vcc_lo, v7, s28
	v_add_co_ci_u32_e32 v8, vcc_lo, s29, v8, vcc_lo
	v_add_co_u32 v9, vcc_lo, v9, s30
	v_add_co_ci_u32_e32 v10, vcc_lo, s31, v10, vcc_lo
	s_clause 0x1
	global_store_b16 v[11:12], v27, off
	global_store_b16 v[13:14], v19, off
	s_and_not1_b32 exec_lo, exec_lo, s38
	s_cbranch_execz .LBB14_17
.LBB14_3:                               ; =>This Inner Loop Header: Depth=1
	v_or_b32_e32 v2, s5, v4
                                        ; implicit-def: $vgpr17_vgpr18
	s_mov_b32 s0, exec_lo
	s_delay_alu instid0(VALU_DEP_1)
	v_cmpx_ne_u64_e32 0, v[1:2]
	s_xor_b32 s44, exec_lo, s0
	s_cbranch_execz .LBB14_5
; %bb.4:                                ;   in Loop: Header=BB14_3 Depth=1
	s_add_u32 s36, s4, s34
	s_mov_b32 s35, s34
	s_addc_u32 s37, s5, s34
	s_delay_alu instid0(SALU_CYCLE_1) | instskip(NEXT) | instid1(SALU_CYCLE_1)
	s_xor_b64 s[36:37], s[36:37], s[34:35]
	v_cvt_f32_u32_e32 v2, s36
	v_cvt_f32_u32_e32 v11, s37
	s_sub_u32 s0, 0, s36
	s_subb_u32 s35, 0, s37
	s_delay_alu instid0(VALU_DEP_1) | instskip(NEXT) | instid1(VALU_DEP_1)
	v_fmac_f32_e32 v2, 0x4f800000, v11
	v_rcp_f32_e32 v2, v2
	s_waitcnt_depctr 0xfff
	v_mul_f32_e32 v2, 0x5f7ffffc, v2
	s_delay_alu instid0(VALU_DEP_1) | instskip(NEXT) | instid1(VALU_DEP_1)
	v_mul_f32_e32 v11, 0x2f800000, v2
	v_trunc_f32_e32 v11, v11
	s_delay_alu instid0(VALU_DEP_1) | instskip(SKIP_1) | instid1(VALU_DEP_2)
	v_fmac_f32_e32 v2, 0xcf800000, v11
	v_cvt_u32_f32_e32 v11, v11
	v_cvt_u32_f32_e32 v2, v2
	s_delay_alu instid0(VALU_DEP_2) | instskip(NEXT) | instid1(VALU_DEP_2)
	v_mul_lo_u32 v12, s0, v11
	v_mul_hi_u32 v13, s0, v2
	v_mul_lo_u32 v14, s35, v2
	s_delay_alu instid0(VALU_DEP_2) | instskip(SKIP_1) | instid1(VALU_DEP_2)
	v_add_nc_u32_e32 v12, v13, v12
	v_mul_lo_u32 v13, s0, v2
	v_add_nc_u32_e32 v12, v12, v14
	s_delay_alu instid0(VALU_DEP_2) | instskip(NEXT) | instid1(VALU_DEP_2)
	v_mul_hi_u32 v14, v2, v13
	v_mul_lo_u32 v15, v2, v12
	v_mul_hi_u32 v16, v2, v12
	v_mul_hi_u32 v17, v11, v13
	v_mul_lo_u32 v13, v11, v13
	v_mul_hi_u32 v18, v11, v12
	v_mul_lo_u32 v12, v11, v12
	v_add_co_u32 v14, vcc_lo, v14, v15
	v_add_co_ci_u32_e32 v15, vcc_lo, 0, v16, vcc_lo
	s_delay_alu instid0(VALU_DEP_2) | instskip(NEXT) | instid1(VALU_DEP_2)
	v_add_co_u32 v13, vcc_lo, v14, v13
	v_add_co_ci_u32_e32 v13, vcc_lo, v15, v17, vcc_lo
	v_add_co_ci_u32_e32 v14, vcc_lo, 0, v18, vcc_lo
	v_ashrrev_i32_e32 v17, 31, v4
	s_delay_alu instid0(VALU_DEP_3) | instskip(NEXT) | instid1(VALU_DEP_3)
	v_add_co_u32 v12, vcc_lo, v13, v12
	v_add_co_ci_u32_e32 v13, vcc_lo, 0, v14, vcc_lo
	s_delay_alu instid0(VALU_DEP_2) | instskip(NEXT) | instid1(VALU_DEP_2)
	v_add_co_u32 v2, vcc_lo, v2, v12
	v_add_co_ci_u32_e32 v11, vcc_lo, v11, v13, vcc_lo
	s_delay_alu instid0(VALU_DEP_2) | instskip(SKIP_1) | instid1(VALU_DEP_3)
	v_mul_hi_u32 v12, s0, v2
	v_mul_lo_u32 v14, s35, v2
	v_mul_lo_u32 v13, s0, v11
	s_delay_alu instid0(VALU_DEP_1) | instskip(SKIP_1) | instid1(VALU_DEP_2)
	v_add_nc_u32_e32 v12, v12, v13
	v_mul_lo_u32 v13, s0, v2
	v_add_nc_u32_e32 v12, v12, v14
	s_delay_alu instid0(VALU_DEP_2) | instskip(NEXT) | instid1(VALU_DEP_2)
	v_mul_hi_u32 v14, v2, v13
	v_mul_lo_u32 v15, v2, v12
	v_mul_hi_u32 v16, v2, v12
	v_mul_hi_u32 v18, v11, v13
	v_mul_lo_u32 v13, v11, v13
	v_mul_hi_u32 v19, v11, v12
	v_mul_lo_u32 v12, v11, v12
	v_add_co_u32 v14, vcc_lo, v14, v15
	v_add_co_ci_u32_e32 v15, vcc_lo, 0, v16, vcc_lo
	s_delay_alu instid0(VALU_DEP_2) | instskip(NEXT) | instid1(VALU_DEP_2)
	v_add_co_u32 v13, vcc_lo, v14, v13
	v_add_co_ci_u32_e32 v13, vcc_lo, v15, v18, vcc_lo
	v_add_co_ci_u32_e32 v14, vcc_lo, 0, v19, vcc_lo
	v_add_co_u32 v15, vcc_lo, v3, v17
	v_add_co_ci_u32_e32 v16, vcc_lo, v4, v17, vcc_lo
	s_delay_alu instid0(VALU_DEP_4) | instskip(NEXT) | instid1(VALU_DEP_4)
	v_add_co_u32 v12, vcc_lo, v13, v12
	v_add_co_ci_u32_e32 v13, vcc_lo, 0, v14, vcc_lo
	s_delay_alu instid0(VALU_DEP_4) | instskip(NEXT) | instid1(VALU_DEP_3)
	v_xor_b32_e32 v18, v15, v17
	v_add_co_u32 v2, vcc_lo, v2, v12
	s_delay_alu instid0(VALU_DEP_3) | instskip(SKIP_1) | instid1(VALU_DEP_3)
	v_add_co_ci_u32_e32 v19, vcc_lo, v11, v13, vcc_lo
	v_xor_b32_e32 v20, v16, v17
	v_mul_hi_u32 v21, v18, v2
	s_delay_alu instid0(VALU_DEP_3) | instskip(NEXT) | instid1(VALU_DEP_3)
	v_mad_u64_u32 v[11:12], null, v18, v19, 0
	v_mad_u64_u32 v[13:14], null, v20, v2, 0
	;; [unrolled: 1-line block ×3, first 2 shown]
	s_delay_alu instid0(VALU_DEP_3) | instskip(NEXT) | instid1(VALU_DEP_4)
	v_add_co_u32 v2, vcc_lo, v21, v11
	v_add_co_ci_u32_e32 v11, vcc_lo, 0, v12, vcc_lo
	s_delay_alu instid0(VALU_DEP_2) | instskip(NEXT) | instid1(VALU_DEP_2)
	v_add_co_u32 v2, vcc_lo, v2, v13
	v_add_co_ci_u32_e32 v2, vcc_lo, v11, v14, vcc_lo
	v_add_co_ci_u32_e32 v11, vcc_lo, 0, v16, vcc_lo
	s_delay_alu instid0(VALU_DEP_2) | instskip(NEXT) | instid1(VALU_DEP_2)
	v_add_co_u32 v2, vcc_lo, v2, v15
	v_add_co_ci_u32_e32 v13, vcc_lo, 0, v11, vcc_lo
	s_delay_alu instid0(VALU_DEP_2) | instskip(SKIP_1) | instid1(VALU_DEP_3)
	v_mul_lo_u32 v14, s37, v2
	v_mad_u64_u32 v[11:12], null, s36, v2, 0
	v_mul_lo_u32 v15, s36, v13
	s_delay_alu instid0(VALU_DEP_2) | instskip(NEXT) | instid1(VALU_DEP_2)
	v_sub_co_u32 v11, vcc_lo, v18, v11
	v_add3_u32 v12, v12, v15, v14
	s_delay_alu instid0(VALU_DEP_1) | instskip(NEXT) | instid1(VALU_DEP_1)
	v_sub_nc_u32_e32 v14, v20, v12
	v_subrev_co_ci_u32_e64 v14, s0, s37, v14, vcc_lo
	v_add_co_u32 v15, s0, v2, 2
	s_delay_alu instid0(VALU_DEP_1) | instskip(SKIP_3) | instid1(VALU_DEP_3)
	v_add_co_ci_u32_e64 v16, s0, 0, v13, s0
	v_sub_co_u32 v18, s0, v11, s36
	v_sub_co_ci_u32_e32 v12, vcc_lo, v20, v12, vcc_lo
	v_subrev_co_ci_u32_e64 v14, s0, 0, v14, s0
	v_cmp_le_u32_e32 vcc_lo, s36, v18
	s_delay_alu instid0(VALU_DEP_3) | instskip(SKIP_1) | instid1(VALU_DEP_4)
	v_cmp_eq_u32_e64 s0, s37, v12
	v_cndmask_b32_e64 v18, 0, -1, vcc_lo
	v_cmp_le_u32_e32 vcc_lo, s37, v14
	v_cndmask_b32_e64 v19, 0, -1, vcc_lo
	v_cmp_le_u32_e32 vcc_lo, s36, v11
	;; [unrolled: 2-line block ×3, first 2 shown]
	v_cndmask_b32_e64 v20, 0, -1, vcc_lo
	v_cmp_eq_u32_e32 vcc_lo, s37, v14
	s_delay_alu instid0(VALU_DEP_2) | instskip(SKIP_3) | instid1(VALU_DEP_3)
	v_cndmask_b32_e64 v11, v20, v11, s0
	v_cndmask_b32_e32 v14, v19, v18, vcc_lo
	v_add_co_u32 v18, vcc_lo, v2, 1
	v_add_co_ci_u32_e32 v19, vcc_lo, 0, v13, vcc_lo
	v_cmp_ne_u32_e32 vcc_lo, 0, v14
	s_delay_alu instid0(VALU_DEP_2) | instskip(NEXT) | instid1(VALU_DEP_4)
	v_cndmask_b32_e32 v12, v19, v16, vcc_lo
	v_cndmask_b32_e32 v14, v18, v15, vcc_lo
	v_cmp_ne_u32_e32 vcc_lo, 0, v11
	v_xor_b32_e32 v11, s34, v17
	s_delay_alu instid0(VALU_DEP_3) | instskip(SKIP_1) | instid1(VALU_DEP_2)
	v_cndmask_b32_e32 v2, v2, v14, vcc_lo
	v_cndmask_b32_e32 v12, v13, v12, vcc_lo
	v_xor_b32_e32 v2, v2, v11
	s_delay_alu instid0(VALU_DEP_2) | instskip(NEXT) | instid1(VALU_DEP_2)
	v_xor_b32_e32 v12, v12, v11
	v_sub_co_u32 v17, vcc_lo, v2, v11
	s_delay_alu instid0(VALU_DEP_2)
	v_sub_co_ci_u32_e32 v18, vcc_lo, v12, v11, vcc_lo
.LBB14_5:                               ;   in Loop: Header=BB14_3 Depth=1
	s_and_not1_saveexec_b32 s0, s44
	s_cbranch_execz .LBB14_7
; %bb.6:                                ;   in Loop: Header=BB14_3 Depth=1
	s_sub_i32 s35, 0, s4
	v_mov_b32_e32 v18, v1
	v_mul_lo_u32 v2, s35, v0
	s_delay_alu instid0(VALU_DEP_1) | instskip(NEXT) | instid1(VALU_DEP_1)
	v_mul_hi_u32 v2, v0, v2
	v_add_nc_u32_e32 v2, v0, v2
	s_delay_alu instid0(VALU_DEP_1) | instskip(NEXT) | instid1(VALU_DEP_1)
	v_mul_hi_u32 v2, v3, v2
	v_mul_lo_u32 v11, v2, s4
	v_add_nc_u32_e32 v12, 1, v2
	s_delay_alu instid0(VALU_DEP_2) | instskip(NEXT) | instid1(VALU_DEP_1)
	v_sub_nc_u32_e32 v11, v3, v11
	v_subrev_nc_u32_e32 v13, s4, v11
	v_cmp_le_u32_e32 vcc_lo, s4, v11
	s_delay_alu instid0(VALU_DEP_2) | instskip(NEXT) | instid1(VALU_DEP_1)
	v_dual_cndmask_b32 v11, v11, v13 :: v_dual_cndmask_b32 v2, v2, v12
	v_cmp_le_u32_e32 vcc_lo, s4, v11
	s_delay_alu instid0(VALU_DEP_2) | instskip(NEXT) | instid1(VALU_DEP_1)
	v_add_nc_u32_e32 v12, 1, v2
	v_cndmask_b32_e32 v17, v2, v12, vcc_lo
.LBB14_7:                               ;   in Loop: Header=BB14_3 Depth=1
	s_or_b32 exec_lo, exec_lo, s0
	s_delay_alu instid0(VALU_DEP_1) | instskip(SKIP_3) | instid1(VALU_DEP_4)
	v_mad_u64_u32 v[14:15], null, v17, 3, 0
	v_mad_u64_u32 v[11:12], null, s40, v17, v[3:4]
	v_mul_lo_u32 v2, s40, v18
	v_mul_lo_u32 v16, s39, v17
	v_mov_b32_e32 v13, v15
	s_delay_alu instid0(VALU_DEP_4) | instskip(SKIP_1) | instid1(VALU_DEP_4)
	v_mad_u64_u32 v[20:21], null, v11, s10, 0
	v_mul_lo_u32 v34, v11, s15
	v_add3_u32 v2, v16, v12, v2
	s_delay_alu instid0(VALU_DEP_4) | instskip(SKIP_1) | instid1(VALU_DEP_3)
	v_mad_u64_u32 v[15:16], null, v18, 3, v[13:14]
	v_mul_lo_u32 v12, v11, s11
	v_mul_lo_u32 v13, v2, s10
	;; [unrolled: 1-line block ×3, first 2 shown]
	s_delay_alu instid0(VALU_DEP_4) | instskip(SKIP_1) | instid1(VALU_DEP_4)
	v_mov_b32_e32 v19, v15
	v_add_co_u32 v15, vcc_lo, v14, 1
	v_add3_u32 v21, v21, v12, v13
	s_delay_alu instid0(VALU_DEP_3)
	v_add_co_ci_u32_e32 v16, vcc_lo, 0, v19, vcc_lo
	v_add_co_u32 v23, vcc_lo, v14, 2
	v_add_co_ci_u32_e32 v24, vcc_lo, 0, v19, vcc_lo
	v_mul_lo_u32 v22, s5, v15
	v_mad_u64_u32 v[12:13], null, s4, v15, v[3:4]
	v_mul_lo_u32 v26, s4, v16
	v_mul_lo_u32 v25, s5, v23
	v_mad_u64_u32 v[15:16], null, s4, v23, v[3:4]
	v_mul_lo_u32 v23, s4, v24
	v_add_co_u32 v27, vcc_lo, v14, 3
	v_add_co_ci_u32_e32 v24, vcc_lo, 0, v19, vcc_lo
	v_add3_u32 v19, v22, v13, v26
	s_delay_alu instid0(VALU_DEP_3) | instskip(SKIP_1) | instid1(VALU_DEP_4)
	v_mul_lo_u32 v28, s5, v27
	v_mad_u64_u32 v[13:14], null, s4, v27, v[3:4]
	v_mul_lo_u32 v26, s4, v24
	v_add3_u32 v16, v25, v16, v23
	v_mul_lo_u32 v27, v12, s11
	v_mul_lo_u32 v29, v19, s10
	v_mad_u64_u32 v[22:23], null, v12, s10, 0
	v_mul_lo_u32 v30, v15, s11
	v_mad_u64_u32 v[24:25], null, v15, s10, 0
	v_mul_lo_u32 v31, v16, s10
	v_add3_u32 v14, v28, v14, v26
	v_lshlrev_b64 v[20:21], 1, v[20:21]
	v_add3_u32 v23, v23, v27, v29
	v_mul_lo_u32 v28, v13, s11
	v_mad_u64_u32 v[26:27], null, v13, s10, 0
	v_mul_lo_u32 v29, v14, s10
	v_add3_u32 v25, v25, v30, v31
	v_lshlrev_b64 v[22:23], 1, v[22:23]
	v_add_co_u32 v20, vcc_lo, s8, v20
	v_add_co_ci_u32_e32 v21, vcc_lo, s9, v21, vcc_lo
	s_delay_alu instid0(VALU_DEP_4) | instskip(NEXT) | instid1(VALU_DEP_4)
	v_lshlrev_b64 v[24:25], 1, v[24:25]
	v_add_co_u32 v22, vcc_lo, s8, v22
	v_add3_u32 v27, v27, v28, v29
	v_add_co_ci_u32_e32 v23, vcc_lo, s9, v23, vcc_lo
	s_delay_alu instid0(VALU_DEP_4) | instskip(SKIP_1) | instid1(VALU_DEP_4)
	v_add_co_u32 v28, vcc_lo, s8, v24
	v_add_co_ci_u32_e32 v29, vcc_lo, s9, v25, vcc_lo
	v_lshlrev_b64 v[24:25], 1, v[26:27]
	v_mad_u64_u32 v[26:27], null, v11, s14, 0
	v_mul_lo_u32 v36, v19, s14
	v_mul_lo_u32 v37, v12, s15
	v_mad_u64_u32 v[30:31], null, v12, s14, 0
	v_add_co_u32 v32, vcc_lo, s8, v24
	v_add_co_ci_u32_e32 v33, vcc_lo, s9, v25, vcc_lo
	v_mul_lo_u32 v38, v16, s14
	v_mul_lo_u32 v39, v15, s15
	v_mad_u64_u32 v[24:25], null, v15, s14, 0
	v_add3_u32 v27, v27, v34, v35
	v_add3_u32 v31, v31, v37, v36
	v_mul_lo_u32 v36, v14, s14
	v_mul_lo_u32 v37, v13, s15
	v_mad_u64_u32 v[34:35], null, v13, s14, 0
	v_lshlrev_b64 v[26:27], 1, v[26:27]
	v_add3_u32 v25, v25, v39, v38
	v_lshlrev_b64 v[30:31], 1, v[30:31]
	s_delay_alu instid0(VALU_DEP_4) | instskip(NEXT) | instid1(VALU_DEP_4)
	v_add3_u32 v35, v35, v37, v36
	v_add_co_u32 v26, vcc_lo, s12, v26
	s_delay_alu instid0(VALU_DEP_4)
	v_lshlrev_b64 v[24:25], 1, v[24:25]
	v_add_co_ci_u32_e32 v27, vcc_lo, s13, v27, vcc_lo
	v_add_co_u32 v30, vcc_lo, s12, v30
	v_lshlrev_b64 v[34:35], 1, v[34:35]
	v_add_co_ci_u32_e32 v31, vcc_lo, s13, v31, vcc_lo
	v_add_co_u32 v36, vcc_lo, s12, v24
	v_add_co_ci_u32_e32 v37, vcc_lo, s13, v25, vcc_lo
	s_delay_alu instid0(VALU_DEP_4)
	v_add_co_u32 v34, vcc_lo, s12, v34
	v_add_co_ci_u32_e32 v35, vcc_lo, s13, v35, vcc_lo
	s_clause 0x3
	global_load_u16 v25, v[20:21], off
	global_load_u16 v23, v[22:23], off
	;; [unrolled: 1-line block ×4, first 2 shown]
	s_clause 0x3
	global_load_u16 v26, v[26:27], off
	global_load_u16 v24, v[30:31], off
	;; [unrolled: 1-line block ×5, first 2 shown]
	v_dual_mov_b32 v28, 0 :: v_dual_mov_b32 v27, 0
	v_dual_mov_b32 v36, 0 :: v_dual_mov_b32 v35, 0
	;; [unrolled: 1-line block ×4, first 2 shown]
	s_and_not1_b32 vcc_lo, exec_lo, s1
	s_cbranch_vccnz .LBB14_9
; %bb.8:                                ;   in Loop: Header=BB14_3 Depth=1
	v_sub_co_u32 v33, vcc_lo, 1, v17
	v_sub_co_ci_u32_e32 v31, vcc_lo, 0, v18, vcc_lo
	v_mad_u64_u32 v[27:28], null, s41, v17, v[3:4]
	s_delay_alu instid0(VALU_DEP_3) | instskip(NEXT) | instid1(VALU_DEP_3)
	v_mul_lo_u32 v37, s5, v33
	v_mul_lo_u32 v36, s4, v31
	v_mad_u64_u32 v[31:32], null, s4, v33, v[3:4]
	v_mul_lo_u32 v34, s41, v18
	v_mul_lo_u32 v35, s42, v17
	;; [unrolled: 1-line block ×3, first 2 shown]
	s_delay_alu instid0(VALU_DEP_4) | instskip(SKIP_1) | instid1(VALU_DEP_4)
	v_add3_u32 v42, v37, v32, v36
	v_sub_co_u32 v36, vcc_lo, 2, v17
	v_add3_u32 v28, v35, v28, v34
	v_sub_co_ci_u32_e32 v34, vcc_lo, 0, v18, vcc_lo
	s_delay_alu instid0(VALU_DEP_3) | instskip(SKIP_1) | instid1(VALU_DEP_3)
	v_mul_lo_u32 v38, s5, v36
	v_sub_co_u32 v43, vcc_lo, 3, v17
	v_mul_lo_u32 v37, s4, v34
	v_mad_u64_u32 v[34:35], null, s4, v36, v[3:4]
	v_sub_co_ci_u32_e32 v36, vcc_lo, 0, v18, vcc_lo
	v_mul_lo_u32 v41, v42, s16
	v_mul_lo_u32 v44, v31, s17
	v_mad_u64_u32 v[17:18], null, v31, s16, 0
	v_add3_u32 v45, v38, v35, v37
	v_mul_lo_u32 v46, s4, v36
	v_mul_lo_u32 v47, s5, v43
	v_mad_u64_u32 v[35:36], null, s4, v43, v[3:4]
	v_mul_lo_u32 v40, v28, s16
	v_mad_u64_u32 v[32:33], null, v27, s16, 0
	v_mul_lo_u32 v43, v45, s16
	v_mul_lo_u32 v48, v34, s17
	v_mad_u64_u32 v[37:38], null, v34, s16, 0
	v_add3_u32 v18, v18, v44, v41
	v_add3_u32 v44, v47, v36, v46
	;; [unrolled: 1-line block ×3, first 2 shown]
	v_mad_u64_u32 v[39:40], null, v35, s16, 0
	v_mul_lo_u32 v46, v28, s20
	v_add3_u32 v38, v38, v48, v43
	v_mul_lo_u32 v41, v44, s16
	v_mul_lo_u32 v43, v35, s17
	v_lshlrev_b64 v[32:33], 1, v[32:33]
	v_mul_lo_u32 v47, v42, s20
	v_lshlrev_b64 v[36:37], 1, v[37:38]
	;; [unrolled: 2-line block ×3, first 2 shown]
	v_add_co_u32 v32, vcc_lo, s2, v32
	v_add3_u32 v40, v40, v43, v41
	v_mul_lo_u32 v43, v27, s21
	v_add_co_ci_u32_e32 v33, vcc_lo, s3, v33, vcc_lo
	v_add_co_u32 v17, vcc_lo, s2, v17
	s_delay_alu instid0(VALU_DEP_4)
	v_lshlrev_b64 v[38:39], 1, v[39:40]
	v_mad_u64_u32 v[40:41], null, v27, s20, 0
	v_mad_u64_u32 v[27:28], null, v31, s20, 0
	v_mul_lo_u32 v31, v45, s20
	v_add_co_ci_u32_e32 v18, vcc_lo, s3, v18, vcc_lo
	v_add_co_u32 v36, vcc_lo, s2, v36
	v_add3_u32 v41, v41, v43, v46
	v_mul_lo_u32 v46, v34, s21
	v_mad_u64_u32 v[42:43], null, v34, s20, 0
	v_add3_u32 v28, v28, v48, v47
	v_mul_lo_u32 v47, v44, s20
	v_mul_lo_u32 v48, v35, s21
	v_mad_u64_u32 v[44:45], null, v35, s20, 0
	v_lshlrev_b64 v[40:41], 1, v[40:41]
	v_add_co_ci_u32_e32 v37, vcc_lo, s3, v37, vcc_lo
	v_add_co_u32 v38, vcc_lo, s2, v38
	v_lshlrev_b64 v[27:28], 1, v[27:28]
	v_add3_u32 v43, v43, v46, v31
	v_add_co_ci_u32_e32 v39, vcc_lo, s3, v39, vcc_lo
	v_add_co_u32 v40, vcc_lo, s18, v40
	v_add3_u32 v45, v45, v48, v47
	v_add_co_ci_u32_e32 v41, vcc_lo, s19, v41, vcc_lo
	v_lshlrev_b64 v[34:35], 1, v[42:43]
	v_add_co_u32 v42, vcc_lo, s18, v27
	v_add_co_ci_u32_e32 v43, vcc_lo, s19, v28, vcc_lo
	v_lshlrev_b64 v[27:28], 1, v[44:45]
	s_delay_alu instid0(VALU_DEP_4) | instskip(SKIP_1) | instid1(VALU_DEP_3)
	v_add_co_u32 v44, vcc_lo, s18, v34
	v_add_co_ci_u32_e32 v45, vcc_lo, s19, v35, vcc_lo
	v_add_co_u32 v46, vcc_lo, s18, v27
	s_delay_alu instid0(VALU_DEP_4)
	v_add_co_ci_u32_e32 v47, vcc_lo, s19, v28, vcc_lo
	s_clause 0x3
	global_load_u16 v34, v[32:33], off
	global_load_u16 v33, v[17:18], off
	;; [unrolled: 1-line block ×4, first 2 shown]
	s_clause 0x3
	global_load_u16 v32, v[40:41], off
	global_load_u16 v31, v[42:43], off
	;; [unrolled: 1-line block ×4, first 2 shown]
.LBB14_9:                               ;   in Loop: Header=BB14_3 Depth=1
	s_waitcnt vmcnt(6)
	v_lshlrev_b32_e32 v17, 16, v29
	s_waitcnt vmcnt(5)
	v_lshlrev_b32_e32 v29, 16, v36
	;; [unrolled: 2-line block ×3, first 2 shown]
	s_waitcnt vmcnt(1)
	s_delay_alu instid0(VALU_DEP_1) | instskip(NEXT) | instid1(VALU_DEP_1)
	v_dual_add_f32 v17, v17, v18 :: v_dual_lshlrev_b32 v18, 16, v35
	v_add_f32_e32 v17, v17, v29
                                        ; implicit-def: $vgpr29
	s_delay_alu instid0(VALU_DEP_1) | instskip(NEXT) | instid1(VALU_DEP_1)
	v_add_f32_e32 v17, v17, v18
	v_cmp_ngt_f32_e64 s0, 0x3f200000, |v17|
	s_delay_alu instid0(VALU_DEP_1) | instskip(NEXT) | instid1(SALU_CYCLE_1)
	s_and_saveexec_b32 s35, s0
	s_xor_b32 s0, exec_lo, s35
	s_cbranch_execz .LBB14_11
; %bb.10:                               ;   in Loop: Header=BB14_3 Depth=1
	v_add_f32_e64 v18, |v17|, |v17|
	s_delay_alu instid0(VALU_DEP_1) | instskip(SKIP_1) | instid1(VALU_DEP_2)
	v_mul_f32_e32 v29, 0x3fb8aa3b, v18
	v_cmp_ngt_f32_e32 vcc_lo, 0xc2ce8ed0, v18
	v_rndne_f32_e32 v30, v29
	v_fma_f32 v35, 0x3fb8aa3b, v18, -v29
	s_delay_alu instid0(VALU_DEP_2) | instskip(NEXT) | instid1(VALU_DEP_2)
	v_sub_f32_e32 v29, v29, v30
	v_fmac_f32_e32 v35, 0x32a5705f, v18
	v_cvt_i32_f32_e32 v30, v30
	s_delay_alu instid0(VALU_DEP_2) | instskip(NEXT) | instid1(VALU_DEP_1)
	v_add_f32_e32 v29, v29, v35
	v_exp_f32_e32 v29, v29
	s_waitcnt_depctr 0xfff
	v_ldexp_f32 v29, v29, v30
	s_delay_alu instid0(VALU_DEP_1) | instskip(SKIP_1) | instid1(VALU_DEP_2)
	v_cndmask_b32_e32 v29, 0, v29, vcc_lo
	v_cmp_nlt_f32_e32 vcc_lo, 0x42b17218, v18
	v_cndmask_b32_e32 v18, 0x7f800000, v29, vcc_lo
	s_delay_alu instid0(VALU_DEP_1) | instskip(NEXT) | instid1(VALU_DEP_1)
	v_add_f32_e32 v18, 1.0, v18
	v_rcp_f32_e32 v18, v18
	s_waitcnt_depctr 0xfff
	v_fma_f32 v29, v18, -2.0, 1.0
.LBB14_11:                              ;   in Loop: Header=BB14_3 Depth=1
	s_and_not1_saveexec_b32 s0, s0
; %bb.12:                               ;   in Loop: Header=BB14_3 Depth=1
	v_mul_f32_e32 v18, v17, v17
	s_delay_alu instid0(VALU_DEP_1) | instskip(NEXT) | instid1(VALU_DEP_1)
	v_fmaak_f32 v29, s43, v18, 0x3ca908c9
	v_fmaak_f32 v29, v18, v29, 0xbd5c1c4e
	s_delay_alu instid0(VALU_DEP_1) | instskip(NEXT) | instid1(VALU_DEP_1)
	v_fmaak_f32 v29, v18, v29, 0x3e088382
	v_fmaak_f32 v29, v18, v29, 0xbeaaaa99
	s_delay_alu instid0(VALU_DEP_1) | instskip(NEXT) | instid1(VALU_DEP_1)
	v_mul_f32_e64 v29, |v17|, v29
	v_fma_f32 v29, v18, v29, |v17|
; %bb.13:                               ;   in Loop: Header=BB14_3 Depth=1
	s_or_b32 exec_lo, exec_lo, s0
	v_lshlrev_b32_e32 v23, 16, v23
	v_lshlrev_b32_e32 v24, 16, v24
	;; [unrolled: 1-line block ×3, first 2 shown]
	v_bfi_b32 v17, 0x7fffffff, v29, v17
	s_delay_alu instid0(VALU_DEP_3) | instskip(SKIP_3) | instid1(VALU_DEP_2)
	v_add_f32_e32 v23, v23, v24
	v_lshlrev_b32_e32 v24, 16, v32
	v_lshlrev_b32_e32 v25, 16, v26
	;; [unrolled: 1-line block ×3, first 2 shown]
	v_add_f32_e32 v18, v18, v25
	s_delay_alu instid0(VALU_DEP_1) | instskip(NEXT) | instid1(VALU_DEP_1)
	v_dual_add_f32 v18, v18, v26 :: v_dual_lshlrev_b32 v25, 16, v33
	v_dual_add_f32 v23, v23, v25 :: v_dual_lshlrev_b32 v26, 16, v31
	s_delay_alu instid0(VALU_DEP_1) | instskip(NEXT) | instid1(VALU_DEP_1)
	v_dual_add_f32 v23, v23, v26 :: v_dual_add_f32 v18, v18, v24
	v_mul_f32_e32 v25, 0xbfb8aa3b, v23
	s_delay_alu instid0(VALU_DEP_2) | instskip(NEXT) | instid1(VALU_DEP_2)
	v_cmp_nlt_f32_e32 vcc_lo, 0x42ce8ed0, v18
	v_fma_f32 v31, 0xbfb8aa3b, v23, -v25
	v_rndne_f32_e32 v32, v25
	s_delay_alu instid0(VALU_DEP_2) | instskip(NEXT) | instid1(VALU_DEP_2)
	v_fmac_f32_e32 v31, 0xb2a5705f, v23
	v_dual_sub_f32 v25, v25, v32 :: v_dual_mul_f32 v24, 0xbfb8aa3b, v18
	s_delay_alu instid0(VALU_DEP_1) | instskip(NEXT) | instid1(VALU_DEP_2)
	v_add_f32_e32 v25, v25, v31
	v_fma_f32 v26, 0xbfb8aa3b, v18, -v24
	v_rndne_f32_e32 v30, v24
	s_delay_alu instid0(VALU_DEP_3) | instskip(NEXT) | instid1(VALU_DEP_2)
	v_exp_f32_e32 v25, v25
	v_fmac_f32_e32 v26, 0xb2a5705f, v18
	s_delay_alu instid0(VALU_DEP_2) | instskip(NEXT) | instid1(VALU_DEP_1)
	v_sub_f32_e32 v24, v24, v30
	v_add_f32_e32 v24, v24, v26
	v_cvt_i32_f32_e32 v26, v30
	v_cvt_i32_f32_e32 v30, v32
	s_delay_alu instid0(VALU_DEP_3)
	v_exp_f32_e32 v24, v24
	s_delay_alu instid0(TRANS32_DEP_2) | instid1(VALU_DEP_1)
	v_ldexp_f32 v25, v25, v30
	s_waitcnt_depctr 0xfff
	v_ldexp_f32 v24, v24, v26
	s_delay_alu instid0(VALU_DEP_1) | instskip(SKIP_3) | instid1(VALU_DEP_4)
	v_cndmask_b32_e32 v24, 0, v24, vcc_lo
	v_cmp_nlt_f32_e32 vcc_lo, 0x42ce8ed0, v23
	v_cndmask_b32_e32 v25, 0, v25, vcc_lo
	v_cmp_ngt_f32_e32 vcc_lo, 0xc2b17218, v18
	v_cndmask_b32_e32 v18, 0x7f800000, v24, vcc_lo
	v_cmp_ngt_f32_e32 vcc_lo, 0xc2b17218, v23
	s_delay_alu instid0(VALU_DEP_2) | instskip(NEXT) | instid1(VALU_DEP_1)
	v_dual_add_f32 v18, 1.0, v18 :: v_dual_cndmask_b32 v23, 0x7f800000, v25
	v_div_scale_f32 v24, null, v18, v18, 1.0
	s_delay_alu instid0(VALU_DEP_2) | instskip(SKIP_1) | instid1(VALU_DEP_3)
	v_add_f32_e32 v23, 1.0, v23
	v_div_scale_f32 v33, vcc_lo, 1.0, v18, 1.0
	v_rcp_f32_e32 v26, v24
	s_delay_alu instid0(VALU_DEP_2) | instskip(NEXT) | instid1(VALU_DEP_1)
	v_div_scale_f32 v25, null, v23, v23, 1.0
	v_rcp_f32_e32 v30, v25
	s_waitcnt_depctr 0xfff
	v_fma_f32 v31, -v24, v26, 1.0
	s_delay_alu instid0(VALU_DEP_1) | instskip(SKIP_2) | instid1(VALU_DEP_1)
	v_fmac_f32_e32 v26, v31, v26
	v_div_scale_f32 v31, s0, 1.0, v23, 1.0
	v_fma_f32 v32, -v25, v30, 1.0
	v_fmac_f32_e32 v30, v32, v30
	s_delay_alu instid0(VALU_DEP_4) | instskip(NEXT) | instid1(VALU_DEP_2)
	v_mul_f32_e32 v32, v33, v26
	v_mul_f32_e32 v34, v31, v30
	s_delay_alu instid0(VALU_DEP_2) | instskip(NEXT) | instid1(VALU_DEP_2)
	v_fma_f32 v35, -v24, v32, v33
	v_fma_f32 v36, -v25, v34, v31
	s_delay_alu instid0(VALU_DEP_2) | instskip(NEXT) | instid1(VALU_DEP_2)
	v_fmac_f32_e32 v32, v35, v26
	v_fmac_f32_e32 v34, v36, v30
	s_delay_alu instid0(VALU_DEP_2) | instskip(NEXT) | instid1(VALU_DEP_2)
	v_fma_f32 v24, -v24, v32, v33
	v_fma_f32 v25, -v25, v34, v31
	s_delay_alu instid0(VALU_DEP_2) | instskip(SKIP_1) | instid1(VALU_DEP_2)
	v_div_fmas_f32 v24, v24, v26, v32
	s_mov_b32 vcc_lo, s0
	v_div_fmas_f32 v25, v25, v30, v34
	s_delay_alu instid0(VALU_DEP_2) | instskip(SKIP_2) | instid1(VALU_DEP_3)
	v_div_fixup_f32 v18, v24, v18, 1.0
	s_waitcnt vmcnt(0)
	v_lshlrev_b32_e32 v24, 16, v22
	v_div_fixup_f32 v23, v25, v23, 1.0
	s_delay_alu instid0(VALU_DEP_3) | instskip(NEXT) | instid1(VALU_DEP_1)
	v_mul_f32_e32 v22, v18, v17
	v_fmac_f32_e32 v22, v23, v24
                                        ; implicit-def: $vgpr24
	s_delay_alu instid0(VALU_DEP_1) | instskip(NEXT) | instid1(VALU_DEP_1)
	v_cmp_ngt_f32_e64 s0, 0x3f200000, |v22|
	s_and_saveexec_b32 s35, s0
	s_delay_alu instid0(SALU_CYCLE_1)
	s_xor_b32 s0, exec_lo, s35
	s_cbranch_execz .LBB14_15
; %bb.14:                               ;   in Loop: Header=BB14_3 Depth=1
	v_add_f32_e64 v24, |v22|, |v22|
	s_delay_alu instid0(VALU_DEP_1) | instskip(SKIP_1) | instid1(VALU_DEP_2)
	v_mul_f32_e32 v25, 0x3fb8aa3b, v24
	v_cmp_ngt_f32_e32 vcc_lo, 0xc2ce8ed0, v24
	v_rndne_f32_e32 v26, v25
	v_fma_f32 v29, 0x3fb8aa3b, v24, -v25
	s_delay_alu instid0(VALU_DEP_2) | instskip(NEXT) | instid1(VALU_DEP_2)
	v_sub_f32_e32 v25, v25, v26
	v_fmac_f32_e32 v29, 0x32a5705f, v24
	v_cvt_i32_f32_e32 v26, v26
	s_delay_alu instid0(VALU_DEP_2) | instskip(NEXT) | instid1(VALU_DEP_1)
	v_add_f32_e32 v25, v25, v29
	v_exp_f32_e32 v25, v25
	s_waitcnt_depctr 0xfff
	v_ldexp_f32 v25, v25, v26
	s_delay_alu instid0(VALU_DEP_1) | instskip(SKIP_1) | instid1(VALU_DEP_2)
	v_cndmask_b32_e32 v25, 0, v25, vcc_lo
	v_cmp_nlt_f32_e32 vcc_lo, 0x42b17218, v24
	v_cndmask_b32_e32 v24, 0x7f800000, v25, vcc_lo
	s_delay_alu instid0(VALU_DEP_1) | instskip(NEXT) | instid1(VALU_DEP_1)
	v_add_f32_e32 v24, 1.0, v24
	v_rcp_f32_e32 v24, v24
	s_waitcnt_depctr 0xfff
	v_fma_f32 v24, v24, -2.0, 1.0
.LBB14_15:                              ;   in Loop: Header=BB14_3 Depth=1
	s_and_not1_saveexec_b32 s0, s0
	s_cbranch_execz .LBB14_2
; %bb.16:                               ;   in Loop: Header=BB14_3 Depth=1
	v_mul_f32_e32 v24, v22, v22
	s_delay_alu instid0(VALU_DEP_1) | instskip(NEXT) | instid1(VALU_DEP_1)
	v_fmaak_f32 v25, s43, v24, 0x3ca908c9
	v_fmaak_f32 v25, v24, v25, 0xbd5c1c4e
	s_delay_alu instid0(VALU_DEP_1) | instskip(NEXT) | instid1(VALU_DEP_1)
	v_fmaak_f32 v25, v24, v25, 0x3e088382
	v_fmaak_f32 v25, v24, v25, 0xbeaaaa99
	s_delay_alu instid0(VALU_DEP_1) | instskip(NEXT) | instid1(VALU_DEP_1)
	v_mul_f32_e64 v25, |v22|, v25
	v_fma_f32 v24, v24, v25, |v22|
	s_branch .LBB14_2
.LBB14_17:
	s_nop 0
	s_sendmsg sendmsg(MSG_DEALLOC_VGPRS)
	s_endpgm
	.section	.rodata,"a",@progbits
	.p2align	6, 0x0
	.amdhsa_kernel _ZN2at6native12_GLOBAL__N_16kernel17lstm_cell_forwardIN3c108BFloat16EflLi1EEEvNS_4cuda6detail10TensorInfoIT_T1_EESB_SB_SB_SB_SB_SB_SB_SA_SA_
		.amdhsa_group_segment_fixed_size 0
		.amdhsa_private_segment_fixed_size 0
		.amdhsa_kernarg_size 3600
		.amdhsa_user_sgpr_count 15
		.amdhsa_user_sgpr_dispatch_ptr 0
		.amdhsa_user_sgpr_queue_ptr 0
		.amdhsa_user_sgpr_kernarg_segment_ptr 1
		.amdhsa_user_sgpr_dispatch_id 0
		.amdhsa_user_sgpr_private_segment_size 0
		.amdhsa_wavefront_size32 1
		.amdhsa_uses_dynamic_stack 0
		.amdhsa_enable_private_segment 0
		.amdhsa_system_sgpr_workgroup_id_x 1
		.amdhsa_system_sgpr_workgroup_id_y 0
		.amdhsa_system_sgpr_workgroup_id_z 0
		.amdhsa_system_sgpr_workgroup_info 0
		.amdhsa_system_vgpr_workitem_id 0
		.amdhsa_next_free_vgpr 49
		.amdhsa_next_free_sgpr 48
		.amdhsa_reserve_vcc 1
		.amdhsa_float_round_mode_32 0
		.amdhsa_float_round_mode_16_64 0
		.amdhsa_float_denorm_mode_32 3
		.amdhsa_float_denorm_mode_16_64 3
		.amdhsa_dx10_clamp 1
		.amdhsa_ieee_mode 1
		.amdhsa_fp16_overflow 0
		.amdhsa_workgroup_processor_mode 1
		.amdhsa_memory_ordered 1
		.amdhsa_forward_progress 0
		.amdhsa_shared_vgpr_count 0
		.amdhsa_exception_fp_ieee_invalid_op 0
		.amdhsa_exception_fp_denorm_src 0
		.amdhsa_exception_fp_ieee_div_zero 0
		.amdhsa_exception_fp_ieee_overflow 0
		.amdhsa_exception_fp_ieee_underflow 0
		.amdhsa_exception_fp_ieee_inexact 0
		.amdhsa_exception_int_div_zero 0
	.end_amdhsa_kernel
	.section	.text._ZN2at6native12_GLOBAL__N_16kernel17lstm_cell_forwardIN3c108BFloat16EflLi1EEEvNS_4cuda6detail10TensorInfoIT_T1_EESB_SB_SB_SB_SB_SB_SB_SA_SA_,"axG",@progbits,_ZN2at6native12_GLOBAL__N_16kernel17lstm_cell_forwardIN3c108BFloat16EflLi1EEEvNS_4cuda6detail10TensorInfoIT_T1_EESB_SB_SB_SB_SB_SB_SB_SA_SA_,comdat
.Lfunc_end14:
	.size	_ZN2at6native12_GLOBAL__N_16kernel17lstm_cell_forwardIN3c108BFloat16EflLi1EEEvNS_4cuda6detail10TensorInfoIT_T1_EESB_SB_SB_SB_SB_SB_SB_SA_SA_, .Lfunc_end14-_ZN2at6native12_GLOBAL__N_16kernel17lstm_cell_forwardIN3c108BFloat16EflLi1EEEvNS_4cuda6detail10TensorInfoIT_T1_EESB_SB_SB_SB_SB_SB_SB_SA_SA_
                                        ; -- End function
	.section	.AMDGPU.csdata,"",@progbits
; Kernel info:
; codeLenInByte = 4816
; NumSgprs: 50
; NumVgprs: 49
; ScratchSize: 0
; MemoryBound: 0
; FloatMode: 240
; IeeeMode: 1
; LDSByteSize: 0 bytes/workgroup (compile time only)
; SGPRBlocks: 6
; VGPRBlocks: 6
; NumSGPRsForWavesPerEU: 50
; NumVGPRsForWavesPerEU: 49
; Occupancy: 16
; WaveLimiterHint : 1
; COMPUTE_PGM_RSRC2:SCRATCH_EN: 0
; COMPUTE_PGM_RSRC2:USER_SGPR: 15
; COMPUTE_PGM_RSRC2:TRAP_HANDLER: 0
; COMPUTE_PGM_RSRC2:TGID_X_EN: 1
; COMPUTE_PGM_RSRC2:TGID_Y_EN: 0
; COMPUTE_PGM_RSRC2:TGID_Z_EN: 0
; COMPUTE_PGM_RSRC2:TIDIG_COMP_CNT: 0
	.section	.text._ZN2at6native12_GLOBAL__N_16kernel17lstm_cell_forwardIN3c108BFloat16EflLi2EEEvNS_4cuda6detail10TensorInfoIT_T1_EESB_SB_SB_SB_SB_SB_SB_SA_SA_,"axG",@progbits,_ZN2at6native12_GLOBAL__N_16kernel17lstm_cell_forwardIN3c108BFloat16EflLi2EEEvNS_4cuda6detail10TensorInfoIT_T1_EESB_SB_SB_SB_SB_SB_SB_SA_SA_,comdat
	.globl	_ZN2at6native12_GLOBAL__N_16kernel17lstm_cell_forwardIN3c108BFloat16EflLi2EEEvNS_4cuda6detail10TensorInfoIT_T1_EESB_SB_SB_SB_SB_SB_SB_SA_SA_ ; -- Begin function _ZN2at6native12_GLOBAL__N_16kernel17lstm_cell_forwardIN3c108BFloat16EflLi2EEEvNS_4cuda6detail10TensorInfoIT_T1_EESB_SB_SB_SB_SB_SB_SB_SA_SA_
	.p2align	8
	.type	_ZN2at6native12_GLOBAL__N_16kernel17lstm_cell_forwardIN3c108BFloat16EflLi2EEEvNS_4cuda6detail10TensorInfoIT_T1_EESB_SB_SB_SB_SB_SB_SB_SA_SA_,@function
_ZN2at6native12_GLOBAL__N_16kernel17lstm_cell_forwardIN3c108BFloat16EflLi2EEEvNS_4cuda6detail10TensorInfoIT_T1_EESB_SB_SB_SB_SB_SB_SB_SA_SA_: ; @_ZN2at6native12_GLOBAL__N_16kernel17lstm_cell_forwardIN3c108BFloat16EflLi2EEEvNS_4cuda6detail10TensorInfoIT_T1_EESB_SB_SB_SB_SB_SB_SB_SA_SA_
; %bb.0:
	s_clause 0x1
	s_load_b32 s2, s[0:1], 0xd1c
	s_load_b128 s[4:7], s[0:1], 0xd00
	v_mov_b32_e32 v1, 0
	s_add_u32 s16, s0, 0xd10
	s_addc_u32 s17, s1, 0
	s_waitcnt lgkmcnt(0)
	s_and_b32 s33, s2, 0xffff
	s_mov_b32 s2, exec_lo
	v_mad_u64_u32 v[3:4], null, s15, s33, v[0:1]
	v_mov_b32_e32 v4, v1
	s_delay_alu instid0(VALU_DEP_1)
	v_cmpx_gt_i64_e64 s[6:7], v[3:4]
	s_cbranch_execz .LBB15_77
; %bb.1:
	v_cvt_f32_u32_e32 v0, s4
	s_clause 0x6
	s_load_b64 s[2:3], s[0:1], 0x0
	s_load_b64 s[34:35], s[0:1], 0x10
	s_load_b128 s[8:11], s[0:1], 0xd0
	s_load_b64 s[36:37], s[0:1], 0x1a0
	s_load_b64 s[38:39], s[0:1], 0x340
	s_load_b64 s[40:41], s[0:1], 0x1b0
	s_load_b128 s[12:15], s[0:1], 0x270
	s_load_b32 s64, s[16:17], 0x0
	s_clause 0xe
	s_load_b64 s[42:43], s[0:1], 0x410
	s_load_b64 s[44:45], s[0:1], 0x4e0
	;; [unrolled: 1-line block ×5, first 2 shown]
	s_load_b128 s[16:19], s[0:1], 0x750
	s_load_b64 s[52:53], s[0:1], 0x820
	s_load_b64 s[54:55], s[0:1], 0x830
	s_load_b128 s[20:23], s[0:1], 0x8f0
	s_load_b64 s[56:57], s[0:1], 0x9c0
	s_load_b64 s[58:59], s[0:1], 0x9d0
	;; [unrolled: 3-line block ×3, first 2 shown]
	s_load_b128 s[28:31], s[0:1], 0xc30
	s_mul_i32 s0, s5, 3
	s_mov_b32 s68, 0
	v_rcp_iflag_f32_e32 v0, v0
	s_mul_i32 s70, s4, 3
	s_waitcnt lgkmcnt(0)
	s_cmp_lg_u64 s[38:39], 0
	s_mov_b32 s79, 0xbbbac73d
	s_cselect_b32 s1, -1, 0
	s_mul_i32 s33, s64, s33
	s_mul_hi_u32 s64, s4, 3
	s_delay_alu instid0(SALU_CYCLE_1)
	s_add_i32 s69, s64, s0
	s_sub_u32 s71, 0, s4
	s_waitcnt_depctr 0xfff
	v_mul_f32_e32 v0, 0x4f7ffffe, v0
	s_subb_u32 s72, 0, s5
	s_sub_u32 s73, 0, s50
	s_subb_u32 s74, 0, s51
	s_sub_u32 s75, 0, s54
	v_cvt_u32_f32_e32 v0, v0
	s_subb_u32 s76, 0, s55
	s_sub_u32 s77, 0, s58
	s_subb_u32 s78, 0, s59
	s_branch .LBB15_3
.LBB15_2:                               ;   in Loop: Header=BB15_3 Depth=1
	s_or_b32 exec_lo, exec_lo, s0
	v_lshlrev_b32_e32 v29, 16, v31
	v_lshlrev_b32_e32 v31, 16, v38
	;; [unrolled: 1-line block ×3, first 2 shown]
	v_mul_lo_u32 v42, s75, v24
	v_mul_lo_u32 v44, v24, s20
	;; [unrolled: 1-line block ×4, first 2 shown]
	v_dual_add_f32 v29, v29, v30 :: v_dual_lshlrev_b32 v30, 16, v35
	v_mul_lo_u32 v37, s77, v26
	v_mul_lo_u32 v38, s78, v25
	;; [unrolled: 1-line block ×3, first 2 shown]
	s_delay_alu instid0(VALU_DEP_4) | instskip(SKIP_3) | instid1(VALU_DEP_4)
	v_add_f32_e32 v29, v29, v31
	v_mul_lo_u32 v41, v25, s25
	v_mad_u64_u32 v[31:32], null, v25, s24, 0
	v_mul_lo_u32 v43, s76, v23
	v_add_f32_e32 v39, v29, v30
	v_mad_u64_u32 v[29:30], null, s77, v25, v[3:4]
	v_mad_u64_u32 v[25:26], null, s75, v23, v[3:4]
	s_delay_alu instid0(VALU_DEP_3)
	v_mul_f32_e32 v33, 0xbfb8aa3b, v39
	v_cmp_nlt_f32_e32 vcc_lo, 0x42ce8ed0, v39
	v_mul_lo_u32 v45, v23, s21
	v_mul_lo_u32 v47, v21, s63
	v_add3_u32 v53, v38, v30, v37
	v_fma_f32 v34, 0xbfb8aa3b, v39, -v33
	v_rndne_f32_e32 v35, v33
	v_add3_u32 v26, v43, v26, v42
	v_mul_lo_u32 v50, v21, s29
	v_mul_lo_u32 v51, v20, s62
	v_fmac_f32_e32 v34, 0xb2a5705f, v39
	v_sub_f32_e32 v33, v33, v35
	v_cvt_i32_f32_e32 v22, v35
	v_mad_u64_u32 v[35:36], null, v21, s28, 0
	v_mul_lo_u32 v52, v19, s63
	s_delay_alu instid0(VALU_DEP_4) | instskip(SKIP_3) | instid1(VALU_DEP_4)
	v_add_f32_e32 v24, v33, v34
	v_mad_u64_u32 v[33:34], null, v23, s20, 0
	v_add3_u32 v32, v32, v41, v40
	v_mul_lo_u32 v54, v29, s27
	v_exp_f32_e32 v48, v24
	v_mad_u64_u32 v[23:24], null, v21, s62, 0
	v_mad_u64_u32 v[37:38], null, v29, s26, 0
	v_add3_u32 v34, v34, v45, v44
	v_mul_lo_u32 v40, v25, s23
	v_mul_lo_u32 v43, v53, s26
	;; [unrolled: 1-line block ×3, first 2 shown]
	v_add3_u32 v41, v24, v47, v46
	s_delay_alu instid0(TRANS32_DEP_1) | instskip(SKIP_3) | instid1(VALU_DEP_4)
	v_ldexp_f32 v48, v48, v22
	v_mad_u64_u32 v[21:22], null, v19, s62, 0
	v_add3_u32 v36, v36, v50, v49
	v_mul_lo_u32 v20, v20, s28
	v_cndmask_b32_e32 v30, 0, v48, vcc_lo
	v_cmp_ngt_f32_e32 vcc_lo, 0xc2b17218, v39
	v_add3_u32 v38, v38, v54, v43
	v_add3_u32 v22, v22, v52, v51
	s_delay_alu instid0(VALU_DEP_4) | instskip(SKIP_2) | instid1(VALU_DEP_3)
	v_cndmask_b32_e32 v39, 0x7f800000, v30, vcc_lo
	v_sub_co_u32 v13, vcc_lo, v13, v23
	v_sub_co_ci_u32_e32 v14, vcc_lo, v14, v41, vcc_lo
	v_add_f32_e32 v39, 1.0, v39
	v_sub_co_u32 v23, vcc_lo, v11, v21
	v_mad_u64_u32 v[29:30], null, v25, s22, 0
	s_delay_alu instid0(VALU_DEP_3) | instskip(SKIP_3) | instid1(VALU_DEP_4)
	v_div_scale_f32 v42, null, v39, v39, 1.0
	v_lshlrev_b64 v[24:25], 1, v[31:32]
	v_lshlrev_b64 v[31:32], 1, v[33:34]
	v_sub_co_ci_u32_e32 v33, vcc_lo, v12, v22, vcc_lo
	v_rcp_f32_e32 v44, v42
	v_add_co_u32 v13, vcc_lo, v3, v13
	v_add_co_ci_u32_e32 v14, vcc_lo, v4, v14, vcc_lo
	v_div_scale_f32 v34, vcc_lo, 1.0, v39, 1.0
	s_delay_alu instid0(VALU_DEP_3) | instskip(SKIP_1) | instid1(VALU_DEP_4)
	v_mul_lo_u32 v41, v13, s31
	v_add3_u32 v30, v30, v40, v26
	v_mul_lo_u32 v26, v14, s30
	s_delay_alu instid0(TRANS32_DEP_1) | instskip(SKIP_1) | instid1(VALU_DEP_1)
	v_fma_f32 v11, -v42, v44, 1.0
	v_add_co_u32 v24, s0, s56, v24
	v_add_co_ci_u32_e64 v25, s0, s57, v25, s0
	s_delay_alu instid0(VALU_DEP_3) | instskip(SKIP_3) | instid1(VALU_DEP_4)
	v_fmac_f32_e32 v44, v11, v44
	v_mad_u64_u32 v[11:12], null, v13, s30, 0
	v_lshlrev_b64 v[13:14], 1, v[37:38]
	v_add_co_u32 v31, s0, s52, v31
	v_mul_f32_e32 v43, v34, v44
	v_add_co_ci_u32_e64 v32, s0, s53, v32, s0
	s_delay_alu instid0(VALU_DEP_4) | instskip(NEXT) | instid1(VALU_DEP_3)
	v_add_co_u32 v13, s0, v24, v13
	v_fma_f32 v37, -v42, v43, v34
	v_add_co_ci_u32_e64 v14, s0, v25, v14, s0
	v_lshlrev_b64 v[21:22], 1, v[29:30]
	v_add_co_u32 v29, s0, v3, v23
	s_delay_alu instid0(VALU_DEP_4) | instskip(SKIP_3) | instid1(VALU_DEP_4)
	v_fmac_f32_e32 v43, v37, v44
	v_add_co_ci_u32_e64 v25, s0, v4, v33, s0
	v_add3_u32 v12, v12, v41, v26
	v_mul_lo_u32 v37, v18, s62
	v_fma_f32 v24, -v42, v43, v34
	s_delay_alu instid0(VALU_DEP_4) | instskip(SKIP_2) | instid1(VALU_DEP_4)
	v_mul_lo_u32 v34, v25, s30
	v_mad_u64_u32 v[25:26], null, v29, s30, 0
	v_mul_lo_u32 v38, v17, s63
	v_div_fmas_f32 v23, v24, v44, v43
	v_add_co_u32 v21, vcc_lo, v31, v21
	v_add_co_ci_u32_e32 v22, vcc_lo, v32, v22, vcc_lo
	s_delay_alu instid0(VALU_DEP_3)
	v_div_fixup_f32 v33, v23, v39, 1.0
	v_lshlrev_b64 v[23:24], 1, v[35:36]
	v_mul_lo_u32 v35, v29, s31
	v_mad_u64_u32 v[29:30], null, v17, s62, 0
	v_mul_lo_u32 v36, v19, s29
	v_mad_u64_u32 v[31:32], null, v19, s28, 0
	v_add_co_u32 v39, vcc_lo, s60, v23
	v_add_co_ci_u32_e32 v40, vcc_lo, s61, v24, vcc_lo
	v_add3_u32 v19, v30, v38, v37
	v_add3_u32 v26, v26, v35, v34
	;; [unrolled: 1-line block ×3, first 2 shown]
	v_sub_co_u32 v20, vcc_lo, v7, v29
	s_delay_alu instid0(VALU_DEP_4) | instskip(NEXT) | instid1(VALU_DEP_3)
	v_sub_co_ci_u32_e32 v19, vcc_lo, v8, v19, vcc_lo
	v_lshlrev_b64 v[7:8], 1, v[31:32]
	s_delay_alu instid0(VALU_DEP_3) | instskip(NEXT) | instid1(VALU_DEP_3)
	v_add_co_u32 v23, vcc_lo, v3, v20
	v_add_co_ci_u32_e32 v19, vcc_lo, v4, v19, vcc_lo
	v_lshlrev_b64 v[11:12], 1, v[11:12]
	s_delay_alu instid0(VALU_DEP_4)
	v_add_co_u32 v29, vcc_lo, s60, v7
	v_add_co_ci_u32_e32 v30, vcc_lo, s61, v8, vcc_lo
	v_lshlrev_b64 v[7:8], 1, v[25:26]
	v_mul_lo_u32 v25, v19, s30
	v_mul_lo_u32 v26, v23, s31
	v_mad_u64_u32 v[19:20], null, v23, s30, 0
	v_mul_lo_u32 v31, v18, s28
	v_mul_lo_u32 v32, v17, s29
	v_mad_u64_u32 v[23:24], null, v17, s28, 0
	;; [unrolled: 3-line block ×3, first 2 shown]
	v_add_co_u32 v11, vcc_lo, v39, v11
	v_add_co_ci_u32_e32 v12, vcc_lo, v40, v12, vcc_lo
	v_add_co_u32 v7, vcc_lo, v29, v7
	v_add_co_ci_u32_e32 v8, vcc_lo, v30, v8, vcc_lo
	v_add3_u32 v18, v18, v35, v34
	v_add3_u32 v24, v24, v32, v31
	v_sub_co_u32 v17, vcc_lo, v5, v17
	v_add3_u32 v20, v20, v26, v25
	s_delay_alu instid0(VALU_DEP_4) | instskip(NEXT) | instid1(VALU_DEP_4)
	v_sub_co_ci_u32_e32 v18, vcc_lo, v6, v18, vcc_lo
	v_lshlrev_b64 v[5:6], 1, v[23:24]
	s_delay_alu instid0(VALU_DEP_4)
	v_add_co_u32 v23, vcc_lo, v3, v17
	v_mul_lo_u32 v24, v16, s28
	v_mul_lo_u32 v25, v15, s29
	v_mad_u64_u32 v[16:17], null, v15, s28, 0
	v_bfi_b32 v15, 0x7fffffff, v28, v27
	v_add_co_ci_u32_e32 v18, vcc_lo, v4, v18, vcc_lo
	v_add_co_u32 v26, vcc_lo, s60, v5
	v_add_co_ci_u32_e32 v28, vcc_lo, s61, v6, vcc_lo
	v_add3_u32 v17, v17, v25, v24
	v_mul_f32_e32 v24, v33, v15
	v_lshlrev_b64 v[5:6], 1, v[19:20]
	v_mul_lo_u32 v20, v18, s30
	v_mul_lo_u32 v25, v23, s31
	v_mad_u64_u32 v[18:19], null, v23, s30, 0
	v_lshlrev_b64 v[15:16], 1, v[16:17]
	v_bfe_u32 v17, v24, 16, 1
	v_bfe_u32 v23, v27, 16, 1
	v_add_co_u32 v5, vcc_lo, v26, v5
	v_add_co_ci_u32_e32 v6, vcc_lo, v28, v6, vcc_lo
	s_delay_alu instid0(VALU_DEP_4)
	v_add3_u32 v17, v24, v17, 0x7fff
	v_add3_u32 v19, v19, v25, v20
	;; [unrolled: 1-line block ×3, first 2 shown]
	v_add_co_u32 v23, vcc_lo, s60, v15
	v_add_co_ci_u32_e32 v25, vcc_lo, s61, v16, vcc_lo
	v_lshrrev_b32_e32 v17, 16, v17
	v_cmp_o_f32_e32 vcc_lo, v24, v24
	v_lshlrev_b64 v[15:16], 1, v[18:19]
	v_bfe_u32 v19, v10, 16, 1
	v_lshrrev_b32_e32 v18, 16, v20
	v_bfe_u32 v20, v9, 16, 1
	v_cndmask_b32_e32 v17, 0x7fc0, v17, vcc_lo
	v_cmp_o_f32_e32 vcc_lo, v27, v27
	v_add3_u32 v19, v10, v19, 0x7fff
	v_cmp_o_f32_e64 s0, v2, v2
	v_cndmask_b32_e32 v18, 0x7fc0, v18, vcc_lo
	v_add_co_u32 v15, vcc_lo, v23, v15
	v_add_co_ci_u32_e32 v16, vcc_lo, v25, v16, vcc_lo
	global_store_b16 v[21:22], v17, off
	global_store_b16 v[13:14], v18, off
	v_lshrrev_b32_e32 v13, 16, v19
	v_add3_u32 v14, v9, v20, 0x7fff
	v_bfe_u32 v17, v2, 16, 1
	v_cmp_o_f32_e32 vcc_lo, v10, v10
	v_bfe_u32 v18, v33, 16, 1
	v_cndmask_b32_e32 v10, 0x7fc0, v13, vcc_lo
	v_lshrrev_b32_e32 v13, 16, v14
	v_add3_u32 v14, v2, v17, 0x7fff
	v_add_co_u32 v3, vcc_lo, v3, s33
	v_add_co_ci_u32_e32 v4, vcc_lo, 0, v4, vcc_lo
	v_add3_u32 v17, v33, v18, 0x7fff
	s_delay_alu instid0(VALU_DEP_4) | instskip(SKIP_1) | instid1(VALU_DEP_2)
	v_lshrrev_b32_e32 v14, 16, v14
	v_cmp_o_f32_e32 vcc_lo, v9, v9
	v_cndmask_b32_e64 v2, 0x7fc0, v14, s0
	v_cndmask_b32_e32 v9, 0x7fc0, v13, vcc_lo
	v_lshrrev_b32_e32 v13, 16, v17
	v_cmp_o_f32_e64 s0, v33, v33
	v_cmp_le_i64_e32 vcc_lo, s[6:7], v[3:4]
	s_clause 0x1
	global_store_b16 v[15:16], v10, off
	global_store_b16 v[5:6], v9, off
	v_cndmask_b32_e64 v13, 0x7fc0, v13, s0
	s_clause 0x1
	global_store_b16 v[7:8], v2, off
	global_store_b16 v[11:12], v13, off
	s_or_b32 s68, vcc_lo, s68
	s_delay_alu instid0(SALU_CYCLE_1)
	s_and_not1_b32 exec_lo, exec_lo, s68
	s_cbranch_execz .LBB15_77
.LBB15_3:                               ; =>This Inner Loop Header: Depth=1
	v_or_b32_e32 v2, s5, v4
	v_ashrrev_i32_e32 v27, 31, v4
                                        ; implicit-def: $vgpr9_vgpr10
	s_mov_b32 s0, exec_lo
	s_delay_alu instid0(VALU_DEP_2)
	v_cmpx_ne_u64_e32 0, v[1:2]
	s_xor_b32 s80, exec_lo, s0
	s_cbranch_execz .LBB15_5
; %bb.4:                                ;   in Loop: Header=BB15_3 Depth=1
	s_ashr_i32 s64, s5, 31
	s_delay_alu instid0(SALU_CYCLE_1) | instskip(SKIP_2) | instid1(SALU_CYCLE_1)
	s_add_u32 s66, s4, s64
	s_mov_b32 s65, s64
	s_addc_u32 s67, s5, s64
	s_xor_b64 s[66:67], s[66:67], s[64:65]
	s_delay_alu instid0(SALU_CYCLE_1) | instskip(SKIP_3) | instid1(VALU_DEP_1)
	v_cvt_f32_u32_e32 v2, s66
	v_cvt_f32_u32_e32 v5, s67
	s_sub_u32 s0, 0, s66
	s_subb_u32 s65, 0, s67
	v_fmac_f32_e32 v2, 0x4f800000, v5
	s_delay_alu instid0(VALU_DEP_1) | instskip(SKIP_2) | instid1(VALU_DEP_1)
	v_rcp_f32_e32 v2, v2
	s_waitcnt_depctr 0xfff
	v_mul_f32_e32 v2, 0x5f7ffffc, v2
	v_mul_f32_e32 v5, 0x2f800000, v2
	s_delay_alu instid0(VALU_DEP_1) | instskip(NEXT) | instid1(VALU_DEP_1)
	v_trunc_f32_e32 v5, v5
	v_fmac_f32_e32 v2, 0xcf800000, v5
	v_cvt_u32_f32_e32 v5, v5
	s_delay_alu instid0(VALU_DEP_2) | instskip(NEXT) | instid1(VALU_DEP_2)
	v_cvt_u32_f32_e32 v2, v2
	v_mul_lo_u32 v6, s0, v5
	s_delay_alu instid0(VALU_DEP_2) | instskip(SKIP_1) | instid1(VALU_DEP_2)
	v_mul_hi_u32 v7, s0, v2
	v_mul_lo_u32 v8, s65, v2
	v_add_nc_u32_e32 v6, v7, v6
	v_mul_lo_u32 v7, s0, v2
	s_delay_alu instid0(VALU_DEP_2) | instskip(NEXT) | instid1(VALU_DEP_2)
	v_add_nc_u32_e32 v6, v6, v8
	v_mul_hi_u32 v8, v2, v7
	s_delay_alu instid0(VALU_DEP_2)
	v_mul_lo_u32 v9, v2, v6
	v_mul_hi_u32 v10, v2, v6
	v_mul_hi_u32 v11, v5, v7
	v_mul_lo_u32 v7, v5, v7
	v_mul_hi_u32 v12, v5, v6
	v_mul_lo_u32 v6, v5, v6
	v_add_co_u32 v8, vcc_lo, v8, v9
	v_add_co_ci_u32_e32 v9, vcc_lo, 0, v10, vcc_lo
	s_delay_alu instid0(VALU_DEP_2) | instskip(NEXT) | instid1(VALU_DEP_2)
	v_add_co_u32 v7, vcc_lo, v8, v7
	v_add_co_ci_u32_e32 v7, vcc_lo, v9, v11, vcc_lo
	v_add_co_ci_u32_e32 v8, vcc_lo, 0, v12, vcc_lo
	s_delay_alu instid0(VALU_DEP_2) | instskip(NEXT) | instid1(VALU_DEP_2)
	v_add_co_u32 v6, vcc_lo, v7, v6
	v_add_co_ci_u32_e32 v7, vcc_lo, 0, v8, vcc_lo
	s_delay_alu instid0(VALU_DEP_2) | instskip(NEXT) | instid1(VALU_DEP_2)
	v_add_co_u32 v2, vcc_lo, v2, v6
	v_add_co_ci_u32_e32 v5, vcc_lo, v5, v7, vcc_lo
	s_delay_alu instid0(VALU_DEP_2) | instskip(SKIP_1) | instid1(VALU_DEP_3)
	v_mul_hi_u32 v6, s0, v2
	v_mul_lo_u32 v8, s65, v2
	v_mul_lo_u32 v7, s0, v5
	s_delay_alu instid0(VALU_DEP_1) | instskip(SKIP_1) | instid1(VALU_DEP_2)
	v_add_nc_u32_e32 v6, v6, v7
	v_mul_lo_u32 v7, s0, v2
	v_add_nc_u32_e32 v6, v6, v8
	s_delay_alu instid0(VALU_DEP_2) | instskip(NEXT) | instid1(VALU_DEP_2)
	v_mul_hi_u32 v8, v2, v7
	v_mul_lo_u32 v9, v2, v6
	v_mul_hi_u32 v10, v2, v6
	v_mul_hi_u32 v11, v5, v7
	v_mul_lo_u32 v7, v5, v7
	v_mul_hi_u32 v12, v5, v6
	v_mul_lo_u32 v6, v5, v6
	v_add_co_u32 v8, vcc_lo, v8, v9
	v_add_co_ci_u32_e32 v9, vcc_lo, 0, v10, vcc_lo
	s_delay_alu instid0(VALU_DEP_2) | instskip(NEXT) | instid1(VALU_DEP_2)
	v_add_co_u32 v7, vcc_lo, v8, v7
	v_add_co_ci_u32_e32 v7, vcc_lo, v9, v11, vcc_lo
	v_add_co_ci_u32_e32 v8, vcc_lo, 0, v12, vcc_lo
	v_add_co_u32 v9, vcc_lo, v3, v27
	v_add_co_ci_u32_e32 v10, vcc_lo, v4, v27, vcc_lo
	s_delay_alu instid0(VALU_DEP_4) | instskip(NEXT) | instid1(VALU_DEP_4)
	v_add_co_u32 v6, vcc_lo, v7, v6
	v_add_co_ci_u32_e32 v7, vcc_lo, 0, v8, vcc_lo
	s_delay_alu instid0(VALU_DEP_4) | instskip(NEXT) | instid1(VALU_DEP_3)
	v_xor_b32_e32 v11, v9, v27
	v_add_co_u32 v2, vcc_lo, v2, v6
	s_delay_alu instid0(VALU_DEP_3) | instskip(SKIP_1) | instid1(VALU_DEP_3)
	v_add_co_ci_u32_e32 v12, vcc_lo, v5, v7, vcc_lo
	v_xor_b32_e32 v13, v10, v27
	v_mul_hi_u32 v14, v11, v2
	s_delay_alu instid0(VALU_DEP_3) | instskip(NEXT) | instid1(VALU_DEP_3)
	v_mad_u64_u32 v[5:6], null, v11, v12, 0
	v_mad_u64_u32 v[7:8], null, v13, v2, 0
	;; [unrolled: 1-line block ×3, first 2 shown]
	s_delay_alu instid0(VALU_DEP_3) | instskip(NEXT) | instid1(VALU_DEP_4)
	v_add_co_u32 v2, vcc_lo, v14, v5
	v_add_co_ci_u32_e32 v5, vcc_lo, 0, v6, vcc_lo
	s_delay_alu instid0(VALU_DEP_2) | instskip(NEXT) | instid1(VALU_DEP_2)
	v_add_co_u32 v2, vcc_lo, v2, v7
	v_add_co_ci_u32_e32 v2, vcc_lo, v5, v8, vcc_lo
	v_add_co_ci_u32_e32 v5, vcc_lo, 0, v10, vcc_lo
	s_delay_alu instid0(VALU_DEP_2) | instskip(NEXT) | instid1(VALU_DEP_2)
	v_add_co_u32 v2, vcc_lo, v2, v9
	v_add_co_ci_u32_e32 v7, vcc_lo, 0, v5, vcc_lo
	s_delay_alu instid0(VALU_DEP_2) | instskip(SKIP_1) | instid1(VALU_DEP_3)
	v_mul_lo_u32 v8, s67, v2
	v_mad_u64_u32 v[5:6], null, s66, v2, 0
	v_mul_lo_u32 v9, s66, v7
	s_delay_alu instid0(VALU_DEP_2) | instskip(NEXT) | instid1(VALU_DEP_2)
	v_sub_co_u32 v5, vcc_lo, v11, v5
	v_add3_u32 v6, v6, v9, v8
	s_delay_alu instid0(VALU_DEP_1) | instskip(NEXT) | instid1(VALU_DEP_1)
	v_sub_nc_u32_e32 v8, v13, v6
	v_subrev_co_ci_u32_e64 v8, s0, s67, v8, vcc_lo
	v_add_co_u32 v9, s0, v2, 2
	s_delay_alu instid0(VALU_DEP_1) | instskip(SKIP_3) | instid1(VALU_DEP_3)
	v_add_co_ci_u32_e64 v10, s0, 0, v7, s0
	v_sub_co_u32 v11, s0, v5, s66
	v_sub_co_ci_u32_e32 v6, vcc_lo, v13, v6, vcc_lo
	v_subrev_co_ci_u32_e64 v8, s0, 0, v8, s0
	v_cmp_le_u32_e32 vcc_lo, s66, v11
	s_delay_alu instid0(VALU_DEP_3) | instskip(SKIP_1) | instid1(VALU_DEP_4)
	v_cmp_eq_u32_e64 s0, s67, v6
	v_cndmask_b32_e64 v11, 0, -1, vcc_lo
	v_cmp_le_u32_e32 vcc_lo, s67, v8
	v_cndmask_b32_e64 v12, 0, -1, vcc_lo
	v_cmp_le_u32_e32 vcc_lo, s66, v5
	v_cndmask_b32_e64 v5, 0, -1, vcc_lo
	v_cmp_le_u32_e32 vcc_lo, s67, v6
	v_cndmask_b32_e64 v13, 0, -1, vcc_lo
	v_cmp_eq_u32_e32 vcc_lo, s67, v8
	s_delay_alu instid0(VALU_DEP_2) | instskip(SKIP_3) | instid1(VALU_DEP_3)
	v_cndmask_b32_e64 v5, v13, v5, s0
	v_cndmask_b32_e32 v8, v12, v11, vcc_lo
	v_add_co_u32 v11, vcc_lo, v2, 1
	v_add_co_ci_u32_e32 v12, vcc_lo, 0, v7, vcc_lo
	v_cmp_ne_u32_e32 vcc_lo, 0, v8
	s_delay_alu instid0(VALU_DEP_2) | instskip(NEXT) | instid1(VALU_DEP_4)
	v_cndmask_b32_e32 v6, v12, v10, vcc_lo
	v_cndmask_b32_e32 v8, v11, v9, vcc_lo
	v_cmp_ne_u32_e32 vcc_lo, 0, v5
	v_xor_b32_e32 v5, s64, v27
	s_delay_alu instid0(VALU_DEP_3) | instskip(SKIP_1) | instid1(VALU_DEP_2)
	v_cndmask_b32_e32 v2, v2, v8, vcc_lo
	v_cndmask_b32_e32 v6, v7, v6, vcc_lo
	v_xor_b32_e32 v2, v2, v5
	s_delay_alu instid0(VALU_DEP_2) | instskip(NEXT) | instid1(VALU_DEP_2)
	v_xor_b32_e32 v6, v6, v5
	v_sub_co_u32 v9, vcc_lo, v2, v5
	s_delay_alu instid0(VALU_DEP_2)
	v_sub_co_ci_u32_e32 v10, vcc_lo, v6, v5, vcc_lo
.LBB15_5:                               ;   in Loop: Header=BB15_3 Depth=1
	s_and_not1_saveexec_b32 s0, s80
	s_cbranch_execz .LBB15_7
; %bb.6:                                ;   in Loop: Header=BB15_3 Depth=1
	s_sub_i32 s64, 0, s4
	v_mov_b32_e32 v10, v1
	v_mul_lo_u32 v2, s64, v0
	s_delay_alu instid0(VALU_DEP_1) | instskip(NEXT) | instid1(VALU_DEP_1)
	v_mul_hi_u32 v2, v0, v2
	v_add_nc_u32_e32 v2, v0, v2
	s_delay_alu instid0(VALU_DEP_1) | instskip(NEXT) | instid1(VALU_DEP_1)
	v_mul_hi_u32 v2, v3, v2
	v_mul_lo_u32 v5, v2, s4
	v_add_nc_u32_e32 v6, 1, v2
	s_delay_alu instid0(VALU_DEP_2) | instskip(NEXT) | instid1(VALU_DEP_1)
	v_sub_nc_u32_e32 v5, v3, v5
	v_subrev_nc_u32_e32 v7, s4, v5
	v_cmp_le_u32_e32 vcc_lo, s4, v5
	s_delay_alu instid0(VALU_DEP_2) | instskip(NEXT) | instid1(VALU_DEP_1)
	v_dual_cndmask_b32 v5, v5, v7 :: v_dual_cndmask_b32 v2, v2, v6
	v_cmp_le_u32_e32 vcc_lo, s4, v5
	s_delay_alu instid0(VALU_DEP_2) | instskip(NEXT) | instid1(VALU_DEP_1)
	v_add_nc_u32_e32 v6, 1, v2
	v_cndmask_b32_e32 v9, v2, v6, vcc_lo
.LBB15_7:                               ;   in Loop: Header=BB15_3 Depth=1
	s_or_b32 exec_lo, exec_lo, s0
	s_delay_alu instid0(VALU_DEP_1) | instskip(SKIP_3) | instid1(VALU_DEP_1)
	v_mul_lo_u32 v2, s69, v9
	v_mul_lo_u32 v7, s70, v10
	v_mad_u64_u32 v[5:6], null, s70, v9, 0
	s_mov_b32 s0, exec_lo
	v_add3_u32 v6, v6, v7, v2
	s_delay_alu instid0(VALU_DEP_2) | instskip(NEXT) | instid1(VALU_DEP_2)
	v_add_co_u32 v18, vcc_lo, v3, v5
                                        ; implicit-def: $vgpr7_vgpr8
	v_add_co_ci_u32_e32 v20, vcc_lo, v4, v6, vcc_lo
	s_delay_alu instid0(VALU_DEP_1) | instskip(SKIP_1) | instid1(VALU_DEP_2)
	v_or_b32_e32 v2, s35, v20
	v_ashrrev_i32_e32 v17, 31, v20
	v_cmpx_ne_u64_e32 0, v[1:2]
	s_xor_b32 s80, exec_lo, s0
	s_cbranch_execz .LBB15_9
; %bb.8:                                ;   in Loop: Header=BB15_3 Depth=1
	s_ashr_i32 s64, s35, 31
	s_delay_alu instid0(SALU_CYCLE_1) | instskip(SKIP_2) | instid1(SALU_CYCLE_1)
	s_add_u32 s66, s34, s64
	s_mov_b32 s65, s64
	s_addc_u32 s67, s35, s64
	s_xor_b64 s[66:67], s[66:67], s[64:65]
	s_delay_alu instid0(SALU_CYCLE_1) | instskip(SKIP_3) | instid1(VALU_DEP_1)
	v_cvt_f32_u32_e32 v2, s66
	v_cvt_f32_u32_e32 v7, s67
	s_sub_u32 s0, 0, s66
	s_subb_u32 s65, 0, s67
	v_fmac_f32_e32 v2, 0x4f800000, v7
	s_delay_alu instid0(VALU_DEP_1) | instskip(SKIP_2) | instid1(VALU_DEP_1)
	v_rcp_f32_e32 v2, v2
	s_waitcnt_depctr 0xfff
	v_mul_f32_e32 v2, 0x5f7ffffc, v2
	v_mul_f32_e32 v7, 0x2f800000, v2
	s_delay_alu instid0(VALU_DEP_1) | instskip(NEXT) | instid1(VALU_DEP_1)
	v_trunc_f32_e32 v7, v7
	v_fmac_f32_e32 v2, 0xcf800000, v7
	v_cvt_u32_f32_e32 v7, v7
	s_delay_alu instid0(VALU_DEP_2) | instskip(NEXT) | instid1(VALU_DEP_2)
	v_cvt_u32_f32_e32 v2, v2
	v_mul_lo_u32 v8, s0, v7
	s_delay_alu instid0(VALU_DEP_2) | instskip(SKIP_1) | instid1(VALU_DEP_2)
	v_mul_hi_u32 v11, s0, v2
	v_mul_lo_u32 v12, s65, v2
	v_add_nc_u32_e32 v8, v11, v8
	v_mul_lo_u32 v11, s0, v2
	s_delay_alu instid0(VALU_DEP_2) | instskip(NEXT) | instid1(VALU_DEP_2)
	v_add_nc_u32_e32 v8, v8, v12
	v_mul_hi_u32 v12, v2, v11
	s_delay_alu instid0(VALU_DEP_2)
	v_mul_lo_u32 v13, v2, v8
	v_mul_hi_u32 v14, v2, v8
	v_mul_hi_u32 v15, v7, v11
	v_mul_lo_u32 v11, v7, v11
	v_mul_hi_u32 v16, v7, v8
	v_mul_lo_u32 v8, v7, v8
	v_add_co_u32 v12, vcc_lo, v12, v13
	v_add_co_ci_u32_e32 v13, vcc_lo, 0, v14, vcc_lo
	s_delay_alu instid0(VALU_DEP_2) | instskip(NEXT) | instid1(VALU_DEP_2)
	v_add_co_u32 v11, vcc_lo, v12, v11
	v_add_co_ci_u32_e32 v11, vcc_lo, v13, v15, vcc_lo
	v_add_co_ci_u32_e32 v12, vcc_lo, 0, v16, vcc_lo
	s_delay_alu instid0(VALU_DEP_2) | instskip(NEXT) | instid1(VALU_DEP_2)
	v_add_co_u32 v8, vcc_lo, v11, v8
	v_add_co_ci_u32_e32 v11, vcc_lo, 0, v12, vcc_lo
	s_delay_alu instid0(VALU_DEP_2) | instskip(NEXT) | instid1(VALU_DEP_2)
	v_add_co_u32 v2, vcc_lo, v2, v8
	v_add_co_ci_u32_e32 v7, vcc_lo, v7, v11, vcc_lo
	s_delay_alu instid0(VALU_DEP_2) | instskip(SKIP_1) | instid1(VALU_DEP_3)
	v_mul_hi_u32 v8, s0, v2
	v_mul_lo_u32 v12, s65, v2
	v_mul_lo_u32 v11, s0, v7
	s_delay_alu instid0(VALU_DEP_1) | instskip(SKIP_1) | instid1(VALU_DEP_2)
	v_add_nc_u32_e32 v8, v8, v11
	v_mul_lo_u32 v11, s0, v2
	v_add_nc_u32_e32 v8, v8, v12
	s_delay_alu instid0(VALU_DEP_2) | instskip(NEXT) | instid1(VALU_DEP_2)
	v_mul_hi_u32 v12, v2, v11
	v_mul_lo_u32 v13, v2, v8
	v_mul_hi_u32 v14, v2, v8
	v_mul_hi_u32 v15, v7, v11
	v_mul_lo_u32 v11, v7, v11
	v_mul_hi_u32 v16, v7, v8
	v_mul_lo_u32 v8, v7, v8
	v_add_co_u32 v12, vcc_lo, v12, v13
	v_add_co_ci_u32_e32 v13, vcc_lo, 0, v14, vcc_lo
	s_delay_alu instid0(VALU_DEP_2) | instskip(NEXT) | instid1(VALU_DEP_2)
	v_add_co_u32 v11, vcc_lo, v12, v11
	v_add_co_ci_u32_e32 v11, vcc_lo, v13, v15, vcc_lo
	v_add_co_ci_u32_e32 v12, vcc_lo, 0, v16, vcc_lo
	v_add_co_u32 v13, vcc_lo, v18, v17
	v_add_co_ci_u32_e32 v14, vcc_lo, v20, v17, vcc_lo
	s_delay_alu instid0(VALU_DEP_4) | instskip(NEXT) | instid1(VALU_DEP_4)
	v_add_co_u32 v8, vcc_lo, v11, v8
	v_add_co_ci_u32_e32 v11, vcc_lo, 0, v12, vcc_lo
	s_delay_alu instid0(VALU_DEP_4) | instskip(NEXT) | instid1(VALU_DEP_3)
	v_xor_b32_e32 v15, v13, v17
	v_add_co_u32 v2, vcc_lo, v2, v8
	s_delay_alu instid0(VALU_DEP_3) | instskip(SKIP_1) | instid1(VALU_DEP_3)
	v_add_co_ci_u32_e32 v16, vcc_lo, v7, v11, vcc_lo
	v_xor_b32_e32 v19, v14, v17
	v_mul_hi_u32 v21, v15, v2
	s_delay_alu instid0(VALU_DEP_3) | instskip(NEXT) | instid1(VALU_DEP_3)
	v_mad_u64_u32 v[7:8], null, v15, v16, 0
	v_mad_u64_u32 v[11:12], null, v19, v2, 0
	;; [unrolled: 1-line block ×3, first 2 shown]
	s_delay_alu instid0(VALU_DEP_3) | instskip(NEXT) | instid1(VALU_DEP_4)
	v_add_co_u32 v2, vcc_lo, v21, v7
	v_add_co_ci_u32_e32 v7, vcc_lo, 0, v8, vcc_lo
	s_delay_alu instid0(VALU_DEP_2) | instskip(NEXT) | instid1(VALU_DEP_2)
	v_add_co_u32 v2, vcc_lo, v2, v11
	v_add_co_ci_u32_e32 v2, vcc_lo, v7, v12, vcc_lo
	v_add_co_ci_u32_e32 v7, vcc_lo, 0, v14, vcc_lo
	s_delay_alu instid0(VALU_DEP_2) | instskip(NEXT) | instid1(VALU_DEP_2)
	v_add_co_u32 v2, vcc_lo, v2, v13
	v_add_co_ci_u32_e32 v11, vcc_lo, 0, v7, vcc_lo
	s_delay_alu instid0(VALU_DEP_2) | instskip(SKIP_1) | instid1(VALU_DEP_3)
	v_mul_lo_u32 v12, s67, v2
	v_mad_u64_u32 v[7:8], null, s66, v2, 0
	v_mul_lo_u32 v13, s66, v11
	s_delay_alu instid0(VALU_DEP_2) | instskip(NEXT) | instid1(VALU_DEP_2)
	v_sub_co_u32 v7, vcc_lo, v15, v7
	v_add3_u32 v8, v8, v13, v12
	s_delay_alu instid0(VALU_DEP_1) | instskip(NEXT) | instid1(VALU_DEP_1)
	v_sub_nc_u32_e32 v12, v19, v8
	v_subrev_co_ci_u32_e64 v12, s0, s67, v12, vcc_lo
	v_add_co_u32 v13, s0, v2, 2
	s_delay_alu instid0(VALU_DEP_1) | instskip(SKIP_3) | instid1(VALU_DEP_3)
	v_add_co_ci_u32_e64 v14, s0, 0, v11, s0
	v_sub_co_u32 v15, s0, v7, s66
	v_sub_co_ci_u32_e32 v8, vcc_lo, v19, v8, vcc_lo
	v_subrev_co_ci_u32_e64 v12, s0, 0, v12, s0
	v_cmp_le_u32_e32 vcc_lo, s66, v15
	s_delay_alu instid0(VALU_DEP_3) | instskip(SKIP_1) | instid1(VALU_DEP_4)
	v_cmp_eq_u32_e64 s0, s67, v8
	v_cndmask_b32_e64 v15, 0, -1, vcc_lo
	v_cmp_le_u32_e32 vcc_lo, s67, v12
	v_cndmask_b32_e64 v16, 0, -1, vcc_lo
	v_cmp_le_u32_e32 vcc_lo, s66, v7
	;; [unrolled: 2-line block ×3, first 2 shown]
	v_cndmask_b32_e64 v19, 0, -1, vcc_lo
	v_cmp_eq_u32_e32 vcc_lo, s67, v12
	s_delay_alu instid0(VALU_DEP_2) | instskip(SKIP_3) | instid1(VALU_DEP_3)
	v_cndmask_b32_e64 v7, v19, v7, s0
	v_cndmask_b32_e32 v12, v16, v15, vcc_lo
	v_add_co_u32 v15, vcc_lo, v2, 1
	v_add_co_ci_u32_e32 v16, vcc_lo, 0, v11, vcc_lo
	v_cmp_ne_u32_e32 vcc_lo, 0, v12
	s_delay_alu instid0(VALU_DEP_2) | instskip(NEXT) | instid1(VALU_DEP_4)
	v_cndmask_b32_e32 v8, v16, v14, vcc_lo
	v_cndmask_b32_e32 v12, v15, v13, vcc_lo
	v_cmp_ne_u32_e32 vcc_lo, 0, v7
	v_xor_b32_e32 v13, s64, v17
	s_delay_alu instid0(VALU_DEP_3) | instskip(SKIP_1) | instid1(VALU_DEP_2)
	v_cndmask_b32_e32 v2, v2, v12, vcc_lo
	v_cndmask_b32_e32 v7, v11, v8, vcc_lo
	v_xor_b32_e32 v2, v2, v13
	s_delay_alu instid0(VALU_DEP_2) | instskip(NEXT) | instid1(VALU_DEP_2)
	v_xor_b32_e32 v8, v7, v13
	v_sub_co_u32 v7, vcc_lo, v2, v13
	s_delay_alu instid0(VALU_DEP_2)
	v_sub_co_ci_u32_e32 v8, vcc_lo, v8, v13, vcc_lo
.LBB15_9:                               ;   in Loop: Header=BB15_3 Depth=1
	s_or_saveexec_b32 s0, s80
	v_cvt_f32_u32_e32 v31, s34
	s_xor_b32 exec_lo, exec_lo, s0
	s_cbranch_execz .LBB15_11
; %bb.10:                               ;   in Loop: Header=BB15_3 Depth=1
	s_delay_alu instid0(VALU_DEP_1) | instskip(SKIP_3) | instid1(VALU_DEP_1)
	v_rcp_iflag_f32_e32 v2, v31
	s_sub_i32 s64, 0, s34
	s_waitcnt_depctr 0xfff
	v_mul_f32_e32 v2, 0x4f7ffffe, v2
	v_cvt_u32_f32_e32 v2, v2
	s_delay_alu instid0(VALU_DEP_1) | instskip(NEXT) | instid1(VALU_DEP_1)
	v_mul_lo_u32 v7, s64, v2
	v_mul_hi_u32 v7, v2, v7
	s_delay_alu instid0(VALU_DEP_1) | instskip(NEXT) | instid1(VALU_DEP_1)
	v_add_nc_u32_e32 v2, v2, v7
	v_mul_hi_u32 v2, v18, v2
	s_delay_alu instid0(VALU_DEP_1) | instskip(SKIP_1) | instid1(VALU_DEP_2)
	v_mul_lo_u32 v7, v2, s34
	v_add_nc_u32_e32 v8, 1, v2
	v_sub_nc_u32_e32 v7, v18, v7
	s_delay_alu instid0(VALU_DEP_1) | instskip(SKIP_1) | instid1(VALU_DEP_2)
	v_subrev_nc_u32_e32 v11, s34, v7
	v_cmp_le_u32_e32 vcc_lo, s34, v7
	v_dual_cndmask_b32 v7, v7, v11 :: v_dual_cndmask_b32 v2, v2, v8
	s_delay_alu instid0(VALU_DEP_1) | instskip(NEXT) | instid1(VALU_DEP_2)
	v_cmp_le_u32_e32 vcc_lo, s34, v7
	v_add_nc_u32_e32 v8, 1, v2
	s_delay_alu instid0(VALU_DEP_1)
	v_dual_cndmask_b32 v7, v2, v8 :: v_dual_mov_b32 v8, v1
.LBB15_11:                              ;   in Loop: Header=BB15_3 Depth=1
	s_or_b32 exec_lo, exec_lo, s0
	s_delay_alu instid0(VALU_DEP_1) | instskip(NEXT) | instid1(VALU_DEP_2)
	v_mul_lo_u32 v2, v8, s34
	v_mul_lo_u32 v13, v7, s35
	v_mad_u64_u32 v[11:12], null, v7, s34, 0
	v_mul_lo_u32 v14, v7, s9
	s_mov_b32 s0, exec_lo
	s_delay_alu instid0(VALU_DEP_2) | instskip(SKIP_1) | instid1(VALU_DEP_4)
	v_add3_u32 v2, v12, v13, v2
	v_mul_lo_u32 v13, v8, s8
	v_sub_co_u32 v8, vcc_lo, v5, v11
	v_mad_u64_u32 v[11:12], null, v7, s8, 0
	s_delay_alu instid0(VALU_DEP_4) | instskip(NEXT) | instid1(VALU_DEP_3)
	v_sub_co_ci_u32_e32 v2, vcc_lo, v6, v2, vcc_lo
	v_add_co_u32 v15, vcc_lo, v3, v8
	s_delay_alu instid0(VALU_DEP_2) | instskip(NEXT) | instid1(VALU_DEP_2)
	v_add_co_ci_u32_e32 v2, vcc_lo, v4, v2, vcc_lo
	v_mul_lo_u32 v16, v15, s11
	v_mad_u64_u32 v[7:8], null, v15, s10, 0
	s_delay_alu instid0(VALU_DEP_3) | instskip(SKIP_2) | instid1(VALU_DEP_2)
	v_mul_lo_u32 v2, v2, s10
	v_add3_u32 v12, v12, v14, v13
	v_mad_u64_u32 v[13:14], null, v9, 3, 0
	v_lshlrev_b64 v[11:12], 1, v[11:12]
	s_delay_alu instid0(VALU_DEP_4) | instskip(NEXT) | instid1(VALU_DEP_2)
	v_add3_u32 v8, v8, v16, v2
	v_add_co_u32 v2, vcc_lo, s2, v11
	s_delay_alu instid0(VALU_DEP_2) | instskip(NEXT) | instid1(VALU_DEP_4)
	v_lshlrev_b64 v[7:8], 1, v[7:8]
	v_add_co_ci_u32_e32 v11, vcc_lo, s3, v12, vcc_lo
	s_delay_alu instid0(VALU_DEP_2) | instskip(NEXT) | instid1(VALU_DEP_2)
	v_add_co_u32 v7, vcc_lo, v2, v7
	v_add_co_ci_u32_e32 v8, vcc_lo, v11, v8, vcc_lo
	v_mov_b32_e32 v2, v14
                                        ; implicit-def: $vgpr14_vgpr15
	global_load_u16 v28, v[7:8], off
	v_mad_u64_u32 v[7:8], null, s4, v13, s[4:5]
	v_mad_u64_u32 v[11:12], null, v10, 3, v[2:3]
	v_mul_lo_u32 v2, s5, v13
	s_delay_alu instid0(VALU_DEP_3) | instskip(NEXT) | instid1(VALU_DEP_3)
	v_add_co_u32 v21, vcc_lo, v3, v7
	v_mul_lo_u32 v12, s4, v11
	s_delay_alu instid0(VALU_DEP_1) | instskip(NEXT) | instid1(VALU_DEP_1)
	v_add3_u32 v8, v2, v8, v12
	v_add_co_ci_u32_e32 v23, vcc_lo, v4, v8, vcc_lo
	s_delay_alu instid0(VALU_DEP_1) | instskip(SKIP_1) | instid1(VALU_DEP_2)
	v_or_b32_e32 v2, s35, v23
	v_ashrrev_i32_e32 v19, 31, v23
	v_cmpx_ne_u64_e32 0, v[1:2]
	s_xor_b32 s80, exec_lo, s0
	s_cbranch_execz .LBB15_13
; %bb.12:                               ;   in Loop: Header=BB15_3 Depth=1
	s_ashr_i32 s64, s35, 31
	s_delay_alu instid0(SALU_CYCLE_1) | instskip(SKIP_2) | instid1(SALU_CYCLE_1)
	s_add_u32 s66, s34, s64
	s_mov_b32 s65, s64
	s_addc_u32 s67, s35, s64
	s_xor_b64 s[66:67], s[66:67], s[64:65]
	s_delay_alu instid0(SALU_CYCLE_1) | instskip(SKIP_3) | instid1(VALU_DEP_1)
	v_cvt_f32_u32_e32 v2, s66
	v_cvt_f32_u32_e32 v12, s67
	s_sub_u32 s0, 0, s66
	s_subb_u32 s65, 0, s67
	v_fmac_f32_e32 v2, 0x4f800000, v12
	s_delay_alu instid0(VALU_DEP_1) | instskip(SKIP_2) | instid1(VALU_DEP_1)
	v_rcp_f32_e32 v2, v2
	s_waitcnt_depctr 0xfff
	v_mul_f32_e32 v2, 0x5f7ffffc, v2
	v_mul_f32_e32 v12, 0x2f800000, v2
	s_delay_alu instid0(VALU_DEP_1) | instskip(NEXT) | instid1(VALU_DEP_1)
	v_trunc_f32_e32 v12, v12
	v_fmac_f32_e32 v2, 0xcf800000, v12
	v_cvt_u32_f32_e32 v12, v12
	s_delay_alu instid0(VALU_DEP_2) | instskip(NEXT) | instid1(VALU_DEP_2)
	v_cvt_u32_f32_e32 v2, v2
	v_mul_lo_u32 v14, s0, v12
	s_delay_alu instid0(VALU_DEP_2) | instskip(SKIP_1) | instid1(VALU_DEP_2)
	v_mul_hi_u32 v15, s0, v2
	v_mul_lo_u32 v16, s65, v2
	v_add_nc_u32_e32 v14, v15, v14
	v_mul_lo_u32 v15, s0, v2
	s_delay_alu instid0(VALU_DEP_2) | instskip(NEXT) | instid1(VALU_DEP_2)
	v_add_nc_u32_e32 v14, v14, v16
	v_mul_hi_u32 v16, v2, v15
	s_delay_alu instid0(VALU_DEP_2)
	v_mul_lo_u32 v22, v2, v14
	v_mul_hi_u32 v24, v2, v14
	v_mul_hi_u32 v25, v12, v15
	v_mul_lo_u32 v15, v12, v15
	v_mul_hi_u32 v26, v12, v14
	v_mul_lo_u32 v14, v12, v14
	v_add_co_u32 v16, vcc_lo, v16, v22
	v_add_co_ci_u32_e32 v22, vcc_lo, 0, v24, vcc_lo
	s_delay_alu instid0(VALU_DEP_2) | instskip(NEXT) | instid1(VALU_DEP_2)
	v_add_co_u32 v15, vcc_lo, v16, v15
	v_add_co_ci_u32_e32 v15, vcc_lo, v22, v25, vcc_lo
	v_add_co_ci_u32_e32 v16, vcc_lo, 0, v26, vcc_lo
	s_delay_alu instid0(VALU_DEP_2) | instskip(NEXT) | instid1(VALU_DEP_2)
	v_add_co_u32 v14, vcc_lo, v15, v14
	v_add_co_ci_u32_e32 v15, vcc_lo, 0, v16, vcc_lo
	s_delay_alu instid0(VALU_DEP_2) | instskip(NEXT) | instid1(VALU_DEP_2)
	v_add_co_u32 v2, vcc_lo, v2, v14
	v_add_co_ci_u32_e32 v12, vcc_lo, v12, v15, vcc_lo
	s_delay_alu instid0(VALU_DEP_2) | instskip(SKIP_1) | instid1(VALU_DEP_3)
	v_mul_hi_u32 v14, s0, v2
	v_mul_lo_u32 v16, s65, v2
	v_mul_lo_u32 v15, s0, v12
	s_delay_alu instid0(VALU_DEP_1) | instskip(SKIP_1) | instid1(VALU_DEP_2)
	v_add_nc_u32_e32 v14, v14, v15
	v_mul_lo_u32 v15, s0, v2
	v_add_nc_u32_e32 v14, v14, v16
	s_delay_alu instid0(VALU_DEP_2) | instskip(NEXT) | instid1(VALU_DEP_2)
	v_mul_hi_u32 v16, v2, v15
	v_mul_lo_u32 v22, v2, v14
	v_mul_hi_u32 v24, v2, v14
	v_mul_hi_u32 v25, v12, v15
	v_mul_lo_u32 v15, v12, v15
	v_mul_hi_u32 v26, v12, v14
	v_mul_lo_u32 v14, v12, v14
	v_add_co_u32 v16, vcc_lo, v16, v22
	v_add_co_ci_u32_e32 v22, vcc_lo, 0, v24, vcc_lo
	s_delay_alu instid0(VALU_DEP_2) | instskip(NEXT) | instid1(VALU_DEP_2)
	v_add_co_u32 v15, vcc_lo, v16, v15
	v_add_co_ci_u32_e32 v15, vcc_lo, v22, v25, vcc_lo
	v_add_co_ci_u32_e32 v16, vcc_lo, 0, v26, vcc_lo
	v_add_co_u32 v22, vcc_lo, v21, v19
	v_add_co_ci_u32_e32 v24, vcc_lo, v23, v19, vcc_lo
	s_delay_alu instid0(VALU_DEP_4) | instskip(NEXT) | instid1(VALU_DEP_4)
	v_add_co_u32 v14, vcc_lo, v15, v14
	v_add_co_ci_u32_e32 v15, vcc_lo, 0, v16, vcc_lo
	s_delay_alu instid0(VALU_DEP_4) | instskip(NEXT) | instid1(VALU_DEP_3)
	v_xor_b32_e32 v16, v22, v19
	v_add_co_u32 v2, vcc_lo, v2, v14
	s_delay_alu instid0(VALU_DEP_3) | instskip(SKIP_1) | instid1(VALU_DEP_3)
	v_add_co_ci_u32_e32 v12, vcc_lo, v12, v15, vcc_lo
	v_xor_b32_e32 v22, v24, v19
	v_mul_hi_u32 v26, v16, v2
	s_delay_alu instid0(VALU_DEP_3) | instskip(NEXT) | instid1(VALU_DEP_3)
	v_mad_u64_u32 v[14:15], null, v16, v12, 0
	v_mad_u64_u32 v[24:25], null, v22, v2, 0
	;; [unrolled: 1-line block ×3, first 2 shown]
	s_delay_alu instid0(VALU_DEP_3) | instskip(NEXT) | instid1(VALU_DEP_4)
	v_add_co_u32 v2, vcc_lo, v26, v14
	v_add_co_ci_u32_e32 v12, vcc_lo, 0, v15, vcc_lo
	s_delay_alu instid0(VALU_DEP_2) | instskip(NEXT) | instid1(VALU_DEP_2)
	v_add_co_u32 v2, vcc_lo, v2, v24
	v_add_co_ci_u32_e32 v2, vcc_lo, v12, v25, vcc_lo
	v_add_co_ci_u32_e32 v12, vcc_lo, 0, v30, vcc_lo
	s_delay_alu instid0(VALU_DEP_2) | instskip(NEXT) | instid1(VALU_DEP_2)
	v_add_co_u32 v2, vcc_lo, v2, v29
	v_add_co_ci_u32_e32 v12, vcc_lo, 0, v12, vcc_lo
	s_delay_alu instid0(VALU_DEP_2) | instskip(SKIP_1) | instid1(VALU_DEP_3)
	v_mul_lo_u32 v24, s67, v2
	v_mad_u64_u32 v[14:15], null, s66, v2, 0
	v_mul_lo_u32 v25, s66, v12
	s_delay_alu instid0(VALU_DEP_2) | instskip(NEXT) | instid1(VALU_DEP_2)
	v_sub_co_u32 v14, vcc_lo, v16, v14
	v_add3_u32 v15, v15, v25, v24
	s_delay_alu instid0(VALU_DEP_1) | instskip(NEXT) | instid1(VALU_DEP_1)
	v_sub_nc_u32_e32 v24, v22, v15
	v_subrev_co_ci_u32_e64 v16, s0, s67, v24, vcc_lo
	v_add_co_u32 v24, s0, v2, 2
	s_delay_alu instid0(VALU_DEP_1) | instskip(SKIP_3) | instid1(VALU_DEP_3)
	v_add_co_ci_u32_e64 v25, s0, 0, v12, s0
	v_sub_co_u32 v26, s0, v14, s66
	v_sub_co_ci_u32_e32 v15, vcc_lo, v22, v15, vcc_lo
	v_subrev_co_ci_u32_e64 v16, s0, 0, v16, s0
	v_cmp_le_u32_e32 vcc_lo, s66, v26
	s_delay_alu instid0(VALU_DEP_3) | instskip(SKIP_1) | instid1(VALU_DEP_4)
	v_cmp_eq_u32_e64 s0, s67, v15
	v_cndmask_b32_e64 v22, 0, -1, vcc_lo
	v_cmp_le_u32_e32 vcc_lo, s67, v16
	v_cndmask_b32_e64 v26, 0, -1, vcc_lo
	v_cmp_le_u32_e32 vcc_lo, s66, v14
	;; [unrolled: 2-line block ×3, first 2 shown]
	v_cndmask_b32_e64 v29, 0, -1, vcc_lo
	v_cmp_eq_u32_e32 vcc_lo, s67, v16
	s_delay_alu instid0(VALU_DEP_2) | instskip(SKIP_3) | instid1(VALU_DEP_3)
	v_cndmask_b32_e64 v14, v29, v14, s0
	v_cndmask_b32_e32 v16, v26, v22, vcc_lo
	v_add_co_u32 v22, vcc_lo, v2, 1
	v_add_co_ci_u32_e32 v26, vcc_lo, 0, v12, vcc_lo
	v_cmp_ne_u32_e32 vcc_lo, 0, v16
	s_delay_alu instid0(VALU_DEP_2) | instskip(NEXT) | instid1(VALU_DEP_4)
	v_cndmask_b32_e32 v15, v26, v25, vcc_lo
	v_cndmask_b32_e32 v16, v22, v24, vcc_lo
	v_cmp_ne_u32_e32 vcc_lo, 0, v14
	v_xor_b32_e32 v22, s64, v19
	s_delay_alu instid0(VALU_DEP_3) | instskip(SKIP_1) | instid1(VALU_DEP_2)
	v_cndmask_b32_e32 v2, v2, v16, vcc_lo
	v_cndmask_b32_e32 v12, v12, v15, vcc_lo
	v_xor_b32_e32 v2, v2, v22
	s_delay_alu instid0(VALU_DEP_2) | instskip(NEXT) | instid1(VALU_DEP_2)
	v_xor_b32_e32 v12, v12, v22
	v_sub_co_u32 v14, vcc_lo, v2, v22
	s_delay_alu instid0(VALU_DEP_2)
	v_sub_co_ci_u32_e32 v15, vcc_lo, v12, v22, vcc_lo
.LBB15_13:                              ;   in Loop: Header=BB15_3 Depth=1
	s_and_not1_saveexec_b32 s0, s80
	s_cbranch_execz .LBB15_15
; %bb.14:                               ;   in Loop: Header=BB15_3 Depth=1
	v_rcp_iflag_f32_e32 v2, v31
	s_sub_i32 s64, 0, s34
	s_waitcnt_depctr 0xfff
	v_mul_f32_e32 v2, 0x4f7ffffe, v2
	s_delay_alu instid0(VALU_DEP_1) | instskip(NEXT) | instid1(VALU_DEP_1)
	v_cvt_u32_f32_e32 v2, v2
	v_mul_lo_u32 v12, s64, v2
	s_delay_alu instid0(VALU_DEP_1) | instskip(NEXT) | instid1(VALU_DEP_1)
	v_mul_hi_u32 v12, v2, v12
	v_add_nc_u32_e32 v2, v2, v12
	s_delay_alu instid0(VALU_DEP_1) | instskip(NEXT) | instid1(VALU_DEP_1)
	v_mul_hi_u32 v2, v21, v2
	v_mul_lo_u32 v12, v2, s34
	v_add_nc_u32_e32 v14, 1, v2
	s_delay_alu instid0(VALU_DEP_2) | instskip(NEXT) | instid1(VALU_DEP_1)
	v_sub_nc_u32_e32 v12, v21, v12
	v_subrev_nc_u32_e32 v15, s34, v12
	v_cmp_le_u32_e32 vcc_lo, s34, v12
	s_delay_alu instid0(VALU_DEP_2) | instskip(SKIP_1) | instid1(VALU_DEP_2)
	v_dual_cndmask_b32 v12, v12, v15 :: v_dual_mov_b32 v15, v1
	v_cndmask_b32_e32 v2, v2, v14, vcc_lo
	v_cmp_le_u32_e32 vcc_lo, s34, v12
	s_delay_alu instid0(VALU_DEP_2) | instskip(NEXT) | instid1(VALU_DEP_1)
	v_add_nc_u32_e32 v14, 1, v2
	v_cndmask_b32_e32 v14, v2, v14, vcc_lo
.LBB15_15:                              ;   in Loop: Header=BB15_3 Depth=1
	s_or_b32 exec_lo, exec_lo, s0
	s_delay_alu instid0(VALU_DEP_1) | instskip(NEXT) | instid1(VALU_DEP_2)
	v_mul_lo_u32 v2, v15, s34
	v_mul_lo_u32 v12, v14, s35
	v_mad_u64_u32 v[24:25], null, v14, s34, 0
	v_mul_lo_u32 v22, v14, s9
	s_mov_b32 s0, exec_lo
	s_delay_alu instid0(VALU_DEP_2) | instskip(SKIP_1) | instid1(VALU_DEP_4)
	v_add3_u32 v2, v25, v12, v2
	v_mul_lo_u32 v12, v15, s8
	v_sub_co_u32 v15, vcc_lo, v7, v24
	s_delay_alu instid0(VALU_DEP_3) | instskip(NEXT) | instid1(VALU_DEP_2)
	v_sub_co_ci_u32_e32 v2, vcc_lo, v8, v2, vcc_lo
	v_add_co_u32 v26, vcc_lo, v3, v15
	v_mad_u64_u32 v[15:16], null, v14, s8, 0
	s_delay_alu instid0(VALU_DEP_3) | instskip(NEXT) | instid1(VALU_DEP_3)
	v_add_co_ci_u32_e32 v2, vcc_lo, v4, v2, vcc_lo
	v_mul_lo_u32 v14, v26, s11
	v_mad_u64_u32 v[24:25], null, v26, s10, 0
	s_delay_alu instid0(VALU_DEP_3) | instskip(SKIP_1) | instid1(VALU_DEP_2)
	v_mul_lo_u32 v2, v2, s10
	v_add3_u32 v16, v16, v22, v12
	v_add3_u32 v25, v25, v14, v2
	s_delay_alu instid0(VALU_DEP_2) | instskip(SKIP_1) | instid1(VALU_DEP_3)
	v_lshlrev_b64 v[14:15], 1, v[15:16]
	v_mov_b32_e32 v16, v11
	v_lshlrev_b64 v[24:25], 1, v[24:25]
	s_delay_alu instid0(VALU_DEP_3) | instskip(NEXT) | instid1(VALU_DEP_4)
	v_add_co_u32 v2, vcc_lo, s2, v14
	v_add_co_ci_u32_e32 v12, vcc_lo, s3, v15, vcc_lo
	s_delay_alu instid0(VALU_DEP_2) | instskip(NEXT) | instid1(VALU_DEP_2)
	v_add_co_u32 v14, vcc_lo, v2, v24
	v_add_co_ci_u32_e32 v15, vcc_lo, v12, v25, vcc_lo
	v_add_co_u32 v2, vcc_lo, v13, 2
	v_add_co_ci_u32_e32 v11, vcc_lo, 0, v16, vcc_lo
	global_load_u16 v29, v[14:15], off
	v_mul_lo_u32 v14, s5, v2
	v_mul_lo_u32 v15, s4, v11
	v_mad_u64_u32 v[11:12], null, s4, v2, 0
	s_delay_alu instid0(VALU_DEP_1) | instskip(NEXT) | instid1(VALU_DEP_2)
	v_add3_u32 v12, v12, v15, v14
	v_add_co_u32 v25, vcc_lo, v3, v11
                                        ; implicit-def: $vgpr14_vgpr15
	s_delay_alu instid0(VALU_DEP_2) | instskip(NEXT) | instid1(VALU_DEP_1)
	v_add_co_ci_u32_e32 v26, vcc_lo, v4, v12, vcc_lo
	v_or_b32_e32 v2, s35, v26
	v_ashrrev_i32_e32 v22, 31, v26
	s_delay_alu instid0(VALU_DEP_2)
	v_cmpx_ne_u64_e32 0, v[1:2]
	s_xor_b32 s80, exec_lo, s0
	s_cbranch_execz .LBB15_17
; %bb.16:                               ;   in Loop: Header=BB15_3 Depth=1
	s_ashr_i32 s64, s35, 31
	s_delay_alu instid0(SALU_CYCLE_1) | instskip(SKIP_2) | instid1(SALU_CYCLE_1)
	s_add_u32 s66, s34, s64
	s_mov_b32 s65, s64
	s_addc_u32 s67, s35, s64
	s_xor_b64 s[66:67], s[66:67], s[64:65]
	s_delay_alu instid0(SALU_CYCLE_1) | instskip(SKIP_3) | instid1(VALU_DEP_1)
	v_cvt_f32_u32_e32 v2, s66
	v_cvt_f32_u32_e32 v14, s67
	s_sub_u32 s0, 0, s66
	s_subb_u32 s65, 0, s67
	v_fmac_f32_e32 v2, 0x4f800000, v14
	s_delay_alu instid0(VALU_DEP_1) | instskip(SKIP_2) | instid1(VALU_DEP_1)
	v_rcp_f32_e32 v2, v2
	s_waitcnt_depctr 0xfff
	v_mul_f32_e32 v2, 0x5f7ffffc, v2
	v_mul_f32_e32 v14, 0x2f800000, v2
	s_delay_alu instid0(VALU_DEP_1) | instskip(NEXT) | instid1(VALU_DEP_1)
	v_trunc_f32_e32 v14, v14
	v_fmac_f32_e32 v2, 0xcf800000, v14
	v_cvt_u32_f32_e32 v14, v14
	s_delay_alu instid0(VALU_DEP_2) | instskip(NEXT) | instid1(VALU_DEP_2)
	v_cvt_u32_f32_e32 v2, v2
	v_mul_lo_u32 v15, s0, v14
	s_delay_alu instid0(VALU_DEP_2) | instskip(SKIP_1) | instid1(VALU_DEP_2)
	v_mul_hi_u32 v24, s0, v2
	v_mul_lo_u32 v30, s65, v2
	v_add_nc_u32_e32 v15, v24, v15
	v_mul_lo_u32 v24, s0, v2
	s_delay_alu instid0(VALU_DEP_2) | instskip(NEXT) | instid1(VALU_DEP_2)
	v_add_nc_u32_e32 v15, v15, v30
	v_mul_hi_u32 v30, v2, v24
	s_delay_alu instid0(VALU_DEP_2)
	v_mul_lo_u32 v32, v2, v15
	v_mul_hi_u32 v33, v2, v15
	v_mul_hi_u32 v34, v14, v24
	v_mul_lo_u32 v24, v14, v24
	v_mul_hi_u32 v35, v14, v15
	v_mul_lo_u32 v15, v14, v15
	v_add_co_u32 v30, vcc_lo, v30, v32
	v_add_co_ci_u32_e32 v32, vcc_lo, 0, v33, vcc_lo
	s_delay_alu instid0(VALU_DEP_2) | instskip(NEXT) | instid1(VALU_DEP_2)
	v_add_co_u32 v24, vcc_lo, v30, v24
	v_add_co_ci_u32_e32 v24, vcc_lo, v32, v34, vcc_lo
	v_add_co_ci_u32_e32 v30, vcc_lo, 0, v35, vcc_lo
	s_delay_alu instid0(VALU_DEP_2) | instskip(NEXT) | instid1(VALU_DEP_2)
	v_add_co_u32 v15, vcc_lo, v24, v15
	v_add_co_ci_u32_e32 v24, vcc_lo, 0, v30, vcc_lo
	s_delay_alu instid0(VALU_DEP_2) | instskip(NEXT) | instid1(VALU_DEP_2)
	v_add_co_u32 v2, vcc_lo, v2, v15
	v_add_co_ci_u32_e32 v14, vcc_lo, v14, v24, vcc_lo
	s_delay_alu instid0(VALU_DEP_2) | instskip(SKIP_1) | instid1(VALU_DEP_3)
	v_mul_hi_u32 v15, s0, v2
	v_mul_lo_u32 v30, s65, v2
	v_mul_lo_u32 v24, s0, v14
	s_delay_alu instid0(VALU_DEP_1) | instskip(SKIP_1) | instid1(VALU_DEP_2)
	v_add_nc_u32_e32 v15, v15, v24
	v_mul_lo_u32 v24, s0, v2
	v_add_nc_u32_e32 v15, v15, v30
	s_delay_alu instid0(VALU_DEP_2) | instskip(NEXT) | instid1(VALU_DEP_2)
	v_mul_hi_u32 v30, v2, v24
	v_mul_lo_u32 v32, v2, v15
	v_mul_hi_u32 v33, v2, v15
	v_mul_hi_u32 v34, v14, v24
	v_mul_lo_u32 v24, v14, v24
	v_mul_hi_u32 v35, v14, v15
	v_mul_lo_u32 v15, v14, v15
	v_add_co_u32 v30, vcc_lo, v30, v32
	v_add_co_ci_u32_e32 v32, vcc_lo, 0, v33, vcc_lo
	s_delay_alu instid0(VALU_DEP_2) | instskip(NEXT) | instid1(VALU_DEP_2)
	v_add_co_u32 v24, vcc_lo, v30, v24
	v_add_co_ci_u32_e32 v24, vcc_lo, v32, v34, vcc_lo
	v_add_co_ci_u32_e32 v30, vcc_lo, 0, v35, vcc_lo
	v_add_co_u32 v32, vcc_lo, v25, v22
	v_add_co_ci_u32_e32 v33, vcc_lo, v26, v22, vcc_lo
	s_delay_alu instid0(VALU_DEP_4) | instskip(NEXT) | instid1(VALU_DEP_4)
	v_add_co_u32 v15, vcc_lo, v24, v15
	v_add_co_ci_u32_e32 v24, vcc_lo, 0, v30, vcc_lo
	s_delay_alu instid0(VALU_DEP_4) | instskip(NEXT) | instid1(VALU_DEP_3)
	v_xor_b32_e32 v30, v32, v22
	v_add_co_u32 v2, vcc_lo, v2, v15
	s_delay_alu instid0(VALU_DEP_3) | instskip(SKIP_1) | instid1(VALU_DEP_3)
	v_add_co_ci_u32_e32 v24, vcc_lo, v14, v24, vcc_lo
	v_xor_b32_e32 v36, v33, v22
	v_mul_hi_u32 v37, v30, v2
	s_delay_alu instid0(VALU_DEP_3) | instskip(NEXT) | instid1(VALU_DEP_3)
	v_mad_u64_u32 v[14:15], null, v30, v24, 0
	v_mad_u64_u32 v[32:33], null, v36, v2, 0
	;; [unrolled: 1-line block ×3, first 2 shown]
	s_delay_alu instid0(VALU_DEP_3) | instskip(NEXT) | instid1(VALU_DEP_4)
	v_add_co_u32 v2, vcc_lo, v37, v14
	v_add_co_ci_u32_e32 v14, vcc_lo, 0, v15, vcc_lo
	s_delay_alu instid0(VALU_DEP_2) | instskip(NEXT) | instid1(VALU_DEP_2)
	v_add_co_u32 v2, vcc_lo, v2, v32
	v_add_co_ci_u32_e32 v2, vcc_lo, v14, v33, vcc_lo
	v_add_co_ci_u32_e32 v14, vcc_lo, 0, v35, vcc_lo
	s_delay_alu instid0(VALU_DEP_2) | instskip(NEXT) | instid1(VALU_DEP_2)
	v_add_co_u32 v2, vcc_lo, v2, v34
	v_add_co_ci_u32_e32 v24, vcc_lo, 0, v14, vcc_lo
	s_delay_alu instid0(VALU_DEP_2) | instskip(SKIP_1) | instid1(VALU_DEP_3)
	v_mul_lo_u32 v32, s67, v2
	v_mad_u64_u32 v[14:15], null, s66, v2, 0
	v_mul_lo_u32 v33, s66, v24
	s_delay_alu instid0(VALU_DEP_2) | instskip(NEXT) | instid1(VALU_DEP_2)
	v_sub_co_u32 v14, vcc_lo, v30, v14
	v_add3_u32 v15, v15, v33, v32
	s_delay_alu instid0(VALU_DEP_1) | instskip(NEXT) | instid1(VALU_DEP_1)
	v_sub_nc_u32_e32 v32, v36, v15
	v_subrev_co_ci_u32_e64 v30, s0, s67, v32, vcc_lo
	v_add_co_u32 v32, s0, v2, 2
	s_delay_alu instid0(VALU_DEP_1) | instskip(SKIP_3) | instid1(VALU_DEP_3)
	v_add_co_ci_u32_e64 v33, s0, 0, v24, s0
	v_sub_co_u32 v34, s0, v14, s66
	v_sub_co_ci_u32_e32 v15, vcc_lo, v36, v15, vcc_lo
	v_subrev_co_ci_u32_e64 v30, s0, 0, v30, s0
	v_cmp_le_u32_e32 vcc_lo, s66, v34
	s_delay_alu instid0(VALU_DEP_3) | instskip(SKIP_1) | instid1(VALU_DEP_4)
	v_cmp_eq_u32_e64 s0, s67, v15
	v_cndmask_b32_e64 v34, 0, -1, vcc_lo
	v_cmp_le_u32_e32 vcc_lo, s67, v30
	v_cndmask_b32_e64 v35, 0, -1, vcc_lo
	v_cmp_le_u32_e32 vcc_lo, s66, v14
	;; [unrolled: 2-line block ×3, first 2 shown]
	v_cndmask_b32_e64 v36, 0, -1, vcc_lo
	v_cmp_eq_u32_e32 vcc_lo, s67, v30
	s_delay_alu instid0(VALU_DEP_2) | instskip(SKIP_3) | instid1(VALU_DEP_3)
	v_cndmask_b32_e64 v14, v36, v14, s0
	v_cndmask_b32_e32 v30, v35, v34, vcc_lo
	v_add_co_u32 v34, vcc_lo, v2, 1
	v_add_co_ci_u32_e32 v35, vcc_lo, 0, v24, vcc_lo
	v_cmp_ne_u32_e32 vcc_lo, 0, v30
	s_delay_alu instid0(VALU_DEP_2) | instskip(SKIP_2) | instid1(VALU_DEP_3)
	v_dual_cndmask_b32 v30, v34, v32 :: v_dual_cndmask_b32 v15, v35, v33
	v_cmp_ne_u32_e32 vcc_lo, 0, v14
	v_xor_b32_e32 v32, s64, v22
	v_cndmask_b32_e32 v2, v2, v30, vcc_lo
	s_delay_alu instid0(VALU_DEP_4) | instskip(NEXT) | instid1(VALU_DEP_2)
	v_cndmask_b32_e32 v14, v24, v15, vcc_lo
	v_xor_b32_e32 v2, v2, v32
	s_delay_alu instid0(VALU_DEP_2) | instskip(NEXT) | instid1(VALU_DEP_2)
	v_xor_b32_e32 v15, v14, v32
	v_sub_co_u32 v14, vcc_lo, v2, v32
	s_delay_alu instid0(VALU_DEP_2)
	v_sub_co_ci_u32_e32 v15, vcc_lo, v15, v32, vcc_lo
.LBB15_17:                              ;   in Loop: Header=BB15_3 Depth=1
	s_and_not1_saveexec_b32 s0, s80
	s_cbranch_execz .LBB15_19
; %bb.18:                               ;   in Loop: Header=BB15_3 Depth=1
	v_rcp_iflag_f32_e32 v2, v31
	s_sub_i32 s64, 0, s34
	s_waitcnt_depctr 0xfff
	v_mul_f32_e32 v2, 0x4f7ffffe, v2
	s_delay_alu instid0(VALU_DEP_1) | instskip(NEXT) | instid1(VALU_DEP_1)
	v_cvt_u32_f32_e32 v2, v2
	v_mul_lo_u32 v14, s64, v2
	s_delay_alu instid0(VALU_DEP_1) | instskip(NEXT) | instid1(VALU_DEP_1)
	v_mul_hi_u32 v14, v2, v14
	v_add_nc_u32_e32 v2, v2, v14
	s_delay_alu instid0(VALU_DEP_1) | instskip(NEXT) | instid1(VALU_DEP_1)
	v_mul_hi_u32 v2, v25, v2
	v_mul_lo_u32 v14, v2, s34
	s_delay_alu instid0(VALU_DEP_1) | instskip(NEXT) | instid1(VALU_DEP_1)
	v_sub_nc_u32_e32 v14, v25, v14
	v_subrev_nc_u32_e32 v24, s34, v14
	v_cmp_le_u32_e32 vcc_lo, s34, v14
	s_delay_alu instid0(VALU_DEP_2) | instskip(NEXT) | instid1(VALU_DEP_1)
	v_dual_cndmask_b32 v14, v14, v24 :: v_dual_add_nc_u32 v15, 1, v2
	v_cndmask_b32_e32 v2, v2, v15, vcc_lo
	s_delay_alu instid0(VALU_DEP_2) | instskip(NEXT) | instid1(VALU_DEP_2)
	v_cmp_le_u32_e32 vcc_lo, s34, v14
	v_add_nc_u32_e32 v15, 1, v2
	s_delay_alu instid0(VALU_DEP_1)
	v_dual_cndmask_b32 v14, v2, v15 :: v_dual_mov_b32 v15, v1
.LBB15_19:                              ;   in Loop: Header=BB15_3 Depth=1
	s_or_b32 exec_lo, exec_lo, s0
	s_delay_alu instid0(VALU_DEP_1) | instskip(NEXT) | instid1(VALU_DEP_2)
	v_mul_lo_u32 v2, v15, s34
	v_mul_lo_u32 v24, v14, s35
	v_mad_u64_u32 v[32:33], null, v14, s34, 0
	v_mul_lo_u32 v30, v14, s9
	s_mov_b32 s0, exec_lo
	s_delay_alu instid0(VALU_DEP_2) | instskip(SKIP_1) | instid1(VALU_DEP_4)
	v_add3_u32 v2, v33, v24, v2
	v_mul_lo_u32 v24, v15, s8
	v_sub_co_u32 v15, vcc_lo, v11, v32
	v_mad_u64_u32 v[32:33], null, v14, s8, 0
	s_delay_alu instid0(VALU_DEP_4) | instskip(NEXT) | instid1(VALU_DEP_3)
	v_sub_co_ci_u32_e32 v2, vcc_lo, v12, v2, vcc_lo
	v_add_co_u32 v34, vcc_lo, v3, v15
	s_delay_alu instid0(VALU_DEP_2) | instskip(NEXT) | instid1(VALU_DEP_2)
	v_add_co_ci_u32_e32 v2, vcc_lo, v4, v2, vcc_lo
	v_mul_lo_u32 v35, v34, s11
	v_mad_u64_u32 v[14:15], null, v34, s10, 0
	s_delay_alu instid0(VALU_DEP_3) | instskip(SKIP_1) | instid1(VALU_DEP_1)
	v_mul_lo_u32 v2, v2, s10
	v_add3_u32 v33, v33, v30, v24
	v_lshlrev_b64 v[32:33], 1, v[32:33]
	s_delay_alu instid0(VALU_DEP_3) | instskip(NEXT) | instid1(VALU_DEP_2)
	v_add3_u32 v15, v15, v35, v2
	v_add_co_u32 v2, vcc_lo, s2, v32
	s_delay_alu instid0(VALU_DEP_2) | instskip(NEXT) | instid1(VALU_DEP_4)
	v_lshlrev_b64 v[14:15], 1, v[14:15]
	v_add_co_ci_u32_e32 v24, vcc_lo, s3, v33, vcc_lo
	s_delay_alu instid0(VALU_DEP_2) | instskip(NEXT) | instid1(VALU_DEP_2)
	v_add_co_u32 v14, vcc_lo, v2, v14
	v_add_co_ci_u32_e32 v15, vcc_lo, v24, v15, vcc_lo
	v_add_co_u32 v2, vcc_lo, v13, 3
	v_add_co_ci_u32_e32 v13, vcc_lo, 0, v16, vcc_lo
	global_load_u16 v30, v[14:15], off
	v_mul_lo_u32 v15, s5, v2
	v_mul_lo_u32 v16, s4, v13
	v_mad_u64_u32 v[13:14], null, s4, v2, 0
	s_delay_alu instid0(VALU_DEP_1) | instskip(NEXT) | instid1(VALU_DEP_2)
	v_add3_u32 v14, v14, v16, v15
	v_add_co_u32 v34, vcc_lo, v3, v13
                                        ; implicit-def: $vgpr15_vgpr16
	s_delay_alu instid0(VALU_DEP_2) | instskip(NEXT) | instid1(VALU_DEP_1)
	v_add_co_ci_u32_e32 v35, vcc_lo, v4, v14, vcc_lo
	v_or_b32_e32 v2, s35, v35
	v_ashrrev_i32_e32 v24, 31, v35
	s_delay_alu instid0(VALU_DEP_2)
	v_cmpx_ne_u64_e32 0, v[1:2]
	s_xor_b32 s80, exec_lo, s0
	s_cbranch_execz .LBB15_21
; %bb.20:                               ;   in Loop: Header=BB15_3 Depth=1
	s_ashr_i32 s64, s35, 31
	s_delay_alu instid0(SALU_CYCLE_1) | instskip(SKIP_2) | instid1(SALU_CYCLE_1)
	s_add_u32 s66, s34, s64
	s_mov_b32 s65, s64
	s_addc_u32 s67, s35, s64
	s_xor_b64 s[66:67], s[66:67], s[64:65]
	s_delay_alu instid0(SALU_CYCLE_1) | instskip(SKIP_3) | instid1(VALU_DEP_1)
	v_cvt_f32_u32_e32 v2, s66
	v_cvt_f32_u32_e32 v15, s67
	s_sub_u32 s0, 0, s66
	s_subb_u32 s65, 0, s67
	v_fmac_f32_e32 v2, 0x4f800000, v15
	s_delay_alu instid0(VALU_DEP_1) | instskip(SKIP_2) | instid1(VALU_DEP_1)
	v_rcp_f32_e32 v2, v2
	s_waitcnt_depctr 0xfff
	v_mul_f32_e32 v2, 0x5f7ffffc, v2
	v_mul_f32_e32 v15, 0x2f800000, v2
	s_delay_alu instid0(VALU_DEP_1) | instskip(NEXT) | instid1(VALU_DEP_1)
	v_trunc_f32_e32 v15, v15
	v_fmac_f32_e32 v2, 0xcf800000, v15
	v_cvt_u32_f32_e32 v15, v15
	s_delay_alu instid0(VALU_DEP_2) | instskip(NEXT) | instid1(VALU_DEP_2)
	v_cvt_u32_f32_e32 v2, v2
	v_mul_lo_u32 v16, s0, v15
	s_delay_alu instid0(VALU_DEP_2) | instskip(SKIP_1) | instid1(VALU_DEP_2)
	v_mul_hi_u32 v31, s0, v2
	v_mul_lo_u32 v32, s65, v2
	v_add_nc_u32_e32 v16, v31, v16
	v_mul_lo_u32 v31, s0, v2
	s_delay_alu instid0(VALU_DEP_2) | instskip(NEXT) | instid1(VALU_DEP_2)
	v_add_nc_u32_e32 v16, v16, v32
	v_mul_hi_u32 v32, v2, v31
	s_delay_alu instid0(VALU_DEP_2)
	v_mul_lo_u32 v33, v2, v16
	v_mul_hi_u32 v36, v2, v16
	v_mul_hi_u32 v37, v15, v31
	v_mul_lo_u32 v31, v15, v31
	v_mul_hi_u32 v38, v15, v16
	v_mul_lo_u32 v16, v15, v16
	v_add_co_u32 v32, vcc_lo, v32, v33
	v_add_co_ci_u32_e32 v33, vcc_lo, 0, v36, vcc_lo
	s_delay_alu instid0(VALU_DEP_2) | instskip(NEXT) | instid1(VALU_DEP_2)
	v_add_co_u32 v31, vcc_lo, v32, v31
	v_add_co_ci_u32_e32 v31, vcc_lo, v33, v37, vcc_lo
	v_add_co_ci_u32_e32 v32, vcc_lo, 0, v38, vcc_lo
	s_delay_alu instid0(VALU_DEP_2) | instskip(NEXT) | instid1(VALU_DEP_2)
	v_add_co_u32 v16, vcc_lo, v31, v16
	v_add_co_ci_u32_e32 v31, vcc_lo, 0, v32, vcc_lo
	s_delay_alu instid0(VALU_DEP_2) | instskip(NEXT) | instid1(VALU_DEP_2)
	v_add_co_u32 v2, vcc_lo, v2, v16
	v_add_co_ci_u32_e32 v15, vcc_lo, v15, v31, vcc_lo
	s_delay_alu instid0(VALU_DEP_2) | instskip(SKIP_1) | instid1(VALU_DEP_3)
	v_mul_hi_u32 v16, s0, v2
	v_mul_lo_u32 v32, s65, v2
	v_mul_lo_u32 v31, s0, v15
	s_delay_alu instid0(VALU_DEP_1) | instskip(SKIP_1) | instid1(VALU_DEP_2)
	v_add_nc_u32_e32 v16, v16, v31
	v_mul_lo_u32 v31, s0, v2
	v_add_nc_u32_e32 v16, v16, v32
	s_delay_alu instid0(VALU_DEP_2) | instskip(NEXT) | instid1(VALU_DEP_2)
	v_mul_hi_u32 v32, v2, v31
	v_mul_lo_u32 v33, v2, v16
	v_mul_hi_u32 v36, v2, v16
	v_mul_hi_u32 v37, v15, v31
	v_mul_lo_u32 v31, v15, v31
	v_mul_hi_u32 v38, v15, v16
	v_mul_lo_u32 v16, v15, v16
	v_add_co_u32 v32, vcc_lo, v32, v33
	v_add_co_ci_u32_e32 v33, vcc_lo, 0, v36, vcc_lo
	s_delay_alu instid0(VALU_DEP_2) | instskip(NEXT) | instid1(VALU_DEP_2)
	v_add_co_u32 v31, vcc_lo, v32, v31
	v_add_co_ci_u32_e32 v31, vcc_lo, v33, v37, vcc_lo
	v_add_co_ci_u32_e32 v32, vcc_lo, 0, v38, vcc_lo
	v_add_co_u32 v33, vcc_lo, v34, v24
	v_add_co_ci_u32_e32 v36, vcc_lo, v35, v24, vcc_lo
	s_delay_alu instid0(VALU_DEP_4) | instskip(NEXT) | instid1(VALU_DEP_4)
	v_add_co_u32 v16, vcc_lo, v31, v16
	v_add_co_ci_u32_e32 v31, vcc_lo, 0, v32, vcc_lo
	s_delay_alu instid0(VALU_DEP_4) | instskip(NEXT) | instid1(VALU_DEP_3)
	v_xor_b32_e32 v33, v33, v24
	v_add_co_u32 v2, vcc_lo, v2, v16
	s_delay_alu instid0(VALU_DEP_3) | instskip(SKIP_1) | instid1(VALU_DEP_3)
	v_add_co_ci_u32_e32 v38, vcc_lo, v15, v31, vcc_lo
	v_xor_b32_e32 v39, v36, v24
	v_mul_hi_u32 v40, v33, v2
	s_delay_alu instid0(VALU_DEP_3) | instskip(NEXT) | instid1(VALU_DEP_3)
	v_mad_u64_u32 v[15:16], null, v33, v38, 0
	v_mad_u64_u32 v[31:32], null, v39, v2, 0
	;; [unrolled: 1-line block ×3, first 2 shown]
	s_delay_alu instid0(VALU_DEP_3) | instskip(NEXT) | instid1(VALU_DEP_4)
	v_add_co_u32 v2, vcc_lo, v40, v15
	v_add_co_ci_u32_e32 v15, vcc_lo, 0, v16, vcc_lo
	s_delay_alu instid0(VALU_DEP_2) | instskip(NEXT) | instid1(VALU_DEP_2)
	v_add_co_u32 v2, vcc_lo, v2, v31
	v_add_co_ci_u32_e32 v2, vcc_lo, v15, v32, vcc_lo
	v_add_co_ci_u32_e32 v15, vcc_lo, 0, v37, vcc_lo
	s_delay_alu instid0(VALU_DEP_2) | instskip(NEXT) | instid1(VALU_DEP_2)
	v_add_co_u32 v2, vcc_lo, v2, v36
	v_add_co_ci_u32_e32 v31, vcc_lo, 0, v15, vcc_lo
	s_delay_alu instid0(VALU_DEP_2) | instskip(SKIP_1) | instid1(VALU_DEP_3)
	v_mul_lo_u32 v32, s67, v2
	v_mad_u64_u32 v[15:16], null, s66, v2, 0
	v_mul_lo_u32 v36, s66, v31
	s_delay_alu instid0(VALU_DEP_2) | instskip(NEXT) | instid1(VALU_DEP_2)
	v_sub_co_u32 v15, vcc_lo, v33, v15
	v_add3_u32 v16, v16, v36, v32
	s_delay_alu instid0(VALU_DEP_1) | instskip(NEXT) | instid1(VALU_DEP_1)
	v_sub_nc_u32_e32 v32, v39, v16
	v_subrev_co_ci_u32_e64 v32, s0, s67, v32, vcc_lo
	v_add_co_u32 v33, s0, v2, 2
	s_delay_alu instid0(VALU_DEP_1) | instskip(SKIP_3) | instid1(VALU_DEP_3)
	v_add_co_ci_u32_e64 v36, s0, 0, v31, s0
	v_sub_co_u32 v37, s0, v15, s66
	v_sub_co_ci_u32_e32 v16, vcc_lo, v39, v16, vcc_lo
	v_subrev_co_ci_u32_e64 v32, s0, 0, v32, s0
	v_cmp_le_u32_e32 vcc_lo, s66, v37
	s_delay_alu instid0(VALU_DEP_3) | instskip(SKIP_1) | instid1(VALU_DEP_4)
	v_cmp_eq_u32_e64 s0, s67, v16
	v_cndmask_b32_e64 v37, 0, -1, vcc_lo
	v_cmp_le_u32_e32 vcc_lo, s67, v32
	v_cndmask_b32_e64 v38, 0, -1, vcc_lo
	v_cmp_le_u32_e32 vcc_lo, s66, v15
	;; [unrolled: 2-line block ×3, first 2 shown]
	v_cndmask_b32_e64 v39, 0, -1, vcc_lo
	v_cmp_eq_u32_e32 vcc_lo, s67, v32
	s_delay_alu instid0(VALU_DEP_2) | instskip(SKIP_3) | instid1(VALU_DEP_3)
	v_cndmask_b32_e64 v15, v39, v15, s0
	v_cndmask_b32_e32 v32, v38, v37, vcc_lo
	v_add_co_u32 v37, vcc_lo, v2, 1
	v_add_co_ci_u32_e32 v38, vcc_lo, 0, v31, vcc_lo
	v_cmp_ne_u32_e32 vcc_lo, 0, v32
	s_delay_alu instid0(VALU_DEP_2) | instskip(NEXT) | instid1(VALU_DEP_4)
	v_cndmask_b32_e32 v16, v38, v36, vcc_lo
	v_cndmask_b32_e32 v32, v37, v33, vcc_lo
	v_cmp_ne_u32_e32 vcc_lo, 0, v15
	v_xor_b32_e32 v33, s64, v24
	s_delay_alu instid0(VALU_DEP_3) | instskip(SKIP_1) | instid1(VALU_DEP_2)
	v_cndmask_b32_e32 v2, v2, v32, vcc_lo
	v_cndmask_b32_e32 v15, v31, v16, vcc_lo
                                        ; implicit-def: $vgpr31
	v_xor_b32_e32 v2, v2, v33
	s_delay_alu instid0(VALU_DEP_2) | instskip(NEXT) | instid1(VALU_DEP_2)
	v_xor_b32_e32 v16, v15, v33
	v_sub_co_u32 v15, vcc_lo, v2, v33
	s_delay_alu instid0(VALU_DEP_2)
	v_sub_co_ci_u32_e32 v16, vcc_lo, v16, v33, vcc_lo
.LBB15_21:                              ;   in Loop: Header=BB15_3 Depth=1
	s_and_not1_saveexec_b32 s0, s80
	s_cbranch_execz .LBB15_23
; %bb.22:                               ;   in Loop: Header=BB15_3 Depth=1
	v_rcp_iflag_f32_e32 v2, v31
	s_sub_i32 s64, 0, s34
	s_waitcnt_depctr 0xfff
	v_mul_f32_e32 v2, 0x4f7ffffe, v2
	s_delay_alu instid0(VALU_DEP_1) | instskip(NEXT) | instid1(VALU_DEP_1)
	v_cvt_u32_f32_e32 v2, v2
	v_mul_lo_u32 v15, s64, v2
	s_delay_alu instid0(VALU_DEP_1) | instskip(NEXT) | instid1(VALU_DEP_1)
	v_mul_hi_u32 v15, v2, v15
	v_add_nc_u32_e32 v2, v2, v15
	s_delay_alu instid0(VALU_DEP_1) | instskip(NEXT) | instid1(VALU_DEP_1)
	v_mul_hi_u32 v2, v34, v2
	v_mul_lo_u32 v15, v2, s34
	v_add_nc_u32_e32 v16, 1, v2
	s_delay_alu instid0(VALU_DEP_2) | instskip(NEXT) | instid1(VALU_DEP_1)
	v_sub_nc_u32_e32 v15, v34, v15
	v_subrev_nc_u32_e32 v31, s34, v15
	v_cmp_le_u32_e32 vcc_lo, s34, v15
	s_delay_alu instid0(VALU_DEP_2) | instskip(NEXT) | instid1(VALU_DEP_1)
	v_dual_cndmask_b32 v15, v15, v31 :: v_dual_cndmask_b32 v2, v2, v16
	v_cmp_le_u32_e32 vcc_lo, s34, v15
	s_delay_alu instid0(VALU_DEP_2) | instskip(NEXT) | instid1(VALU_DEP_1)
	v_add_nc_u32_e32 v16, 1, v2
	v_dual_cndmask_b32 v15, v2, v16 :: v_dual_mov_b32 v16, v1
.LBB15_23:                              ;   in Loop: Header=BB15_3 Depth=1
	s_or_b32 exec_lo, exec_lo, s0
	s_delay_alu instid0(VALU_DEP_1) | instskip(NEXT) | instid1(VALU_DEP_2)
	v_mul_lo_u32 v2, v16, s34
	v_mul_lo_u32 v33, v15, s35
	v_mad_u64_u32 v[31:32], null, v15, s34, 0
	v_mul_lo_u32 v36, v15, s9
	s_mov_b32 s0, exec_lo
	s_delay_alu instid0(VALU_DEP_2) | instskip(SKIP_1) | instid1(VALU_DEP_4)
	v_add3_u32 v2, v32, v33, v2
	v_mul_lo_u32 v33, v16, s8
	v_sub_co_u32 v16, vcc_lo, v13, v31
	v_mad_u64_u32 v[31:32], null, v15, s8, 0
	s_delay_alu instid0(VALU_DEP_4) | instskip(NEXT) | instid1(VALU_DEP_3)
	v_sub_co_ci_u32_e32 v2, vcc_lo, v14, v2, vcc_lo
	v_add_co_u32 v37, vcc_lo, v3, v16
	s_delay_alu instid0(VALU_DEP_2) | instskip(NEXT) | instid1(VALU_DEP_2)
	v_add_co_ci_u32_e32 v2, vcc_lo, v4, v2, vcc_lo
	v_mul_lo_u32 v38, v37, s11
	v_mad_u64_u32 v[15:16], null, v37, s10, 0
	s_delay_alu instid0(VALU_DEP_3) | instskip(SKIP_1) | instid1(VALU_DEP_1)
	v_mul_lo_u32 v2, v2, s10
	v_add3_u32 v32, v32, v36, v33
	v_lshlrev_b64 v[31:32], 1, v[31:32]
	s_delay_alu instid0(VALU_DEP_3) | instskip(NEXT) | instid1(VALU_DEP_2)
	v_add3_u32 v16, v16, v38, v2
	v_add_co_u32 v2, vcc_lo, s2, v31
	s_delay_alu instid0(VALU_DEP_2) | instskip(NEXT) | instid1(VALU_DEP_4)
	v_lshlrev_b64 v[15:16], 1, v[15:16]
	v_add_co_ci_u32_e32 v31, vcc_lo, s3, v32, vcc_lo
	s_delay_alu instid0(VALU_DEP_2) | instskip(NEXT) | instid1(VALU_DEP_2)
	v_add_co_u32 v15, vcc_lo, v2, v15
	v_add_co_ci_u32_e32 v16, vcc_lo, v31, v16, vcc_lo
	v_or_b32_e32 v2, s41, v20
	global_load_u16 v31, v[15:16], off
                                        ; implicit-def: $vgpr15_vgpr16
	v_cmpx_ne_u64_e32 0, v[1:2]
	s_xor_b32 s80, exec_lo, s0
	s_cbranch_execz .LBB15_25
; %bb.24:                               ;   in Loop: Header=BB15_3 Depth=1
	s_ashr_i32 s64, s41, 31
	s_delay_alu instid0(SALU_CYCLE_1) | instskip(SKIP_2) | instid1(SALU_CYCLE_1)
	s_add_u32 s66, s40, s64
	s_mov_b32 s65, s64
	s_addc_u32 s67, s41, s64
	s_xor_b64 s[66:67], s[66:67], s[64:65]
	s_delay_alu instid0(SALU_CYCLE_1) | instskip(SKIP_3) | instid1(VALU_DEP_1)
	v_cvt_f32_u32_e32 v2, s66
	v_cvt_f32_u32_e32 v15, s67
	s_sub_u32 s0, 0, s66
	s_subb_u32 s65, 0, s67
	v_fmac_f32_e32 v2, 0x4f800000, v15
	s_delay_alu instid0(VALU_DEP_1) | instskip(SKIP_2) | instid1(VALU_DEP_1)
	v_rcp_f32_e32 v2, v2
	s_waitcnt_depctr 0xfff
	v_mul_f32_e32 v2, 0x5f7ffffc, v2
	v_mul_f32_e32 v15, 0x2f800000, v2
	s_delay_alu instid0(VALU_DEP_1) | instskip(NEXT) | instid1(VALU_DEP_1)
	v_trunc_f32_e32 v15, v15
	v_fmac_f32_e32 v2, 0xcf800000, v15
	v_cvt_u32_f32_e32 v15, v15
	s_delay_alu instid0(VALU_DEP_2) | instskip(NEXT) | instid1(VALU_DEP_2)
	v_cvt_u32_f32_e32 v2, v2
	v_mul_lo_u32 v16, s0, v15
	s_delay_alu instid0(VALU_DEP_2) | instskip(SKIP_1) | instid1(VALU_DEP_2)
	v_mul_hi_u32 v32, s0, v2
	v_mul_lo_u32 v33, s65, v2
	v_add_nc_u32_e32 v16, v32, v16
	v_mul_lo_u32 v32, s0, v2
	s_delay_alu instid0(VALU_DEP_2) | instskip(NEXT) | instid1(VALU_DEP_2)
	v_add_nc_u32_e32 v16, v16, v33
	v_mul_hi_u32 v33, v2, v32
	s_delay_alu instid0(VALU_DEP_2)
	v_mul_lo_u32 v36, v2, v16
	v_mul_hi_u32 v37, v2, v16
	v_mul_hi_u32 v38, v15, v32
	v_mul_lo_u32 v32, v15, v32
	v_mul_hi_u32 v39, v15, v16
	v_mul_lo_u32 v16, v15, v16
	v_add_co_u32 v33, vcc_lo, v33, v36
	v_add_co_ci_u32_e32 v36, vcc_lo, 0, v37, vcc_lo
	s_delay_alu instid0(VALU_DEP_2) | instskip(NEXT) | instid1(VALU_DEP_2)
	v_add_co_u32 v32, vcc_lo, v33, v32
	v_add_co_ci_u32_e32 v32, vcc_lo, v36, v38, vcc_lo
	v_add_co_ci_u32_e32 v33, vcc_lo, 0, v39, vcc_lo
	s_delay_alu instid0(VALU_DEP_2) | instskip(NEXT) | instid1(VALU_DEP_2)
	v_add_co_u32 v16, vcc_lo, v32, v16
	v_add_co_ci_u32_e32 v32, vcc_lo, 0, v33, vcc_lo
	s_delay_alu instid0(VALU_DEP_2) | instskip(NEXT) | instid1(VALU_DEP_2)
	v_add_co_u32 v2, vcc_lo, v2, v16
	v_add_co_ci_u32_e32 v15, vcc_lo, v15, v32, vcc_lo
	s_delay_alu instid0(VALU_DEP_2) | instskip(SKIP_1) | instid1(VALU_DEP_3)
	v_mul_hi_u32 v16, s0, v2
	v_mul_lo_u32 v33, s65, v2
	v_mul_lo_u32 v32, s0, v15
	s_delay_alu instid0(VALU_DEP_1) | instskip(SKIP_1) | instid1(VALU_DEP_2)
	v_add_nc_u32_e32 v16, v16, v32
	v_mul_lo_u32 v32, s0, v2
	v_add_nc_u32_e32 v16, v16, v33
	s_delay_alu instid0(VALU_DEP_2) | instskip(NEXT) | instid1(VALU_DEP_2)
	v_mul_hi_u32 v33, v2, v32
	v_mul_lo_u32 v36, v2, v16
	v_mul_hi_u32 v37, v2, v16
	v_mul_hi_u32 v38, v15, v32
	v_mul_lo_u32 v32, v15, v32
	v_mul_hi_u32 v39, v15, v16
	v_mul_lo_u32 v16, v15, v16
	v_add_co_u32 v33, vcc_lo, v33, v36
	v_add_co_ci_u32_e32 v36, vcc_lo, 0, v37, vcc_lo
	s_delay_alu instid0(VALU_DEP_2) | instskip(NEXT) | instid1(VALU_DEP_2)
	v_add_co_u32 v32, vcc_lo, v33, v32
	v_add_co_ci_u32_e32 v32, vcc_lo, v36, v38, vcc_lo
	v_add_co_ci_u32_e32 v33, vcc_lo, 0, v39, vcc_lo
	v_add_co_u32 v36, vcc_lo, v18, v17
	v_add_co_ci_u32_e32 v37, vcc_lo, v20, v17, vcc_lo
	s_delay_alu instid0(VALU_DEP_4) | instskip(NEXT) | instid1(VALU_DEP_4)
	v_add_co_u32 v16, vcc_lo, v32, v16
	v_add_co_ci_u32_e32 v32, vcc_lo, 0, v33, vcc_lo
	s_delay_alu instid0(VALU_DEP_4) | instskip(NEXT) | instid1(VALU_DEP_3)
	v_xor_b32_e32 v38, v36, v17
	v_add_co_u32 v2, vcc_lo, v2, v16
	s_delay_alu instid0(VALU_DEP_3) | instskip(SKIP_1) | instid1(VALU_DEP_3)
	v_add_co_ci_u32_e32 v39, vcc_lo, v15, v32, vcc_lo
	v_xor_b32_e32 v40, v37, v17
	v_mul_hi_u32 v41, v38, v2
	s_delay_alu instid0(VALU_DEP_3) | instskip(NEXT) | instid1(VALU_DEP_3)
	v_mad_u64_u32 v[15:16], null, v38, v39, 0
	v_mad_u64_u32 v[32:33], null, v40, v2, 0
	;; [unrolled: 1-line block ×3, first 2 shown]
	s_delay_alu instid0(VALU_DEP_3) | instskip(NEXT) | instid1(VALU_DEP_4)
	v_add_co_u32 v2, vcc_lo, v41, v15
	v_add_co_ci_u32_e32 v15, vcc_lo, 0, v16, vcc_lo
	s_delay_alu instid0(VALU_DEP_2) | instskip(NEXT) | instid1(VALU_DEP_2)
	v_add_co_u32 v2, vcc_lo, v2, v32
	v_add_co_ci_u32_e32 v2, vcc_lo, v15, v33, vcc_lo
	v_add_co_ci_u32_e32 v15, vcc_lo, 0, v37, vcc_lo
	s_delay_alu instid0(VALU_DEP_2) | instskip(NEXT) | instid1(VALU_DEP_2)
	v_add_co_u32 v2, vcc_lo, v2, v36
	v_add_co_ci_u32_e32 v32, vcc_lo, 0, v15, vcc_lo
	s_delay_alu instid0(VALU_DEP_2) | instskip(SKIP_1) | instid1(VALU_DEP_3)
	v_mul_lo_u32 v33, s67, v2
	v_mad_u64_u32 v[15:16], null, s66, v2, 0
	v_mul_lo_u32 v36, s66, v32
	s_delay_alu instid0(VALU_DEP_2) | instskip(NEXT) | instid1(VALU_DEP_2)
	v_sub_co_u32 v15, vcc_lo, v38, v15
	v_add3_u32 v16, v16, v36, v33
	s_delay_alu instid0(VALU_DEP_1) | instskip(NEXT) | instid1(VALU_DEP_1)
	v_sub_nc_u32_e32 v33, v40, v16
	v_subrev_co_ci_u32_e64 v33, s0, s67, v33, vcc_lo
	v_add_co_u32 v36, s0, v2, 2
	s_delay_alu instid0(VALU_DEP_1) | instskip(SKIP_3) | instid1(VALU_DEP_3)
	v_add_co_ci_u32_e64 v37, s0, 0, v32, s0
	v_sub_co_u32 v38, s0, v15, s66
	v_sub_co_ci_u32_e32 v16, vcc_lo, v40, v16, vcc_lo
	v_subrev_co_ci_u32_e64 v33, s0, 0, v33, s0
	v_cmp_le_u32_e32 vcc_lo, s66, v38
	s_delay_alu instid0(VALU_DEP_3) | instskip(SKIP_1) | instid1(VALU_DEP_4)
	v_cmp_eq_u32_e64 s0, s67, v16
	v_cndmask_b32_e64 v38, 0, -1, vcc_lo
	v_cmp_le_u32_e32 vcc_lo, s67, v33
	v_cndmask_b32_e64 v39, 0, -1, vcc_lo
	v_cmp_le_u32_e32 vcc_lo, s66, v15
	;; [unrolled: 2-line block ×3, first 2 shown]
	v_cndmask_b32_e64 v40, 0, -1, vcc_lo
	v_cmp_eq_u32_e32 vcc_lo, s67, v33
	s_delay_alu instid0(VALU_DEP_2) | instskip(SKIP_3) | instid1(VALU_DEP_3)
	v_cndmask_b32_e64 v15, v40, v15, s0
	v_cndmask_b32_e32 v33, v39, v38, vcc_lo
	v_add_co_u32 v38, vcc_lo, v2, 1
	v_add_co_ci_u32_e32 v39, vcc_lo, 0, v32, vcc_lo
	v_cmp_ne_u32_e32 vcc_lo, 0, v33
	s_delay_alu instid0(VALU_DEP_2) | instskip(SKIP_2) | instid1(VALU_DEP_3)
	v_dual_cndmask_b32 v16, v39, v37 :: v_dual_cndmask_b32 v33, v38, v36
	v_cmp_ne_u32_e32 vcc_lo, 0, v15
	v_xor_b32_e32 v36, s64, v17
	v_dual_cndmask_b32 v15, v32, v16 :: v_dual_cndmask_b32 v2, v2, v33
	s_delay_alu instid0(VALU_DEP_1) | instskip(NEXT) | instid1(VALU_DEP_2)
	v_xor_b32_e32 v16, v15, v36
	v_xor_b32_e32 v2, v2, v36
	s_delay_alu instid0(VALU_DEP_1) | instskip(NEXT) | instid1(VALU_DEP_3)
	v_sub_co_u32 v15, vcc_lo, v2, v36
	v_sub_co_ci_u32_e32 v16, vcc_lo, v16, v36, vcc_lo
.LBB15_25:                              ;   in Loop: Header=BB15_3 Depth=1
	s_or_saveexec_b32 s0, s80
	v_cvt_f32_u32_e32 v37, s40
	s_xor_b32 exec_lo, exec_lo, s0
	s_cbranch_execz .LBB15_27
; %bb.26:                               ;   in Loop: Header=BB15_3 Depth=1
	s_delay_alu instid0(VALU_DEP_1) | instskip(SKIP_3) | instid1(VALU_DEP_1)
	v_rcp_iflag_f32_e32 v2, v37
	s_sub_i32 s64, 0, s40
	s_waitcnt_depctr 0xfff
	v_mul_f32_e32 v2, 0x4f7ffffe, v2
	v_cvt_u32_f32_e32 v2, v2
	s_delay_alu instid0(VALU_DEP_1) | instskip(NEXT) | instid1(VALU_DEP_1)
	v_mul_lo_u32 v15, s64, v2
	v_mul_hi_u32 v15, v2, v15
	s_delay_alu instid0(VALU_DEP_1) | instskip(NEXT) | instid1(VALU_DEP_1)
	v_add_nc_u32_e32 v2, v2, v15
	v_mul_hi_u32 v2, v18, v2
	s_delay_alu instid0(VALU_DEP_1) | instskip(SKIP_1) | instid1(VALU_DEP_2)
	v_mul_lo_u32 v15, v2, s40
	v_add_nc_u32_e32 v16, 1, v2
	v_sub_nc_u32_e32 v15, v18, v15
	s_delay_alu instid0(VALU_DEP_1) | instskip(SKIP_1) | instid1(VALU_DEP_2)
	v_subrev_nc_u32_e32 v32, s40, v15
	v_cmp_le_u32_e32 vcc_lo, s40, v15
	v_cndmask_b32_e32 v15, v15, v32, vcc_lo
	v_cndmask_b32_e32 v2, v2, v16, vcc_lo
	s_delay_alu instid0(VALU_DEP_2) | instskip(NEXT) | instid1(VALU_DEP_2)
	v_cmp_le_u32_e32 vcc_lo, s40, v15
	v_add_nc_u32_e32 v16, 1, v2
	s_delay_alu instid0(VALU_DEP_1)
	v_dual_cndmask_b32 v15, v2, v16 :: v_dual_mov_b32 v16, v1
.LBB15_27:                              ;   in Loop: Header=BB15_3 Depth=1
	s_or_b32 exec_lo, exec_lo, s0
	s_delay_alu instid0(VALU_DEP_1) | instskip(NEXT) | instid1(VALU_DEP_2)
	v_mul_lo_u32 v2, v16, s40
	v_mul_lo_u32 v36, v15, s41
	v_mad_u64_u32 v[32:33], null, v15, s40, 0
	v_mul_lo_u32 v38, v15, s13
	s_mov_b32 s0, exec_lo
	s_delay_alu instid0(VALU_DEP_2) | instskip(SKIP_1) | instid1(VALU_DEP_4)
	v_add3_u32 v2, v33, v36, v2
	v_mul_lo_u32 v36, v16, s12
	v_sub_co_u32 v16, vcc_lo, v5, v32
	v_mad_u64_u32 v[32:33], null, v15, s12, 0
	s_delay_alu instid0(VALU_DEP_4) | instskip(NEXT) | instid1(VALU_DEP_3)
	v_sub_co_ci_u32_e32 v2, vcc_lo, v6, v2, vcc_lo
	v_add_co_u32 v39, vcc_lo, v3, v16
	s_delay_alu instid0(VALU_DEP_2) | instskip(NEXT) | instid1(VALU_DEP_2)
	v_add_co_ci_u32_e32 v2, vcc_lo, v4, v2, vcc_lo
	v_mul_lo_u32 v40, v39, s15
	v_mad_u64_u32 v[15:16], null, v39, s14, 0
	s_delay_alu instid0(VALU_DEP_3) | instskip(SKIP_1) | instid1(VALU_DEP_1)
	v_mul_lo_u32 v2, v2, s14
	v_add3_u32 v33, v33, v38, v36
	v_lshlrev_b64 v[32:33], 1, v[32:33]
	s_delay_alu instid0(VALU_DEP_3) | instskip(NEXT) | instid1(VALU_DEP_2)
	v_add3_u32 v16, v16, v40, v2
	v_add_co_u32 v2, vcc_lo, s36, v32
	s_delay_alu instid0(VALU_DEP_2) | instskip(NEXT) | instid1(VALU_DEP_4)
	v_lshlrev_b64 v[15:16], 1, v[15:16]
	v_add_co_ci_u32_e32 v32, vcc_lo, s37, v33, vcc_lo
	s_delay_alu instid0(VALU_DEP_2) | instskip(NEXT) | instid1(VALU_DEP_2)
	v_add_co_u32 v15, vcc_lo, v2, v15
	v_add_co_ci_u32_e32 v16, vcc_lo, v32, v16, vcc_lo
	v_or_b32_e32 v2, s41, v23
	global_load_u16 v32, v[15:16], off
                                        ; implicit-def: $vgpr15_vgpr16
	v_cmpx_ne_u64_e32 0, v[1:2]
	s_xor_b32 s80, exec_lo, s0
	s_cbranch_execz .LBB15_29
; %bb.28:                               ;   in Loop: Header=BB15_3 Depth=1
	s_ashr_i32 s64, s41, 31
	s_delay_alu instid0(SALU_CYCLE_1) | instskip(SKIP_2) | instid1(SALU_CYCLE_1)
	s_add_u32 s66, s40, s64
	s_mov_b32 s65, s64
	s_addc_u32 s67, s41, s64
	s_xor_b64 s[66:67], s[66:67], s[64:65]
	s_delay_alu instid0(SALU_CYCLE_1) | instskip(SKIP_3) | instid1(VALU_DEP_1)
	v_cvt_f32_u32_e32 v2, s66
	v_cvt_f32_u32_e32 v15, s67
	s_sub_u32 s0, 0, s66
	s_subb_u32 s65, 0, s67
	v_fmac_f32_e32 v2, 0x4f800000, v15
	s_delay_alu instid0(VALU_DEP_1) | instskip(SKIP_2) | instid1(VALU_DEP_1)
	v_rcp_f32_e32 v2, v2
	s_waitcnt_depctr 0xfff
	v_mul_f32_e32 v2, 0x5f7ffffc, v2
	v_mul_f32_e32 v15, 0x2f800000, v2
	s_delay_alu instid0(VALU_DEP_1) | instskip(NEXT) | instid1(VALU_DEP_1)
	v_trunc_f32_e32 v15, v15
	v_fmac_f32_e32 v2, 0xcf800000, v15
	v_cvt_u32_f32_e32 v15, v15
	s_delay_alu instid0(VALU_DEP_2) | instskip(NEXT) | instid1(VALU_DEP_2)
	v_cvt_u32_f32_e32 v2, v2
	v_mul_lo_u32 v16, s0, v15
	s_delay_alu instid0(VALU_DEP_2) | instskip(SKIP_1) | instid1(VALU_DEP_2)
	v_mul_hi_u32 v33, s0, v2
	v_mul_lo_u32 v36, s65, v2
	v_add_nc_u32_e32 v16, v33, v16
	v_mul_lo_u32 v33, s0, v2
	s_delay_alu instid0(VALU_DEP_2) | instskip(NEXT) | instid1(VALU_DEP_2)
	v_add_nc_u32_e32 v16, v16, v36
	v_mul_hi_u32 v36, v2, v33
	s_delay_alu instid0(VALU_DEP_2)
	v_mul_lo_u32 v38, v2, v16
	v_mul_hi_u32 v39, v2, v16
	v_mul_hi_u32 v40, v15, v33
	v_mul_lo_u32 v33, v15, v33
	v_mul_hi_u32 v41, v15, v16
	v_mul_lo_u32 v16, v15, v16
	v_add_co_u32 v36, vcc_lo, v36, v38
	v_add_co_ci_u32_e32 v38, vcc_lo, 0, v39, vcc_lo
	s_delay_alu instid0(VALU_DEP_2) | instskip(NEXT) | instid1(VALU_DEP_2)
	v_add_co_u32 v33, vcc_lo, v36, v33
	v_add_co_ci_u32_e32 v33, vcc_lo, v38, v40, vcc_lo
	v_add_co_ci_u32_e32 v36, vcc_lo, 0, v41, vcc_lo
	s_delay_alu instid0(VALU_DEP_2) | instskip(NEXT) | instid1(VALU_DEP_2)
	v_add_co_u32 v16, vcc_lo, v33, v16
	v_add_co_ci_u32_e32 v33, vcc_lo, 0, v36, vcc_lo
	s_delay_alu instid0(VALU_DEP_2) | instskip(NEXT) | instid1(VALU_DEP_2)
	v_add_co_u32 v2, vcc_lo, v2, v16
	v_add_co_ci_u32_e32 v15, vcc_lo, v15, v33, vcc_lo
	s_delay_alu instid0(VALU_DEP_2) | instskip(SKIP_1) | instid1(VALU_DEP_3)
	v_mul_hi_u32 v16, s0, v2
	v_mul_lo_u32 v36, s65, v2
	v_mul_lo_u32 v33, s0, v15
	s_delay_alu instid0(VALU_DEP_1) | instskip(SKIP_1) | instid1(VALU_DEP_2)
	v_add_nc_u32_e32 v16, v16, v33
	v_mul_lo_u32 v33, s0, v2
	v_add_nc_u32_e32 v16, v16, v36
	s_delay_alu instid0(VALU_DEP_2) | instskip(NEXT) | instid1(VALU_DEP_2)
	v_mul_hi_u32 v36, v2, v33
	v_mul_lo_u32 v38, v2, v16
	v_mul_hi_u32 v39, v2, v16
	v_mul_hi_u32 v40, v15, v33
	v_mul_lo_u32 v33, v15, v33
	v_mul_hi_u32 v41, v15, v16
	v_mul_lo_u32 v16, v15, v16
	v_add_co_u32 v36, vcc_lo, v36, v38
	v_add_co_ci_u32_e32 v38, vcc_lo, 0, v39, vcc_lo
	s_delay_alu instid0(VALU_DEP_2) | instskip(NEXT) | instid1(VALU_DEP_2)
	v_add_co_u32 v33, vcc_lo, v36, v33
	v_add_co_ci_u32_e32 v33, vcc_lo, v38, v40, vcc_lo
	v_add_co_ci_u32_e32 v36, vcc_lo, 0, v41, vcc_lo
	v_add_co_u32 v38, vcc_lo, v21, v19
	v_add_co_ci_u32_e32 v39, vcc_lo, v23, v19, vcc_lo
	s_delay_alu instid0(VALU_DEP_4) | instskip(NEXT) | instid1(VALU_DEP_4)
	v_add_co_u32 v16, vcc_lo, v33, v16
	v_add_co_ci_u32_e32 v33, vcc_lo, 0, v36, vcc_lo
	s_delay_alu instid0(VALU_DEP_4) | instskip(NEXT) | instid1(VALU_DEP_3)
	v_xor_b32_e32 v36, v38, v19
	v_add_co_u32 v2, vcc_lo, v2, v16
	s_delay_alu instid0(VALU_DEP_3) | instskip(SKIP_1) | instid1(VALU_DEP_3)
	v_add_co_ci_u32_e32 v33, vcc_lo, v15, v33, vcc_lo
	v_xor_b32_e32 v42, v39, v19
	v_mul_hi_u32 v43, v36, v2
	s_delay_alu instid0(VALU_DEP_3) | instskip(NEXT) | instid1(VALU_DEP_3)
	v_mad_u64_u32 v[15:16], null, v36, v33, 0
	v_mad_u64_u32 v[38:39], null, v42, v2, 0
	;; [unrolled: 1-line block ×3, first 2 shown]
	s_delay_alu instid0(VALU_DEP_3) | instskip(NEXT) | instid1(VALU_DEP_4)
	v_add_co_u32 v2, vcc_lo, v43, v15
	v_add_co_ci_u32_e32 v15, vcc_lo, 0, v16, vcc_lo
	s_delay_alu instid0(VALU_DEP_2) | instskip(NEXT) | instid1(VALU_DEP_2)
	v_add_co_u32 v2, vcc_lo, v2, v38
	v_add_co_ci_u32_e32 v2, vcc_lo, v15, v39, vcc_lo
	v_add_co_ci_u32_e32 v15, vcc_lo, 0, v41, vcc_lo
	s_delay_alu instid0(VALU_DEP_2) | instskip(NEXT) | instid1(VALU_DEP_2)
	v_add_co_u32 v2, vcc_lo, v2, v40
	v_add_co_ci_u32_e32 v33, vcc_lo, 0, v15, vcc_lo
	s_delay_alu instid0(VALU_DEP_2) | instskip(SKIP_1) | instid1(VALU_DEP_3)
	v_mul_lo_u32 v38, s67, v2
	v_mad_u64_u32 v[15:16], null, s66, v2, 0
	v_mul_lo_u32 v39, s66, v33
	s_delay_alu instid0(VALU_DEP_2) | instskip(NEXT) | instid1(VALU_DEP_2)
	v_sub_co_u32 v15, vcc_lo, v36, v15
	v_add3_u32 v16, v16, v39, v38
	s_delay_alu instid0(VALU_DEP_1) | instskip(NEXT) | instid1(VALU_DEP_1)
	v_sub_nc_u32_e32 v38, v42, v16
	v_subrev_co_ci_u32_e64 v36, s0, s67, v38, vcc_lo
	v_add_co_u32 v38, s0, v2, 2
	s_delay_alu instid0(VALU_DEP_1) | instskip(SKIP_3) | instid1(VALU_DEP_3)
	v_add_co_ci_u32_e64 v39, s0, 0, v33, s0
	v_sub_co_u32 v40, s0, v15, s66
	v_sub_co_ci_u32_e32 v16, vcc_lo, v42, v16, vcc_lo
	v_subrev_co_ci_u32_e64 v36, s0, 0, v36, s0
	v_cmp_le_u32_e32 vcc_lo, s66, v40
	s_delay_alu instid0(VALU_DEP_3) | instskip(SKIP_1) | instid1(VALU_DEP_4)
	v_cmp_eq_u32_e64 s0, s67, v16
	v_cndmask_b32_e64 v40, 0, -1, vcc_lo
	v_cmp_le_u32_e32 vcc_lo, s67, v36
	v_cndmask_b32_e64 v41, 0, -1, vcc_lo
	v_cmp_le_u32_e32 vcc_lo, s66, v15
	;; [unrolled: 2-line block ×3, first 2 shown]
	v_cndmask_b32_e64 v42, 0, -1, vcc_lo
	v_cmp_eq_u32_e32 vcc_lo, s67, v36
	s_delay_alu instid0(VALU_DEP_2) | instskip(SKIP_3) | instid1(VALU_DEP_3)
	v_cndmask_b32_e64 v15, v42, v15, s0
	v_cndmask_b32_e32 v36, v41, v40, vcc_lo
	v_add_co_u32 v40, vcc_lo, v2, 1
	v_add_co_ci_u32_e32 v41, vcc_lo, 0, v33, vcc_lo
	v_cmp_ne_u32_e32 vcc_lo, 0, v36
	s_delay_alu instid0(VALU_DEP_2) | instskip(NEXT) | instid1(VALU_DEP_4)
	v_cndmask_b32_e32 v16, v41, v39, vcc_lo
	v_cndmask_b32_e32 v36, v40, v38, vcc_lo
	v_cmp_ne_u32_e32 vcc_lo, 0, v15
	v_xor_b32_e32 v38, s64, v19
	s_delay_alu instid0(VALU_DEP_3) | instskip(SKIP_1) | instid1(VALU_DEP_2)
	v_cndmask_b32_e32 v2, v2, v36, vcc_lo
	v_cndmask_b32_e32 v15, v33, v16, vcc_lo
	v_xor_b32_e32 v2, v2, v38
	s_delay_alu instid0(VALU_DEP_2) | instskip(NEXT) | instid1(VALU_DEP_2)
	v_xor_b32_e32 v16, v15, v38
	v_sub_co_u32 v15, vcc_lo, v2, v38
	s_delay_alu instid0(VALU_DEP_2)
	v_sub_co_ci_u32_e32 v16, vcc_lo, v16, v38, vcc_lo
.LBB15_29:                              ;   in Loop: Header=BB15_3 Depth=1
	s_and_not1_saveexec_b32 s0, s80
	s_cbranch_execz .LBB15_31
; %bb.30:                               ;   in Loop: Header=BB15_3 Depth=1
	v_rcp_iflag_f32_e32 v2, v37
	s_sub_i32 s64, 0, s40
	s_waitcnt_depctr 0xfff
	v_mul_f32_e32 v2, 0x4f7ffffe, v2
	s_delay_alu instid0(VALU_DEP_1) | instskip(NEXT) | instid1(VALU_DEP_1)
	v_cvt_u32_f32_e32 v2, v2
	v_mul_lo_u32 v15, s64, v2
	s_delay_alu instid0(VALU_DEP_1) | instskip(NEXT) | instid1(VALU_DEP_1)
	v_mul_hi_u32 v15, v2, v15
	v_add_nc_u32_e32 v2, v2, v15
	s_delay_alu instid0(VALU_DEP_1) | instskip(NEXT) | instid1(VALU_DEP_1)
	v_mul_hi_u32 v2, v21, v2
	v_mul_lo_u32 v15, v2, s40
	v_add_nc_u32_e32 v16, 1, v2
	s_delay_alu instid0(VALU_DEP_2) | instskip(NEXT) | instid1(VALU_DEP_1)
	v_sub_nc_u32_e32 v15, v21, v15
	v_subrev_nc_u32_e32 v33, s40, v15
	v_cmp_le_u32_e32 vcc_lo, s40, v15
	s_delay_alu instid0(VALU_DEP_2) | instskip(NEXT) | instid1(VALU_DEP_1)
	v_dual_cndmask_b32 v15, v15, v33 :: v_dual_cndmask_b32 v2, v2, v16
	v_cmp_le_u32_e32 vcc_lo, s40, v15
	s_delay_alu instid0(VALU_DEP_2) | instskip(NEXT) | instid1(VALU_DEP_1)
	v_add_nc_u32_e32 v16, 1, v2
	v_dual_cndmask_b32 v15, v2, v16 :: v_dual_mov_b32 v16, v1
.LBB15_31:                              ;   in Loop: Header=BB15_3 Depth=1
	s_or_b32 exec_lo, exec_lo, s0
	s_delay_alu instid0(VALU_DEP_1) | instskip(NEXT) | instid1(VALU_DEP_2)
	v_mul_lo_u32 v2, v16, s40
	v_mul_lo_u32 v33, v15, s41
	v_mad_u64_u32 v[38:39], null, v15, s40, 0
	v_mul_lo_u32 v36, v15, s13
	s_mov_b32 s0, exec_lo
	s_delay_alu instid0(VALU_DEP_2) | instskip(SKIP_1) | instid1(VALU_DEP_4)
	v_add3_u32 v2, v39, v33, v2
	v_mul_lo_u32 v33, v16, s12
	v_sub_co_u32 v16, vcc_lo, v7, v38
	v_mad_u64_u32 v[38:39], null, v15, s12, 0
	s_delay_alu instid0(VALU_DEP_4) | instskip(NEXT) | instid1(VALU_DEP_3)
	v_sub_co_ci_u32_e32 v2, vcc_lo, v8, v2, vcc_lo
	v_add_co_u32 v40, vcc_lo, v3, v16
	s_delay_alu instid0(VALU_DEP_2) | instskip(NEXT) | instid1(VALU_DEP_2)
	v_add_co_ci_u32_e32 v2, vcc_lo, v4, v2, vcc_lo
	v_mul_lo_u32 v41, v40, s15
	v_mad_u64_u32 v[15:16], null, v40, s14, 0
	s_delay_alu instid0(VALU_DEP_3) | instskip(SKIP_1) | instid1(VALU_DEP_1)
	v_mul_lo_u32 v2, v2, s14
	v_add3_u32 v39, v39, v36, v33
	v_lshlrev_b64 v[38:39], 1, v[38:39]
	s_delay_alu instid0(VALU_DEP_3) | instskip(NEXT) | instid1(VALU_DEP_2)
	v_add3_u32 v16, v16, v41, v2
	v_add_co_u32 v2, vcc_lo, s36, v38
	s_delay_alu instid0(VALU_DEP_2) | instskip(NEXT) | instid1(VALU_DEP_4)
	v_lshlrev_b64 v[15:16], 1, v[15:16]
	v_add_co_ci_u32_e32 v33, vcc_lo, s37, v39, vcc_lo
	s_delay_alu instid0(VALU_DEP_2) | instskip(NEXT) | instid1(VALU_DEP_2)
	v_add_co_u32 v15, vcc_lo, v2, v15
	v_add_co_ci_u32_e32 v16, vcc_lo, v33, v16, vcc_lo
	v_or_b32_e32 v2, s41, v26
	global_load_u16 v33, v[15:16], off
                                        ; implicit-def: $vgpr15_vgpr16
	v_cmpx_ne_u64_e32 0, v[1:2]
	s_xor_b32 s80, exec_lo, s0
	s_cbranch_execz .LBB15_33
; %bb.32:                               ;   in Loop: Header=BB15_3 Depth=1
	s_ashr_i32 s64, s41, 31
	s_delay_alu instid0(SALU_CYCLE_1) | instskip(SKIP_2) | instid1(SALU_CYCLE_1)
	s_add_u32 s66, s40, s64
	s_mov_b32 s65, s64
	s_addc_u32 s67, s41, s64
	s_xor_b64 s[66:67], s[66:67], s[64:65]
	s_delay_alu instid0(SALU_CYCLE_1) | instskip(SKIP_3) | instid1(VALU_DEP_1)
	v_cvt_f32_u32_e32 v2, s66
	v_cvt_f32_u32_e32 v15, s67
	s_sub_u32 s0, 0, s66
	s_subb_u32 s65, 0, s67
	v_fmac_f32_e32 v2, 0x4f800000, v15
	s_delay_alu instid0(VALU_DEP_1) | instskip(SKIP_2) | instid1(VALU_DEP_1)
	v_rcp_f32_e32 v2, v2
	s_waitcnt_depctr 0xfff
	v_mul_f32_e32 v2, 0x5f7ffffc, v2
	v_mul_f32_e32 v15, 0x2f800000, v2
	s_delay_alu instid0(VALU_DEP_1) | instskip(NEXT) | instid1(VALU_DEP_1)
	v_trunc_f32_e32 v15, v15
	v_fmac_f32_e32 v2, 0xcf800000, v15
	v_cvt_u32_f32_e32 v15, v15
	s_delay_alu instid0(VALU_DEP_2) | instskip(NEXT) | instid1(VALU_DEP_2)
	v_cvt_u32_f32_e32 v2, v2
	v_mul_lo_u32 v16, s0, v15
	s_delay_alu instid0(VALU_DEP_2) | instskip(SKIP_1) | instid1(VALU_DEP_2)
	v_mul_hi_u32 v36, s0, v2
	v_mul_lo_u32 v38, s65, v2
	v_add_nc_u32_e32 v16, v36, v16
	v_mul_lo_u32 v36, s0, v2
	s_delay_alu instid0(VALU_DEP_2) | instskip(NEXT) | instid1(VALU_DEP_2)
	v_add_nc_u32_e32 v16, v16, v38
	v_mul_hi_u32 v38, v2, v36
	s_delay_alu instid0(VALU_DEP_2)
	v_mul_lo_u32 v39, v2, v16
	v_mul_hi_u32 v40, v2, v16
	v_mul_hi_u32 v41, v15, v36
	v_mul_lo_u32 v36, v15, v36
	v_mul_hi_u32 v42, v15, v16
	v_mul_lo_u32 v16, v15, v16
	v_add_co_u32 v38, vcc_lo, v38, v39
	v_add_co_ci_u32_e32 v39, vcc_lo, 0, v40, vcc_lo
	s_delay_alu instid0(VALU_DEP_2) | instskip(NEXT) | instid1(VALU_DEP_2)
	v_add_co_u32 v36, vcc_lo, v38, v36
	v_add_co_ci_u32_e32 v36, vcc_lo, v39, v41, vcc_lo
	v_add_co_ci_u32_e32 v38, vcc_lo, 0, v42, vcc_lo
	s_delay_alu instid0(VALU_DEP_2) | instskip(NEXT) | instid1(VALU_DEP_2)
	v_add_co_u32 v16, vcc_lo, v36, v16
	v_add_co_ci_u32_e32 v36, vcc_lo, 0, v38, vcc_lo
	s_delay_alu instid0(VALU_DEP_2) | instskip(NEXT) | instid1(VALU_DEP_2)
	v_add_co_u32 v2, vcc_lo, v2, v16
	v_add_co_ci_u32_e32 v15, vcc_lo, v15, v36, vcc_lo
	s_delay_alu instid0(VALU_DEP_2) | instskip(SKIP_1) | instid1(VALU_DEP_3)
	v_mul_hi_u32 v16, s0, v2
	v_mul_lo_u32 v38, s65, v2
	v_mul_lo_u32 v36, s0, v15
	s_delay_alu instid0(VALU_DEP_1) | instskip(SKIP_1) | instid1(VALU_DEP_2)
	v_add_nc_u32_e32 v16, v16, v36
	v_mul_lo_u32 v36, s0, v2
	v_add_nc_u32_e32 v16, v16, v38
	s_delay_alu instid0(VALU_DEP_2) | instskip(NEXT) | instid1(VALU_DEP_2)
	v_mul_hi_u32 v38, v2, v36
	v_mul_lo_u32 v39, v2, v16
	v_mul_hi_u32 v40, v2, v16
	v_mul_hi_u32 v41, v15, v36
	v_mul_lo_u32 v36, v15, v36
	v_mul_hi_u32 v42, v15, v16
	v_mul_lo_u32 v16, v15, v16
	v_add_co_u32 v38, vcc_lo, v38, v39
	v_add_co_ci_u32_e32 v39, vcc_lo, 0, v40, vcc_lo
	s_delay_alu instid0(VALU_DEP_2) | instskip(NEXT) | instid1(VALU_DEP_2)
	v_add_co_u32 v36, vcc_lo, v38, v36
	v_add_co_ci_u32_e32 v36, vcc_lo, v39, v41, vcc_lo
	v_add_co_ci_u32_e32 v38, vcc_lo, 0, v42, vcc_lo
	v_add_co_u32 v39, vcc_lo, v25, v22
	v_add_co_ci_u32_e32 v40, vcc_lo, v26, v22, vcc_lo
	s_delay_alu instid0(VALU_DEP_4) | instskip(NEXT) | instid1(VALU_DEP_4)
	v_add_co_u32 v16, vcc_lo, v36, v16
	v_add_co_ci_u32_e32 v36, vcc_lo, 0, v38, vcc_lo
	s_delay_alu instid0(VALU_DEP_4) | instskip(NEXT) | instid1(VALU_DEP_3)
	v_xor_b32_e32 v42, v39, v22
	v_add_co_u32 v2, vcc_lo, v2, v16
	s_delay_alu instid0(VALU_DEP_3) | instskip(SKIP_1) | instid1(VALU_DEP_3)
	v_add_co_ci_u32_e32 v36, vcc_lo, v15, v36, vcc_lo
	v_xor_b32_e32 v43, v40, v22
	v_mul_hi_u32 v44, v42, v2
	s_delay_alu instid0(VALU_DEP_3) | instskip(NEXT) | instid1(VALU_DEP_3)
	v_mad_u64_u32 v[15:16], null, v42, v36, 0
	v_mad_u64_u32 v[38:39], null, v43, v2, 0
	;; [unrolled: 1-line block ×3, first 2 shown]
	s_delay_alu instid0(VALU_DEP_3) | instskip(NEXT) | instid1(VALU_DEP_4)
	v_add_co_u32 v2, vcc_lo, v44, v15
	v_add_co_ci_u32_e32 v15, vcc_lo, 0, v16, vcc_lo
	s_delay_alu instid0(VALU_DEP_2) | instskip(NEXT) | instid1(VALU_DEP_2)
	v_add_co_u32 v2, vcc_lo, v2, v38
	v_add_co_ci_u32_e32 v2, vcc_lo, v15, v39, vcc_lo
	v_add_co_ci_u32_e32 v15, vcc_lo, 0, v41, vcc_lo
	s_delay_alu instid0(VALU_DEP_2) | instskip(NEXT) | instid1(VALU_DEP_2)
	v_add_co_u32 v2, vcc_lo, v2, v40
	v_add_co_ci_u32_e32 v36, vcc_lo, 0, v15, vcc_lo
	s_delay_alu instid0(VALU_DEP_2) | instskip(SKIP_1) | instid1(VALU_DEP_3)
	v_mul_lo_u32 v38, s67, v2
	v_mad_u64_u32 v[15:16], null, s66, v2, 0
	v_mul_lo_u32 v39, s66, v36
	s_delay_alu instid0(VALU_DEP_2) | instskip(NEXT) | instid1(VALU_DEP_2)
	v_sub_co_u32 v15, vcc_lo, v42, v15
	v_add3_u32 v16, v16, v39, v38
	s_delay_alu instid0(VALU_DEP_1) | instskip(NEXT) | instid1(VALU_DEP_1)
	v_sub_nc_u32_e32 v38, v43, v16
	v_subrev_co_ci_u32_e64 v38, s0, s67, v38, vcc_lo
	v_add_co_u32 v39, s0, v2, 2
	s_delay_alu instid0(VALU_DEP_1) | instskip(SKIP_3) | instid1(VALU_DEP_3)
	v_add_co_ci_u32_e64 v40, s0, 0, v36, s0
	v_sub_co_u32 v41, s0, v15, s66
	v_sub_co_ci_u32_e32 v16, vcc_lo, v43, v16, vcc_lo
	v_subrev_co_ci_u32_e64 v38, s0, 0, v38, s0
	v_cmp_le_u32_e32 vcc_lo, s66, v41
	s_delay_alu instid0(VALU_DEP_3) | instskip(SKIP_1) | instid1(VALU_DEP_4)
	v_cmp_eq_u32_e64 s0, s67, v16
	v_cndmask_b32_e64 v41, 0, -1, vcc_lo
	v_cmp_le_u32_e32 vcc_lo, s67, v38
	v_cndmask_b32_e64 v42, 0, -1, vcc_lo
	v_cmp_le_u32_e32 vcc_lo, s66, v15
	;; [unrolled: 2-line block ×3, first 2 shown]
	v_cndmask_b32_e64 v43, 0, -1, vcc_lo
	v_cmp_eq_u32_e32 vcc_lo, s67, v38
	s_delay_alu instid0(VALU_DEP_2) | instskip(SKIP_3) | instid1(VALU_DEP_3)
	v_cndmask_b32_e64 v15, v43, v15, s0
	v_cndmask_b32_e32 v38, v42, v41, vcc_lo
	v_add_co_u32 v41, vcc_lo, v2, 1
	v_add_co_ci_u32_e32 v42, vcc_lo, 0, v36, vcc_lo
	v_cmp_ne_u32_e32 vcc_lo, 0, v38
	s_delay_alu instid0(VALU_DEP_2) | instskip(NEXT) | instid1(VALU_DEP_4)
	v_cndmask_b32_e32 v16, v42, v40, vcc_lo
	v_cndmask_b32_e32 v38, v41, v39, vcc_lo
	v_cmp_ne_u32_e32 vcc_lo, 0, v15
	v_xor_b32_e32 v39, s64, v22
	s_delay_alu instid0(VALU_DEP_3) | instskip(NEXT) | instid1(VALU_DEP_1)
	v_dual_cndmask_b32 v2, v2, v38 :: v_dual_cndmask_b32 v15, v36, v16
	v_xor_b32_e32 v2, v2, v39
	s_delay_alu instid0(VALU_DEP_2) | instskip(NEXT) | instid1(VALU_DEP_2)
	v_xor_b32_e32 v16, v15, v39
	v_sub_co_u32 v15, vcc_lo, v2, v39
	s_delay_alu instid0(VALU_DEP_2)
	v_sub_co_ci_u32_e32 v16, vcc_lo, v16, v39, vcc_lo
.LBB15_33:                              ;   in Loop: Header=BB15_3 Depth=1
	s_and_not1_saveexec_b32 s0, s80
	s_cbranch_execz .LBB15_35
; %bb.34:                               ;   in Loop: Header=BB15_3 Depth=1
	v_rcp_iflag_f32_e32 v2, v37
	s_sub_i32 s64, 0, s40
	s_waitcnt_depctr 0xfff
	v_mul_f32_e32 v2, 0x4f7ffffe, v2
	s_delay_alu instid0(VALU_DEP_1) | instskip(NEXT) | instid1(VALU_DEP_1)
	v_cvt_u32_f32_e32 v2, v2
	v_mul_lo_u32 v15, s64, v2
	s_delay_alu instid0(VALU_DEP_1) | instskip(NEXT) | instid1(VALU_DEP_1)
	v_mul_hi_u32 v15, v2, v15
	v_add_nc_u32_e32 v2, v2, v15
	s_delay_alu instid0(VALU_DEP_1) | instskip(NEXT) | instid1(VALU_DEP_1)
	v_mul_hi_u32 v2, v25, v2
	v_mul_lo_u32 v15, v2, s40
	v_add_nc_u32_e32 v16, 1, v2
	s_delay_alu instid0(VALU_DEP_2) | instskip(NEXT) | instid1(VALU_DEP_1)
	v_sub_nc_u32_e32 v15, v25, v15
	v_subrev_nc_u32_e32 v36, s40, v15
	v_cmp_le_u32_e32 vcc_lo, s40, v15
	s_delay_alu instid0(VALU_DEP_2) | instskip(SKIP_1) | instid1(VALU_DEP_2)
	v_cndmask_b32_e32 v15, v15, v36, vcc_lo
	v_cndmask_b32_e32 v2, v2, v16, vcc_lo
	v_cmp_le_u32_e32 vcc_lo, s40, v15
	s_delay_alu instid0(VALU_DEP_2) | instskip(NEXT) | instid1(VALU_DEP_1)
	v_add_nc_u32_e32 v16, 1, v2
	v_dual_cndmask_b32 v15, v2, v16 :: v_dual_mov_b32 v16, v1
.LBB15_35:                              ;   in Loop: Header=BB15_3 Depth=1
	s_or_b32 exec_lo, exec_lo, s0
	s_delay_alu instid0(VALU_DEP_1) | instskip(NEXT) | instid1(VALU_DEP_2)
	v_mul_lo_u32 v2, v16, s40
	v_mul_lo_u32 v36, v15, s41
	v_mad_u64_u32 v[38:39], null, v15, s40, 0
	v_mul_lo_u32 v40, v15, s13
	s_mov_b32 s0, exec_lo
	s_delay_alu instid0(VALU_DEP_2) | instskip(SKIP_1) | instid1(VALU_DEP_4)
	v_add3_u32 v2, v39, v36, v2
	v_mul_lo_u32 v36, v16, s12
	v_sub_co_u32 v16, vcc_lo, v11, v38
	v_mad_u64_u32 v[38:39], null, v15, s12, 0
	s_delay_alu instid0(VALU_DEP_4) | instskip(NEXT) | instid1(VALU_DEP_3)
	v_sub_co_ci_u32_e32 v2, vcc_lo, v12, v2, vcc_lo
	v_add_co_u32 v41, vcc_lo, v3, v16
	s_delay_alu instid0(VALU_DEP_2) | instskip(NEXT) | instid1(VALU_DEP_2)
	v_add_co_ci_u32_e32 v2, vcc_lo, v4, v2, vcc_lo
	v_mul_lo_u32 v42, v41, s15
	v_mad_u64_u32 v[15:16], null, v41, s14, 0
	s_delay_alu instid0(VALU_DEP_3) | instskip(SKIP_1) | instid1(VALU_DEP_1)
	v_mul_lo_u32 v2, v2, s14
	v_add3_u32 v39, v39, v40, v36
	v_lshlrev_b64 v[38:39], 1, v[38:39]
	s_delay_alu instid0(VALU_DEP_3) | instskip(NEXT) | instid1(VALU_DEP_2)
	v_add3_u32 v16, v16, v42, v2
	v_add_co_u32 v2, vcc_lo, s36, v38
	s_delay_alu instid0(VALU_DEP_2) | instskip(NEXT) | instid1(VALU_DEP_4)
	v_lshlrev_b64 v[15:16], 1, v[15:16]
	v_add_co_ci_u32_e32 v36, vcc_lo, s37, v39, vcc_lo
	s_delay_alu instid0(VALU_DEP_2) | instskip(NEXT) | instid1(VALU_DEP_2)
	v_add_co_u32 v15, vcc_lo, v2, v15
	v_add_co_ci_u32_e32 v16, vcc_lo, v36, v16, vcc_lo
	v_or_b32_e32 v2, s41, v35
	global_load_u16 v36, v[15:16], off
                                        ; implicit-def: $vgpr15_vgpr16
	v_cmpx_ne_u64_e32 0, v[1:2]
	s_xor_b32 s80, exec_lo, s0
	s_cbranch_execz .LBB15_37
; %bb.36:                               ;   in Loop: Header=BB15_3 Depth=1
	s_ashr_i32 s64, s41, 31
	s_delay_alu instid0(SALU_CYCLE_1) | instskip(SKIP_2) | instid1(SALU_CYCLE_1)
	s_add_u32 s66, s40, s64
	s_mov_b32 s65, s64
	s_addc_u32 s67, s41, s64
	s_xor_b64 s[66:67], s[66:67], s[64:65]
	s_delay_alu instid0(SALU_CYCLE_1) | instskip(SKIP_3) | instid1(VALU_DEP_1)
	v_cvt_f32_u32_e32 v2, s66
	v_cvt_f32_u32_e32 v15, s67
	s_sub_u32 s0, 0, s66
	s_subb_u32 s65, 0, s67
	v_fmac_f32_e32 v2, 0x4f800000, v15
	s_delay_alu instid0(VALU_DEP_1) | instskip(SKIP_2) | instid1(VALU_DEP_1)
	v_rcp_f32_e32 v2, v2
	s_waitcnt_depctr 0xfff
	v_mul_f32_e32 v2, 0x5f7ffffc, v2
	v_mul_f32_e32 v15, 0x2f800000, v2
	s_delay_alu instid0(VALU_DEP_1) | instskip(NEXT) | instid1(VALU_DEP_1)
	v_trunc_f32_e32 v15, v15
	v_fmac_f32_e32 v2, 0xcf800000, v15
	v_cvt_u32_f32_e32 v15, v15
	s_delay_alu instid0(VALU_DEP_2) | instskip(NEXT) | instid1(VALU_DEP_2)
	v_cvt_u32_f32_e32 v2, v2
	v_mul_lo_u32 v16, s0, v15
	s_delay_alu instid0(VALU_DEP_2) | instskip(SKIP_1) | instid1(VALU_DEP_2)
	v_mul_hi_u32 v37, s0, v2
	v_mul_lo_u32 v38, s65, v2
	v_add_nc_u32_e32 v16, v37, v16
	v_mul_lo_u32 v37, s0, v2
	s_delay_alu instid0(VALU_DEP_2) | instskip(NEXT) | instid1(VALU_DEP_2)
	v_add_nc_u32_e32 v16, v16, v38
	v_mul_hi_u32 v38, v2, v37
	s_delay_alu instid0(VALU_DEP_2)
	v_mul_lo_u32 v39, v2, v16
	v_mul_hi_u32 v40, v2, v16
	v_mul_hi_u32 v41, v15, v37
	v_mul_lo_u32 v37, v15, v37
	v_mul_hi_u32 v42, v15, v16
	v_mul_lo_u32 v16, v15, v16
	v_add_co_u32 v38, vcc_lo, v38, v39
	v_add_co_ci_u32_e32 v39, vcc_lo, 0, v40, vcc_lo
	s_delay_alu instid0(VALU_DEP_2) | instskip(NEXT) | instid1(VALU_DEP_2)
	v_add_co_u32 v37, vcc_lo, v38, v37
	v_add_co_ci_u32_e32 v37, vcc_lo, v39, v41, vcc_lo
	v_add_co_ci_u32_e32 v38, vcc_lo, 0, v42, vcc_lo
	s_delay_alu instid0(VALU_DEP_2) | instskip(NEXT) | instid1(VALU_DEP_2)
	v_add_co_u32 v16, vcc_lo, v37, v16
	v_add_co_ci_u32_e32 v37, vcc_lo, 0, v38, vcc_lo
	s_delay_alu instid0(VALU_DEP_2) | instskip(NEXT) | instid1(VALU_DEP_2)
	v_add_co_u32 v2, vcc_lo, v2, v16
	v_add_co_ci_u32_e32 v15, vcc_lo, v15, v37, vcc_lo
	s_delay_alu instid0(VALU_DEP_2) | instskip(SKIP_1) | instid1(VALU_DEP_3)
	v_mul_hi_u32 v16, s0, v2
	v_mul_lo_u32 v38, s65, v2
	v_mul_lo_u32 v37, s0, v15
	s_delay_alu instid0(VALU_DEP_1) | instskip(SKIP_1) | instid1(VALU_DEP_2)
	v_add_nc_u32_e32 v16, v16, v37
	v_mul_lo_u32 v37, s0, v2
	v_add_nc_u32_e32 v16, v16, v38
	s_delay_alu instid0(VALU_DEP_2) | instskip(NEXT) | instid1(VALU_DEP_2)
	v_mul_hi_u32 v38, v2, v37
	v_mul_lo_u32 v39, v2, v16
	v_mul_hi_u32 v40, v2, v16
	v_mul_hi_u32 v41, v15, v37
	v_mul_lo_u32 v37, v15, v37
	v_mul_hi_u32 v42, v15, v16
	v_mul_lo_u32 v16, v15, v16
	v_add_co_u32 v38, vcc_lo, v38, v39
	v_add_co_ci_u32_e32 v39, vcc_lo, 0, v40, vcc_lo
	s_delay_alu instid0(VALU_DEP_2) | instskip(NEXT) | instid1(VALU_DEP_2)
	v_add_co_u32 v37, vcc_lo, v38, v37
	v_add_co_ci_u32_e32 v37, vcc_lo, v39, v41, vcc_lo
	v_add_co_ci_u32_e32 v38, vcc_lo, 0, v42, vcc_lo
	v_add_co_u32 v39, vcc_lo, v34, v24
	v_add_co_ci_u32_e32 v40, vcc_lo, v35, v24, vcc_lo
	s_delay_alu instid0(VALU_DEP_4) | instskip(NEXT) | instid1(VALU_DEP_4)
	v_add_co_u32 v16, vcc_lo, v37, v16
	v_add_co_ci_u32_e32 v37, vcc_lo, 0, v38, vcc_lo
	s_delay_alu instid0(VALU_DEP_4) | instskip(NEXT) | instid1(VALU_DEP_3)
	v_xor_b32_e32 v41, v39, v24
	v_add_co_u32 v2, vcc_lo, v2, v16
	s_delay_alu instid0(VALU_DEP_3) | instskip(SKIP_1) | instid1(VALU_DEP_3)
	v_add_co_ci_u32_e32 v42, vcc_lo, v15, v37, vcc_lo
	v_xor_b32_e32 v43, v40, v24
	v_mul_hi_u32 v44, v41, v2
	s_delay_alu instid0(VALU_DEP_3) | instskip(NEXT) | instid1(VALU_DEP_3)
	v_mad_u64_u32 v[15:16], null, v41, v42, 0
	v_mad_u64_u32 v[37:38], null, v43, v2, 0
	v_mad_u64_u32 v[39:40], null, v43, v42, 0
	s_delay_alu instid0(VALU_DEP_3) | instskip(NEXT) | instid1(VALU_DEP_4)
	v_add_co_u32 v2, vcc_lo, v44, v15
	v_add_co_ci_u32_e32 v15, vcc_lo, 0, v16, vcc_lo
	s_delay_alu instid0(VALU_DEP_2) | instskip(NEXT) | instid1(VALU_DEP_2)
	v_add_co_u32 v2, vcc_lo, v2, v37
	v_add_co_ci_u32_e32 v2, vcc_lo, v15, v38, vcc_lo
	v_add_co_ci_u32_e32 v15, vcc_lo, 0, v40, vcc_lo
	s_delay_alu instid0(VALU_DEP_2) | instskip(NEXT) | instid1(VALU_DEP_2)
	v_add_co_u32 v2, vcc_lo, v2, v39
	v_add_co_ci_u32_e32 v37, vcc_lo, 0, v15, vcc_lo
	s_delay_alu instid0(VALU_DEP_2) | instskip(SKIP_1) | instid1(VALU_DEP_3)
	v_mul_lo_u32 v38, s67, v2
	v_mad_u64_u32 v[15:16], null, s66, v2, 0
	v_mul_lo_u32 v39, s66, v37
	s_delay_alu instid0(VALU_DEP_2) | instskip(NEXT) | instid1(VALU_DEP_2)
	v_sub_co_u32 v15, vcc_lo, v41, v15
	v_add3_u32 v16, v16, v39, v38
	s_delay_alu instid0(VALU_DEP_1) | instskip(NEXT) | instid1(VALU_DEP_1)
	v_sub_nc_u32_e32 v38, v43, v16
	v_subrev_co_ci_u32_e64 v38, s0, s67, v38, vcc_lo
	v_add_co_u32 v39, s0, v2, 2
	s_delay_alu instid0(VALU_DEP_1) | instskip(SKIP_3) | instid1(VALU_DEP_3)
	v_add_co_ci_u32_e64 v40, s0, 0, v37, s0
	v_sub_co_u32 v41, s0, v15, s66
	v_sub_co_ci_u32_e32 v16, vcc_lo, v43, v16, vcc_lo
	v_subrev_co_ci_u32_e64 v38, s0, 0, v38, s0
	v_cmp_le_u32_e32 vcc_lo, s66, v41
	s_delay_alu instid0(VALU_DEP_3) | instskip(SKIP_1) | instid1(VALU_DEP_4)
	v_cmp_eq_u32_e64 s0, s67, v16
	v_cndmask_b32_e64 v41, 0, -1, vcc_lo
	v_cmp_le_u32_e32 vcc_lo, s67, v38
	v_cndmask_b32_e64 v42, 0, -1, vcc_lo
	v_cmp_le_u32_e32 vcc_lo, s66, v15
	;; [unrolled: 2-line block ×3, first 2 shown]
	v_cndmask_b32_e64 v43, 0, -1, vcc_lo
	v_cmp_eq_u32_e32 vcc_lo, s67, v38
	s_delay_alu instid0(VALU_DEP_2) | instskip(SKIP_3) | instid1(VALU_DEP_3)
	v_cndmask_b32_e64 v15, v43, v15, s0
	v_cndmask_b32_e32 v38, v42, v41, vcc_lo
	v_add_co_u32 v41, vcc_lo, v2, 1
	v_add_co_ci_u32_e32 v42, vcc_lo, 0, v37, vcc_lo
	v_cmp_ne_u32_e32 vcc_lo, 0, v38
	s_delay_alu instid0(VALU_DEP_2) | instskip(NEXT) | instid1(VALU_DEP_4)
	v_cndmask_b32_e32 v16, v42, v40, vcc_lo
	v_cndmask_b32_e32 v38, v41, v39, vcc_lo
	v_cmp_ne_u32_e32 vcc_lo, 0, v15
	v_xor_b32_e32 v39, s64, v24
	s_delay_alu instid0(VALU_DEP_3) | instskip(NEXT) | instid1(VALU_DEP_1)
	v_dual_cndmask_b32 v2, v2, v38 :: v_dual_cndmask_b32 v15, v37, v16
                                        ; implicit-def: $vgpr37
	v_xor_b32_e32 v2, v2, v39
	s_delay_alu instid0(VALU_DEP_2) | instskip(NEXT) | instid1(VALU_DEP_2)
	v_xor_b32_e32 v16, v15, v39
	v_sub_co_u32 v15, vcc_lo, v2, v39
	s_delay_alu instid0(VALU_DEP_2)
	v_sub_co_ci_u32_e32 v16, vcc_lo, v16, v39, vcc_lo
.LBB15_37:                              ;   in Loop: Header=BB15_3 Depth=1
	s_and_not1_saveexec_b32 s0, s80
	s_cbranch_execz .LBB15_39
; %bb.38:                               ;   in Loop: Header=BB15_3 Depth=1
	v_rcp_iflag_f32_e32 v2, v37
	s_sub_i32 s64, 0, s40
	s_waitcnt_depctr 0xfff
	v_mul_f32_e32 v2, 0x4f7ffffe, v2
	s_delay_alu instid0(VALU_DEP_1) | instskip(NEXT) | instid1(VALU_DEP_1)
	v_cvt_u32_f32_e32 v2, v2
	v_mul_lo_u32 v15, s64, v2
	s_delay_alu instid0(VALU_DEP_1) | instskip(NEXT) | instid1(VALU_DEP_1)
	v_mul_hi_u32 v15, v2, v15
	v_add_nc_u32_e32 v2, v2, v15
	s_delay_alu instid0(VALU_DEP_1) | instskip(NEXT) | instid1(VALU_DEP_1)
	v_mul_hi_u32 v2, v34, v2
	v_mul_lo_u32 v15, v2, s40
	v_add_nc_u32_e32 v16, 1, v2
	s_delay_alu instid0(VALU_DEP_2) | instskip(NEXT) | instid1(VALU_DEP_1)
	v_sub_nc_u32_e32 v15, v34, v15
	v_subrev_nc_u32_e32 v37, s40, v15
	v_cmp_le_u32_e32 vcc_lo, s40, v15
	s_delay_alu instid0(VALU_DEP_2) | instskip(NEXT) | instid1(VALU_DEP_1)
	v_dual_cndmask_b32 v15, v15, v37 :: v_dual_cndmask_b32 v2, v2, v16
	v_cmp_le_u32_e32 vcc_lo, s40, v15
	s_delay_alu instid0(VALU_DEP_2) | instskip(NEXT) | instid1(VALU_DEP_1)
	v_add_nc_u32_e32 v16, 1, v2
	v_dual_cndmask_b32 v15, v2, v16 :: v_dual_mov_b32 v16, v1
.LBB15_39:                              ;   in Loop: Header=BB15_3 Depth=1
	s_or_b32 exec_lo, exec_lo, s0
	s_delay_alu instid0(VALU_DEP_1) | instskip(NEXT) | instid1(VALU_DEP_2)
	v_mul_lo_u32 v2, v16, s40
	v_mul_lo_u32 v39, v15, s41
	v_mad_u64_u32 v[37:38], null, v15, s40, 0
	v_mul_lo_u32 v40, v15, s13
	s_mov_b32 s0, exec_lo
	s_delay_alu instid0(VALU_DEP_2) | instskip(SKIP_1) | instid1(VALU_DEP_4)
	v_add3_u32 v2, v38, v39, v2
	v_mul_lo_u32 v39, v16, s12
	v_sub_co_u32 v16, vcc_lo, v13, v37
	v_mad_u64_u32 v[37:38], null, v15, s12, 0
	s_delay_alu instid0(VALU_DEP_4) | instskip(NEXT) | instid1(VALU_DEP_3)
	v_sub_co_ci_u32_e32 v2, vcc_lo, v14, v2, vcc_lo
	v_add_co_u32 v41, vcc_lo, v3, v16
	s_delay_alu instid0(VALU_DEP_2) | instskip(NEXT) | instid1(VALU_DEP_2)
	v_add_co_ci_u32_e32 v2, vcc_lo, v4, v2, vcc_lo
	v_mul_lo_u32 v42, v41, s15
	v_mad_u64_u32 v[15:16], null, v41, s14, 0
	s_delay_alu instid0(VALU_DEP_3) | instskip(SKIP_1) | instid1(VALU_DEP_1)
	v_mul_lo_u32 v2, v2, s14
	v_add3_u32 v38, v38, v40, v39
	v_lshlrev_b64 v[37:38], 1, v[37:38]
	s_delay_alu instid0(VALU_DEP_3) | instskip(NEXT) | instid1(VALU_DEP_2)
	v_add3_u32 v16, v16, v42, v2
	v_add_co_u32 v2, vcc_lo, s36, v37
	s_delay_alu instid0(VALU_DEP_2) | instskip(NEXT) | instid1(VALU_DEP_4)
	v_lshlrev_b64 v[15:16], 1, v[15:16]
	v_add_co_ci_u32_e32 v37, vcc_lo, s37, v38, vcc_lo
	s_delay_alu instid0(VALU_DEP_2) | instskip(NEXT) | instid1(VALU_DEP_2)
	v_add_co_u32 v15, vcc_lo, v2, v15
	v_add_co_ci_u32_e32 v16, vcc_lo, v37, v16, vcc_lo
	v_or_b32_e32 v2, s63, v20
	global_load_u16 v37, v[15:16], off
                                        ; implicit-def: $vgpr15_vgpr16
	v_cmpx_ne_u64_e32 0, v[1:2]
	s_xor_b32 s80, exec_lo, s0
	s_cbranch_execz .LBB15_41
; %bb.40:                               ;   in Loop: Header=BB15_3 Depth=1
	s_ashr_i32 s64, s63, 31
	s_delay_alu instid0(SALU_CYCLE_1) | instskip(SKIP_2) | instid1(SALU_CYCLE_1)
	s_add_u32 s66, s62, s64
	s_mov_b32 s65, s64
	s_addc_u32 s67, s63, s64
	s_xor_b64 s[66:67], s[66:67], s[64:65]
	s_delay_alu instid0(SALU_CYCLE_1) | instskip(SKIP_3) | instid1(VALU_DEP_1)
	v_cvt_f32_u32_e32 v2, s66
	v_cvt_f32_u32_e32 v15, s67
	s_sub_u32 s0, 0, s66
	s_subb_u32 s65, 0, s67
	v_fmac_f32_e32 v2, 0x4f800000, v15
	s_delay_alu instid0(VALU_DEP_1) | instskip(SKIP_2) | instid1(VALU_DEP_1)
	v_rcp_f32_e32 v2, v2
	s_waitcnt_depctr 0xfff
	v_mul_f32_e32 v2, 0x5f7ffffc, v2
	v_mul_f32_e32 v15, 0x2f800000, v2
	s_delay_alu instid0(VALU_DEP_1) | instskip(NEXT) | instid1(VALU_DEP_1)
	v_trunc_f32_e32 v15, v15
	v_fmac_f32_e32 v2, 0xcf800000, v15
	v_cvt_u32_f32_e32 v15, v15
	s_delay_alu instid0(VALU_DEP_2) | instskip(NEXT) | instid1(VALU_DEP_2)
	v_cvt_u32_f32_e32 v2, v2
	v_mul_lo_u32 v16, s0, v15
	s_delay_alu instid0(VALU_DEP_2) | instskip(SKIP_1) | instid1(VALU_DEP_2)
	v_mul_hi_u32 v38, s0, v2
	v_mul_lo_u32 v39, s65, v2
	v_add_nc_u32_e32 v16, v38, v16
	v_mul_lo_u32 v38, s0, v2
	s_delay_alu instid0(VALU_DEP_2) | instskip(NEXT) | instid1(VALU_DEP_2)
	v_add_nc_u32_e32 v16, v16, v39
	v_mul_hi_u32 v39, v2, v38
	s_delay_alu instid0(VALU_DEP_2)
	v_mul_lo_u32 v40, v2, v16
	v_mul_hi_u32 v41, v2, v16
	v_mul_hi_u32 v42, v15, v38
	v_mul_lo_u32 v38, v15, v38
	v_mul_hi_u32 v43, v15, v16
	v_mul_lo_u32 v16, v15, v16
	v_add_co_u32 v39, vcc_lo, v39, v40
	v_add_co_ci_u32_e32 v40, vcc_lo, 0, v41, vcc_lo
	s_delay_alu instid0(VALU_DEP_2) | instskip(NEXT) | instid1(VALU_DEP_2)
	v_add_co_u32 v38, vcc_lo, v39, v38
	v_add_co_ci_u32_e32 v38, vcc_lo, v40, v42, vcc_lo
	v_add_co_ci_u32_e32 v39, vcc_lo, 0, v43, vcc_lo
	s_delay_alu instid0(VALU_DEP_2) | instskip(NEXT) | instid1(VALU_DEP_2)
	v_add_co_u32 v16, vcc_lo, v38, v16
	v_add_co_ci_u32_e32 v38, vcc_lo, 0, v39, vcc_lo
	s_delay_alu instid0(VALU_DEP_2) | instskip(NEXT) | instid1(VALU_DEP_2)
	v_add_co_u32 v2, vcc_lo, v2, v16
	v_add_co_ci_u32_e32 v15, vcc_lo, v15, v38, vcc_lo
	s_delay_alu instid0(VALU_DEP_2) | instskip(SKIP_1) | instid1(VALU_DEP_3)
	v_mul_hi_u32 v16, s0, v2
	v_mul_lo_u32 v39, s65, v2
	v_mul_lo_u32 v38, s0, v15
	s_delay_alu instid0(VALU_DEP_1) | instskip(SKIP_1) | instid1(VALU_DEP_2)
	v_add_nc_u32_e32 v16, v16, v38
	v_mul_lo_u32 v38, s0, v2
	v_add_nc_u32_e32 v16, v16, v39
	s_delay_alu instid0(VALU_DEP_2) | instskip(NEXT) | instid1(VALU_DEP_2)
	v_mul_hi_u32 v39, v2, v38
	v_mul_lo_u32 v40, v2, v16
	v_mul_hi_u32 v41, v2, v16
	v_mul_hi_u32 v42, v15, v38
	v_mul_lo_u32 v38, v15, v38
	v_mul_hi_u32 v43, v15, v16
	v_mul_lo_u32 v16, v15, v16
	v_add_co_u32 v39, vcc_lo, v39, v40
	v_add_co_ci_u32_e32 v40, vcc_lo, 0, v41, vcc_lo
	s_delay_alu instid0(VALU_DEP_2) | instskip(NEXT) | instid1(VALU_DEP_2)
	v_add_co_u32 v38, vcc_lo, v39, v38
	v_add_co_ci_u32_e32 v38, vcc_lo, v40, v42, vcc_lo
	v_add_co_ci_u32_e32 v39, vcc_lo, 0, v43, vcc_lo
	v_add_co_u32 v18, vcc_lo, v18, v17
	v_add_co_ci_u32_e32 v20, vcc_lo, v20, v17, vcc_lo
	s_delay_alu instid0(VALU_DEP_4) | instskip(NEXT) | instid1(VALU_DEP_4)
	v_add_co_u32 v16, vcc_lo, v38, v16
	v_add_co_ci_u32_e32 v38, vcc_lo, 0, v39, vcc_lo
	s_delay_alu instid0(VALU_DEP_4) | instskip(NEXT) | instid1(VALU_DEP_3)
	v_xor_b32_e32 v18, v18, v17
	v_add_co_u32 v2, vcc_lo, v2, v16
	s_delay_alu instid0(VALU_DEP_3) | instskip(SKIP_1) | instid1(VALU_DEP_3)
	v_add_co_ci_u32_e32 v42, vcc_lo, v15, v38, vcc_lo
	v_xor_b32_e32 v20, v20, v17
	v_mul_hi_u32 v43, v18, v2
	v_xor_b32_e32 v17, s64, v17
	s_delay_alu instid0(VALU_DEP_4) | instskip(NEXT) | instid1(VALU_DEP_4)
	v_mad_u64_u32 v[15:16], null, v18, v42, 0
	v_mad_u64_u32 v[38:39], null, v20, v2, 0
	;; [unrolled: 1-line block ×3, first 2 shown]
	s_delay_alu instid0(VALU_DEP_3) | instskip(NEXT) | instid1(VALU_DEP_4)
	v_add_co_u32 v2, vcc_lo, v43, v15
	v_add_co_ci_u32_e32 v15, vcc_lo, 0, v16, vcc_lo
	s_delay_alu instid0(VALU_DEP_2) | instskip(NEXT) | instid1(VALU_DEP_2)
	v_add_co_u32 v2, vcc_lo, v2, v38
	v_add_co_ci_u32_e32 v2, vcc_lo, v15, v39, vcc_lo
	v_add_co_ci_u32_e32 v15, vcc_lo, 0, v41, vcc_lo
	s_delay_alu instid0(VALU_DEP_2) | instskip(NEXT) | instid1(VALU_DEP_2)
	v_add_co_u32 v2, vcc_lo, v2, v40
	v_add_co_ci_u32_e32 v38, vcc_lo, 0, v15, vcc_lo
	s_delay_alu instid0(VALU_DEP_2) | instskip(SKIP_1) | instid1(VALU_DEP_3)
	v_mul_lo_u32 v39, s67, v2
	v_mad_u64_u32 v[15:16], null, s66, v2, 0
	v_mul_lo_u32 v40, s66, v38
	s_delay_alu instid0(VALU_DEP_2) | instskip(NEXT) | instid1(VALU_DEP_2)
	v_sub_co_u32 v15, vcc_lo, v18, v15
	v_add3_u32 v16, v16, v40, v39
	s_delay_alu instid0(VALU_DEP_1) | instskip(NEXT) | instid1(VALU_DEP_1)
	v_sub_nc_u32_e32 v39, v20, v16
	v_subrev_co_ci_u32_e64 v18, s0, s67, v39, vcc_lo
	v_add_co_u32 v39, s0, v2, 2
	s_delay_alu instid0(VALU_DEP_1) | instskip(SKIP_3) | instid1(VALU_DEP_3)
	v_add_co_ci_u32_e64 v40, s0, 0, v38, s0
	v_sub_co_u32 v41, s0, v15, s66
	v_sub_co_ci_u32_e32 v16, vcc_lo, v20, v16, vcc_lo
	v_subrev_co_ci_u32_e64 v18, s0, 0, v18, s0
	v_cmp_le_u32_e32 vcc_lo, s66, v41
	s_delay_alu instid0(VALU_DEP_3) | instskip(SKIP_1) | instid1(VALU_DEP_4)
	v_cmp_eq_u32_e64 s0, s67, v16
	v_cndmask_b32_e64 v20, 0, -1, vcc_lo
	v_cmp_le_u32_e32 vcc_lo, s67, v18
	v_cndmask_b32_e64 v41, 0, -1, vcc_lo
	v_cmp_le_u32_e32 vcc_lo, s66, v15
	;; [unrolled: 2-line block ×3, first 2 shown]
	v_cndmask_b32_e64 v42, 0, -1, vcc_lo
	v_cmp_eq_u32_e32 vcc_lo, s67, v18
	s_delay_alu instid0(VALU_DEP_2) | instskip(SKIP_3) | instid1(VALU_DEP_3)
	v_cndmask_b32_e64 v15, v42, v15, s0
	v_cndmask_b32_e32 v18, v41, v20, vcc_lo
	v_add_co_u32 v20, vcc_lo, v2, 1
	v_add_co_ci_u32_e32 v41, vcc_lo, 0, v38, vcc_lo
	v_cmp_ne_u32_e32 vcc_lo, 0, v18
	s_delay_alu instid0(VALU_DEP_2) | instskip(NEXT) | instid1(VALU_DEP_4)
	v_cndmask_b32_e32 v16, v41, v40, vcc_lo
	v_cndmask_b32_e32 v18, v20, v39, vcc_lo
	v_cmp_ne_u32_e32 vcc_lo, 0, v15
	s_delay_alu instid0(VALU_DEP_2) | instskip(NEXT) | instid1(VALU_DEP_4)
	v_cndmask_b32_e32 v2, v2, v18, vcc_lo
	v_cndmask_b32_e32 v15, v38, v16, vcc_lo
                                        ; implicit-def: $vgpr18
	s_delay_alu instid0(VALU_DEP_2) | instskip(NEXT) | instid1(VALU_DEP_2)
	v_xor_b32_e32 v2, v2, v17
	v_xor_b32_e32 v16, v15, v17
	s_delay_alu instid0(VALU_DEP_2) | instskip(NEXT) | instid1(VALU_DEP_2)
	v_sub_co_u32 v15, vcc_lo, v2, v17
	v_sub_co_ci_u32_e32 v16, vcc_lo, v16, v17, vcc_lo
.LBB15_41:                              ;   in Loop: Header=BB15_3 Depth=1
	s_or_saveexec_b32 s0, s80
	v_cvt_f32_u32_e32 v38, s62
	s_xor_b32 exec_lo, exec_lo, s0
	s_cbranch_execz .LBB15_43
; %bb.42:                               ;   in Loop: Header=BB15_3 Depth=1
	s_delay_alu instid0(VALU_DEP_1) | instskip(SKIP_3) | instid1(VALU_DEP_1)
	v_rcp_iflag_f32_e32 v2, v38
	s_sub_i32 s64, 0, s62
	s_waitcnt_depctr 0xfff
	v_mul_f32_e32 v2, 0x4f7ffffe, v2
	v_cvt_u32_f32_e32 v2, v2
	s_delay_alu instid0(VALU_DEP_1) | instskip(NEXT) | instid1(VALU_DEP_1)
	v_mul_lo_u32 v15, s64, v2
	v_mul_hi_u32 v15, v2, v15
	s_delay_alu instid0(VALU_DEP_1) | instskip(NEXT) | instid1(VALU_DEP_1)
	v_add_nc_u32_e32 v2, v2, v15
	v_mul_hi_u32 v2, v18, v2
	s_delay_alu instid0(VALU_DEP_1) | instskip(SKIP_1) | instid1(VALU_DEP_2)
	v_mul_lo_u32 v15, v2, s62
	v_add_nc_u32_e32 v16, 1, v2
	v_sub_nc_u32_e32 v15, v18, v15
	s_delay_alu instid0(VALU_DEP_1) | instskip(SKIP_1) | instid1(VALU_DEP_2)
	v_subrev_nc_u32_e32 v17, s62, v15
	v_cmp_le_u32_e32 vcc_lo, s62, v15
	v_dual_cndmask_b32 v15, v15, v17 :: v_dual_cndmask_b32 v2, v2, v16
	s_delay_alu instid0(VALU_DEP_1) | instskip(NEXT) | instid1(VALU_DEP_2)
	v_cmp_le_u32_e32 vcc_lo, s62, v15
	v_add_nc_u32_e32 v16, 1, v2
	s_delay_alu instid0(VALU_DEP_1)
	v_dual_cndmask_b32 v15, v2, v16 :: v_dual_mov_b32 v16, v1
.LBB15_43:                              ;   in Loop: Header=BB15_3 Depth=1
	s_or_b32 exec_lo, exec_lo, s0
	v_or_b32_e32 v2, s63, v23
                                        ; implicit-def: $vgpr17_vgpr18
	s_mov_b32 s0, exec_lo
	s_delay_alu instid0(VALU_DEP_1)
	v_cmpx_ne_u64_e32 0, v[1:2]
	s_xor_b32 s80, exec_lo, s0
	s_cbranch_execz .LBB15_45
; %bb.44:                               ;   in Loop: Header=BB15_3 Depth=1
	s_ashr_i32 s64, s63, 31
	s_delay_alu instid0(SALU_CYCLE_1) | instskip(SKIP_2) | instid1(SALU_CYCLE_1)
	s_add_u32 s66, s62, s64
	s_mov_b32 s65, s64
	s_addc_u32 s67, s63, s64
	s_xor_b64 s[66:67], s[66:67], s[64:65]
	s_delay_alu instid0(SALU_CYCLE_1) | instskip(SKIP_3) | instid1(VALU_DEP_1)
	v_cvt_f32_u32_e32 v2, s66
	v_cvt_f32_u32_e32 v17, s67
	s_sub_u32 s0, 0, s66
	s_subb_u32 s65, 0, s67
	v_fmac_f32_e32 v2, 0x4f800000, v17
	s_delay_alu instid0(VALU_DEP_1) | instskip(SKIP_2) | instid1(VALU_DEP_1)
	v_rcp_f32_e32 v2, v2
	s_waitcnt_depctr 0xfff
	v_mul_f32_e32 v2, 0x5f7ffffc, v2
	v_mul_f32_e32 v17, 0x2f800000, v2
	s_delay_alu instid0(VALU_DEP_1) | instskip(NEXT) | instid1(VALU_DEP_1)
	v_trunc_f32_e32 v17, v17
	v_fmac_f32_e32 v2, 0xcf800000, v17
	v_cvt_u32_f32_e32 v17, v17
	s_delay_alu instid0(VALU_DEP_2) | instskip(NEXT) | instid1(VALU_DEP_2)
	v_cvt_u32_f32_e32 v2, v2
	v_mul_lo_u32 v18, s0, v17
	s_delay_alu instid0(VALU_DEP_2) | instskip(SKIP_1) | instid1(VALU_DEP_2)
	v_mul_hi_u32 v20, s0, v2
	v_mul_lo_u32 v39, s65, v2
	v_add_nc_u32_e32 v18, v20, v18
	v_mul_lo_u32 v20, s0, v2
	s_delay_alu instid0(VALU_DEP_2) | instskip(NEXT) | instid1(VALU_DEP_2)
	v_add_nc_u32_e32 v18, v18, v39
	v_mul_hi_u32 v39, v2, v20
	s_delay_alu instid0(VALU_DEP_2)
	v_mul_lo_u32 v40, v2, v18
	v_mul_hi_u32 v41, v2, v18
	v_mul_hi_u32 v42, v17, v20
	v_mul_lo_u32 v20, v17, v20
	v_mul_hi_u32 v43, v17, v18
	v_mul_lo_u32 v18, v17, v18
	v_add_co_u32 v39, vcc_lo, v39, v40
	v_add_co_ci_u32_e32 v40, vcc_lo, 0, v41, vcc_lo
	s_delay_alu instid0(VALU_DEP_2) | instskip(NEXT) | instid1(VALU_DEP_2)
	v_add_co_u32 v20, vcc_lo, v39, v20
	v_add_co_ci_u32_e32 v20, vcc_lo, v40, v42, vcc_lo
	v_add_co_ci_u32_e32 v39, vcc_lo, 0, v43, vcc_lo
	s_delay_alu instid0(VALU_DEP_2) | instskip(NEXT) | instid1(VALU_DEP_2)
	v_add_co_u32 v18, vcc_lo, v20, v18
	v_add_co_ci_u32_e32 v20, vcc_lo, 0, v39, vcc_lo
	s_delay_alu instid0(VALU_DEP_2) | instskip(NEXT) | instid1(VALU_DEP_2)
	v_add_co_u32 v2, vcc_lo, v2, v18
	v_add_co_ci_u32_e32 v17, vcc_lo, v17, v20, vcc_lo
	s_delay_alu instid0(VALU_DEP_2) | instskip(SKIP_1) | instid1(VALU_DEP_3)
	v_mul_hi_u32 v18, s0, v2
	v_mul_lo_u32 v39, s65, v2
	v_mul_lo_u32 v20, s0, v17
	s_delay_alu instid0(VALU_DEP_1) | instskip(SKIP_1) | instid1(VALU_DEP_2)
	v_add_nc_u32_e32 v18, v18, v20
	v_mul_lo_u32 v20, s0, v2
	v_add_nc_u32_e32 v18, v18, v39
	s_delay_alu instid0(VALU_DEP_2) | instskip(NEXT) | instid1(VALU_DEP_2)
	v_mul_hi_u32 v39, v2, v20
	v_mul_lo_u32 v40, v2, v18
	v_mul_hi_u32 v41, v2, v18
	v_mul_hi_u32 v42, v17, v20
	v_mul_lo_u32 v20, v17, v20
	v_mul_hi_u32 v43, v17, v18
	v_mul_lo_u32 v18, v17, v18
	v_add_co_u32 v39, vcc_lo, v39, v40
	v_add_co_ci_u32_e32 v40, vcc_lo, 0, v41, vcc_lo
	s_delay_alu instid0(VALU_DEP_2) | instskip(NEXT) | instid1(VALU_DEP_2)
	v_add_co_u32 v20, vcc_lo, v39, v20
	v_add_co_ci_u32_e32 v20, vcc_lo, v40, v42, vcc_lo
	v_add_co_ci_u32_e32 v39, vcc_lo, 0, v43, vcc_lo
	v_add_co_u32 v21, vcc_lo, v21, v19
	v_add_co_ci_u32_e32 v23, vcc_lo, v23, v19, vcc_lo
	s_delay_alu instid0(VALU_DEP_4) | instskip(NEXT) | instid1(VALU_DEP_4)
	v_add_co_u32 v18, vcc_lo, v20, v18
	v_add_co_ci_u32_e32 v20, vcc_lo, 0, v39, vcc_lo
	s_delay_alu instid0(VALU_DEP_4) | instskip(NEXT) | instid1(VALU_DEP_3)
	v_xor_b32_e32 v41, v21, v19
	v_add_co_u32 v2, vcc_lo, v2, v18
	s_delay_alu instid0(VALU_DEP_3) | instskip(SKIP_1) | instid1(VALU_DEP_3)
	v_add_co_ci_u32_e32 v42, vcc_lo, v17, v20, vcc_lo
	v_xor_b32_e32 v23, v23, v19
	v_mul_hi_u32 v43, v41, v2
	v_xor_b32_e32 v19, s64, v19
	s_delay_alu instid0(VALU_DEP_4) | instskip(NEXT) | instid1(VALU_DEP_4)
	v_mad_u64_u32 v[17:18], null, v41, v42, 0
	v_mad_u64_u32 v[20:21], null, v23, v2, 0
	;; [unrolled: 1-line block ×3, first 2 shown]
	s_delay_alu instid0(VALU_DEP_3) | instskip(NEXT) | instid1(VALU_DEP_4)
	v_add_co_u32 v2, vcc_lo, v43, v17
	v_add_co_ci_u32_e32 v17, vcc_lo, 0, v18, vcc_lo
	s_delay_alu instid0(VALU_DEP_2) | instskip(NEXT) | instid1(VALU_DEP_2)
	v_add_co_u32 v2, vcc_lo, v2, v20
	v_add_co_ci_u32_e32 v2, vcc_lo, v17, v21, vcc_lo
	v_add_co_ci_u32_e32 v17, vcc_lo, 0, v40, vcc_lo
	s_delay_alu instid0(VALU_DEP_2) | instskip(NEXT) | instid1(VALU_DEP_2)
	v_add_co_u32 v2, vcc_lo, v2, v39
	v_add_co_ci_u32_e32 v20, vcc_lo, 0, v17, vcc_lo
	s_delay_alu instid0(VALU_DEP_2) | instskip(SKIP_1) | instid1(VALU_DEP_3)
	v_mul_lo_u32 v21, s67, v2
	v_mad_u64_u32 v[17:18], null, s66, v2, 0
	v_mul_lo_u32 v39, s66, v20
	s_delay_alu instid0(VALU_DEP_2) | instskip(NEXT) | instid1(VALU_DEP_2)
	v_sub_co_u32 v17, vcc_lo, v41, v17
	v_add3_u32 v18, v18, v39, v21
	s_delay_alu instid0(VALU_DEP_1) | instskip(NEXT) | instid1(VALU_DEP_1)
	v_sub_nc_u32_e32 v21, v23, v18
	v_subrev_co_ci_u32_e64 v21, s0, s67, v21, vcc_lo
	v_add_co_u32 v39, s0, v2, 2
	s_delay_alu instid0(VALU_DEP_1) | instskip(SKIP_3) | instid1(VALU_DEP_3)
	v_add_co_ci_u32_e64 v40, s0, 0, v20, s0
	v_sub_co_u32 v41, s0, v17, s66
	v_sub_co_ci_u32_e32 v18, vcc_lo, v23, v18, vcc_lo
	v_subrev_co_ci_u32_e64 v21, s0, 0, v21, s0
	v_cmp_le_u32_e32 vcc_lo, s66, v41
	s_delay_alu instid0(VALU_DEP_3) | instskip(SKIP_1) | instid1(VALU_DEP_4)
	v_cmp_eq_u32_e64 s0, s67, v18
	v_cndmask_b32_e64 v23, 0, -1, vcc_lo
	v_cmp_le_u32_e32 vcc_lo, s67, v21
	v_cndmask_b32_e64 v41, 0, -1, vcc_lo
	v_cmp_le_u32_e32 vcc_lo, s66, v17
	;; [unrolled: 2-line block ×3, first 2 shown]
	v_cndmask_b32_e64 v42, 0, -1, vcc_lo
	v_cmp_eq_u32_e32 vcc_lo, s67, v21
	s_delay_alu instid0(VALU_DEP_2) | instskip(SKIP_3) | instid1(VALU_DEP_3)
	v_cndmask_b32_e64 v17, v42, v17, s0
	v_cndmask_b32_e32 v21, v41, v23, vcc_lo
	v_add_co_u32 v23, vcc_lo, v2, 1
	v_add_co_ci_u32_e32 v41, vcc_lo, 0, v20, vcc_lo
	v_cmp_ne_u32_e32 vcc_lo, 0, v21
	s_delay_alu instid0(VALU_DEP_2) | instskip(SKIP_1) | instid1(VALU_DEP_2)
	v_dual_cndmask_b32 v18, v41, v40 :: v_dual_cndmask_b32 v21, v23, v39
	v_cmp_ne_u32_e32 vcc_lo, 0, v17
	v_dual_cndmask_b32 v17, v20, v18 :: v_dual_cndmask_b32 v2, v2, v21
                                        ; implicit-def: $vgpr21
	s_delay_alu instid0(VALU_DEP_1) | instskip(NEXT) | instid1(VALU_DEP_2)
	v_xor_b32_e32 v18, v17, v19
	v_xor_b32_e32 v2, v2, v19
	s_delay_alu instid0(VALU_DEP_1) | instskip(NEXT) | instid1(VALU_DEP_3)
	v_sub_co_u32 v17, vcc_lo, v2, v19
	v_sub_co_ci_u32_e32 v18, vcc_lo, v18, v19, vcc_lo
.LBB15_45:                              ;   in Loop: Header=BB15_3 Depth=1
	s_and_not1_saveexec_b32 s0, s80
	s_cbranch_execz .LBB15_47
; %bb.46:                               ;   in Loop: Header=BB15_3 Depth=1
	v_rcp_iflag_f32_e32 v2, v38
	s_sub_i32 s64, 0, s62
	s_waitcnt_depctr 0xfff
	v_mul_f32_e32 v2, 0x4f7ffffe, v2
	s_delay_alu instid0(VALU_DEP_1) | instskip(NEXT) | instid1(VALU_DEP_1)
	v_cvt_u32_f32_e32 v2, v2
	v_mul_lo_u32 v17, s64, v2
	s_delay_alu instid0(VALU_DEP_1) | instskip(NEXT) | instid1(VALU_DEP_1)
	v_mul_hi_u32 v17, v2, v17
	v_add_nc_u32_e32 v2, v2, v17
	s_delay_alu instid0(VALU_DEP_1) | instskip(NEXT) | instid1(VALU_DEP_1)
	v_mul_hi_u32 v2, v21, v2
	v_mul_lo_u32 v17, v2, s62
	v_add_nc_u32_e32 v18, 1, v2
	s_delay_alu instid0(VALU_DEP_2) | instskip(NEXT) | instid1(VALU_DEP_1)
	v_sub_nc_u32_e32 v17, v21, v17
	v_subrev_nc_u32_e32 v19, s62, v17
	v_cmp_le_u32_e32 vcc_lo, s62, v17
	s_delay_alu instid0(VALU_DEP_2) | instskip(NEXT) | instid1(VALU_DEP_1)
	v_dual_cndmask_b32 v17, v17, v19 :: v_dual_cndmask_b32 v2, v2, v18
	v_cmp_le_u32_e32 vcc_lo, s62, v17
	s_delay_alu instid0(VALU_DEP_2) | instskip(NEXT) | instid1(VALU_DEP_1)
	v_add_nc_u32_e32 v18, 1, v2
	v_dual_cndmask_b32 v17, v2, v18 :: v_dual_mov_b32 v18, v1
.LBB15_47:                              ;   in Loop: Header=BB15_3 Depth=1
	s_or_b32 exec_lo, exec_lo, s0
	v_or_b32_e32 v2, s63, v26
                                        ; implicit-def: $vgpr19_vgpr20
	s_mov_b32 s0, exec_lo
	s_delay_alu instid0(VALU_DEP_1)
	v_cmpx_ne_u64_e32 0, v[1:2]
	s_xor_b32 s80, exec_lo, s0
	s_cbranch_execz .LBB15_49
; %bb.48:                               ;   in Loop: Header=BB15_3 Depth=1
	s_ashr_i32 s64, s63, 31
	s_delay_alu instid0(SALU_CYCLE_1) | instskip(SKIP_2) | instid1(SALU_CYCLE_1)
	s_add_u32 s66, s62, s64
	s_mov_b32 s65, s64
	s_addc_u32 s67, s63, s64
	s_xor_b64 s[66:67], s[66:67], s[64:65]
	s_delay_alu instid0(SALU_CYCLE_1) | instskip(SKIP_3) | instid1(VALU_DEP_1)
	v_cvt_f32_u32_e32 v2, s66
	v_cvt_f32_u32_e32 v19, s67
	s_sub_u32 s0, 0, s66
	s_subb_u32 s65, 0, s67
	v_fmac_f32_e32 v2, 0x4f800000, v19
	s_delay_alu instid0(VALU_DEP_1) | instskip(SKIP_2) | instid1(VALU_DEP_1)
	v_rcp_f32_e32 v2, v2
	s_waitcnt_depctr 0xfff
	v_mul_f32_e32 v2, 0x5f7ffffc, v2
	v_mul_f32_e32 v19, 0x2f800000, v2
	s_delay_alu instid0(VALU_DEP_1) | instskip(NEXT) | instid1(VALU_DEP_1)
	v_trunc_f32_e32 v19, v19
	v_fmac_f32_e32 v2, 0xcf800000, v19
	v_cvt_u32_f32_e32 v19, v19
	s_delay_alu instid0(VALU_DEP_2) | instskip(NEXT) | instid1(VALU_DEP_2)
	v_cvt_u32_f32_e32 v2, v2
	v_mul_lo_u32 v20, s0, v19
	s_delay_alu instid0(VALU_DEP_2) | instskip(SKIP_1) | instid1(VALU_DEP_2)
	v_mul_hi_u32 v21, s0, v2
	v_mul_lo_u32 v23, s65, v2
	v_add_nc_u32_e32 v20, v21, v20
	v_mul_lo_u32 v21, s0, v2
	s_delay_alu instid0(VALU_DEP_2) | instskip(NEXT) | instid1(VALU_DEP_2)
	v_add_nc_u32_e32 v20, v20, v23
	v_mul_hi_u32 v23, v2, v21
	s_delay_alu instid0(VALU_DEP_2)
	v_mul_lo_u32 v39, v2, v20
	v_mul_hi_u32 v40, v2, v20
	v_mul_hi_u32 v41, v19, v21
	v_mul_lo_u32 v21, v19, v21
	v_mul_hi_u32 v42, v19, v20
	v_mul_lo_u32 v20, v19, v20
	v_add_co_u32 v23, vcc_lo, v23, v39
	v_add_co_ci_u32_e32 v39, vcc_lo, 0, v40, vcc_lo
	s_delay_alu instid0(VALU_DEP_2) | instskip(NEXT) | instid1(VALU_DEP_2)
	v_add_co_u32 v21, vcc_lo, v23, v21
	v_add_co_ci_u32_e32 v21, vcc_lo, v39, v41, vcc_lo
	v_add_co_ci_u32_e32 v23, vcc_lo, 0, v42, vcc_lo
	s_delay_alu instid0(VALU_DEP_2) | instskip(NEXT) | instid1(VALU_DEP_2)
	v_add_co_u32 v20, vcc_lo, v21, v20
	v_add_co_ci_u32_e32 v21, vcc_lo, 0, v23, vcc_lo
	s_delay_alu instid0(VALU_DEP_2) | instskip(NEXT) | instid1(VALU_DEP_2)
	v_add_co_u32 v2, vcc_lo, v2, v20
	v_add_co_ci_u32_e32 v19, vcc_lo, v19, v21, vcc_lo
	s_delay_alu instid0(VALU_DEP_2) | instskip(SKIP_1) | instid1(VALU_DEP_3)
	v_mul_hi_u32 v20, s0, v2
	v_mul_lo_u32 v23, s65, v2
	v_mul_lo_u32 v21, s0, v19
	s_delay_alu instid0(VALU_DEP_1) | instskip(SKIP_1) | instid1(VALU_DEP_2)
	v_add_nc_u32_e32 v20, v20, v21
	v_mul_lo_u32 v21, s0, v2
	v_add_nc_u32_e32 v20, v20, v23
	s_delay_alu instid0(VALU_DEP_2) | instskip(NEXT) | instid1(VALU_DEP_2)
	v_mul_hi_u32 v23, v2, v21
	v_mul_lo_u32 v39, v2, v20
	v_mul_hi_u32 v40, v2, v20
	v_mul_hi_u32 v41, v19, v21
	v_mul_lo_u32 v21, v19, v21
	v_mul_hi_u32 v42, v19, v20
	v_mul_lo_u32 v20, v19, v20
	v_add_co_u32 v23, vcc_lo, v23, v39
	v_add_co_ci_u32_e32 v39, vcc_lo, 0, v40, vcc_lo
	s_delay_alu instid0(VALU_DEP_2) | instskip(NEXT) | instid1(VALU_DEP_2)
	v_add_co_u32 v21, vcc_lo, v23, v21
	v_add_co_ci_u32_e32 v21, vcc_lo, v39, v41, vcc_lo
	v_add_co_ci_u32_e32 v23, vcc_lo, 0, v42, vcc_lo
	v_add_co_u32 v25, vcc_lo, v25, v22
	v_add_co_ci_u32_e32 v26, vcc_lo, v26, v22, vcc_lo
	s_delay_alu instid0(VALU_DEP_4) | instskip(NEXT) | instid1(VALU_DEP_4)
	v_add_co_u32 v20, vcc_lo, v21, v20
	v_add_co_ci_u32_e32 v21, vcc_lo, 0, v23, vcc_lo
	s_delay_alu instid0(VALU_DEP_4) | instskip(NEXT) | instid1(VALU_DEP_3)
	v_xor_b32_e32 v23, v25, v22
	v_add_co_u32 v2, vcc_lo, v2, v20
	s_delay_alu instid0(VALU_DEP_3) | instskip(SKIP_1) | instid1(VALU_DEP_3)
	v_add_co_ci_u32_e32 v21, vcc_lo, v19, v21, vcc_lo
	v_xor_b32_e32 v41, v26, v22
	v_mul_hi_u32 v42, v23, v2
	v_xor_b32_e32 v22, s64, v22
	s_delay_alu instid0(VALU_DEP_4) | instskip(NEXT) | instid1(VALU_DEP_4)
	v_mad_u64_u32 v[19:20], null, v23, v21, 0
	v_mad_u64_u32 v[25:26], null, v41, v2, 0
	;; [unrolled: 1-line block ×3, first 2 shown]
	s_delay_alu instid0(VALU_DEP_3) | instskip(NEXT) | instid1(VALU_DEP_4)
	v_add_co_u32 v2, vcc_lo, v42, v19
	v_add_co_ci_u32_e32 v19, vcc_lo, 0, v20, vcc_lo
	s_delay_alu instid0(VALU_DEP_2) | instskip(NEXT) | instid1(VALU_DEP_2)
	v_add_co_u32 v2, vcc_lo, v2, v25
	v_add_co_ci_u32_e32 v2, vcc_lo, v19, v26, vcc_lo
	v_add_co_ci_u32_e32 v19, vcc_lo, 0, v40, vcc_lo
	s_delay_alu instid0(VALU_DEP_2) | instskip(NEXT) | instid1(VALU_DEP_2)
	v_add_co_u32 v2, vcc_lo, v2, v39
	v_add_co_ci_u32_e32 v21, vcc_lo, 0, v19, vcc_lo
	s_delay_alu instid0(VALU_DEP_2) | instskip(SKIP_1) | instid1(VALU_DEP_3)
	v_mul_lo_u32 v25, s67, v2
	v_mad_u64_u32 v[19:20], null, s66, v2, 0
	v_mul_lo_u32 v26, s66, v21
	s_delay_alu instid0(VALU_DEP_2) | instskip(NEXT) | instid1(VALU_DEP_2)
	v_sub_co_u32 v19, vcc_lo, v23, v19
	v_add3_u32 v20, v20, v26, v25
	s_delay_alu instid0(VALU_DEP_1) | instskip(NEXT) | instid1(VALU_DEP_1)
	v_sub_nc_u32_e32 v25, v41, v20
	v_subrev_co_ci_u32_e64 v23, s0, s67, v25, vcc_lo
	v_add_co_u32 v25, s0, v2, 2
	s_delay_alu instid0(VALU_DEP_1) | instskip(SKIP_3) | instid1(VALU_DEP_3)
	v_add_co_ci_u32_e64 v26, s0, 0, v21, s0
	v_sub_co_u32 v39, s0, v19, s66
	v_sub_co_ci_u32_e32 v20, vcc_lo, v41, v20, vcc_lo
	v_subrev_co_ci_u32_e64 v23, s0, 0, v23, s0
	v_cmp_le_u32_e32 vcc_lo, s66, v39
	s_delay_alu instid0(VALU_DEP_3) | instskip(SKIP_1) | instid1(VALU_DEP_4)
	v_cmp_eq_u32_e64 s0, s67, v20
	v_cndmask_b32_e64 v39, 0, -1, vcc_lo
	v_cmp_le_u32_e32 vcc_lo, s67, v23
	v_cndmask_b32_e64 v40, 0, -1, vcc_lo
	v_cmp_le_u32_e32 vcc_lo, s66, v19
	v_cndmask_b32_e64 v19, 0, -1, vcc_lo
	v_cmp_le_u32_e32 vcc_lo, s67, v20
	v_cndmask_b32_e64 v41, 0, -1, vcc_lo
	v_cmp_eq_u32_e32 vcc_lo, s67, v23
	s_delay_alu instid0(VALU_DEP_2) | instskip(SKIP_3) | instid1(VALU_DEP_3)
	v_cndmask_b32_e64 v19, v41, v19, s0
	v_cndmask_b32_e32 v23, v40, v39, vcc_lo
	v_add_co_u32 v39, vcc_lo, v2, 1
	v_add_co_ci_u32_e32 v40, vcc_lo, 0, v21, vcc_lo
	v_cmp_ne_u32_e32 vcc_lo, 0, v23
	s_delay_alu instid0(VALU_DEP_2) | instskip(SKIP_1) | instid1(VALU_DEP_2)
	v_dual_cndmask_b32 v20, v40, v26 :: v_dual_cndmask_b32 v23, v39, v25
	v_cmp_ne_u32_e32 vcc_lo, 0, v19
                                        ; implicit-def: $vgpr25
	v_dual_cndmask_b32 v19, v21, v20 :: v_dual_cndmask_b32 v2, v2, v23
	s_delay_alu instid0(VALU_DEP_1) | instskip(NEXT) | instid1(VALU_DEP_2)
	v_xor_b32_e32 v20, v19, v22
	v_xor_b32_e32 v2, v2, v22
	s_delay_alu instid0(VALU_DEP_1) | instskip(NEXT) | instid1(VALU_DEP_3)
	v_sub_co_u32 v19, vcc_lo, v2, v22
	v_sub_co_ci_u32_e32 v20, vcc_lo, v20, v22, vcc_lo
.LBB15_49:                              ;   in Loop: Header=BB15_3 Depth=1
	s_and_not1_saveexec_b32 s0, s80
	s_cbranch_execz .LBB15_51
; %bb.50:                               ;   in Loop: Header=BB15_3 Depth=1
	v_rcp_iflag_f32_e32 v2, v38
	s_sub_i32 s64, 0, s62
	s_waitcnt_depctr 0xfff
	v_mul_f32_e32 v2, 0x4f7ffffe, v2
	s_delay_alu instid0(VALU_DEP_1) | instskip(NEXT) | instid1(VALU_DEP_1)
	v_cvt_u32_f32_e32 v2, v2
	v_mul_lo_u32 v19, s64, v2
	s_delay_alu instid0(VALU_DEP_1) | instskip(NEXT) | instid1(VALU_DEP_1)
	v_mul_hi_u32 v19, v2, v19
	v_add_nc_u32_e32 v2, v2, v19
	s_delay_alu instid0(VALU_DEP_1) | instskip(NEXT) | instid1(VALU_DEP_1)
	v_mul_hi_u32 v2, v25, v2
	v_mul_lo_u32 v19, v2, s62
	v_add_nc_u32_e32 v20, 1, v2
	s_delay_alu instid0(VALU_DEP_2) | instskip(NEXT) | instid1(VALU_DEP_1)
	v_sub_nc_u32_e32 v19, v25, v19
	v_subrev_nc_u32_e32 v21, s62, v19
	v_cmp_le_u32_e32 vcc_lo, s62, v19
	s_delay_alu instid0(VALU_DEP_2) | instskip(NEXT) | instid1(VALU_DEP_1)
	v_dual_cndmask_b32 v19, v19, v21 :: v_dual_cndmask_b32 v2, v2, v20
	v_cmp_le_u32_e32 vcc_lo, s62, v19
	s_delay_alu instid0(VALU_DEP_2) | instskip(NEXT) | instid1(VALU_DEP_1)
	v_add_nc_u32_e32 v20, 1, v2
	v_dual_cndmask_b32 v19, v2, v20 :: v_dual_mov_b32 v20, v1
.LBB15_51:                              ;   in Loop: Header=BB15_3 Depth=1
	s_or_b32 exec_lo, exec_lo, s0
	v_or_b32_e32 v2, s63, v35
                                        ; implicit-def: $vgpr21_vgpr22
	s_mov_b32 s0, exec_lo
	s_delay_alu instid0(VALU_DEP_1)
	v_cmpx_ne_u64_e32 0, v[1:2]
	s_xor_b32 s80, exec_lo, s0
	s_cbranch_execz .LBB15_53
; %bb.52:                               ;   in Loop: Header=BB15_3 Depth=1
	s_ashr_i32 s64, s63, 31
	s_delay_alu instid0(SALU_CYCLE_1) | instskip(SKIP_2) | instid1(SALU_CYCLE_1)
	s_add_u32 s66, s62, s64
	s_mov_b32 s65, s64
	s_addc_u32 s67, s63, s64
	s_xor_b64 s[66:67], s[66:67], s[64:65]
	s_delay_alu instid0(SALU_CYCLE_1) | instskip(SKIP_3) | instid1(VALU_DEP_1)
	v_cvt_f32_u32_e32 v2, s66
	v_cvt_f32_u32_e32 v21, s67
	s_sub_u32 s0, 0, s66
	s_subb_u32 s65, 0, s67
	v_fmac_f32_e32 v2, 0x4f800000, v21
	s_delay_alu instid0(VALU_DEP_1) | instskip(SKIP_2) | instid1(VALU_DEP_1)
	v_rcp_f32_e32 v2, v2
	s_waitcnt_depctr 0xfff
	v_mul_f32_e32 v2, 0x5f7ffffc, v2
	v_mul_f32_e32 v21, 0x2f800000, v2
	s_delay_alu instid0(VALU_DEP_1) | instskip(NEXT) | instid1(VALU_DEP_1)
	v_trunc_f32_e32 v21, v21
	v_fmac_f32_e32 v2, 0xcf800000, v21
	v_cvt_u32_f32_e32 v21, v21
	s_delay_alu instid0(VALU_DEP_2) | instskip(NEXT) | instid1(VALU_DEP_2)
	v_cvt_u32_f32_e32 v2, v2
	v_mul_lo_u32 v22, s0, v21
	s_delay_alu instid0(VALU_DEP_2) | instskip(SKIP_1) | instid1(VALU_DEP_2)
	v_mul_hi_u32 v23, s0, v2
	v_mul_lo_u32 v25, s65, v2
	v_add_nc_u32_e32 v22, v23, v22
	v_mul_lo_u32 v23, s0, v2
	s_delay_alu instid0(VALU_DEP_2) | instskip(NEXT) | instid1(VALU_DEP_2)
	v_add_nc_u32_e32 v22, v22, v25
	v_mul_hi_u32 v25, v2, v23
	s_delay_alu instid0(VALU_DEP_2)
	v_mul_lo_u32 v26, v2, v22
	v_mul_hi_u32 v38, v2, v22
	v_mul_hi_u32 v39, v21, v23
	v_mul_lo_u32 v23, v21, v23
	v_mul_hi_u32 v40, v21, v22
	v_mul_lo_u32 v22, v21, v22
	v_add_co_u32 v25, vcc_lo, v25, v26
	v_add_co_ci_u32_e32 v26, vcc_lo, 0, v38, vcc_lo
	s_delay_alu instid0(VALU_DEP_2) | instskip(NEXT) | instid1(VALU_DEP_2)
	v_add_co_u32 v23, vcc_lo, v25, v23
	v_add_co_ci_u32_e32 v23, vcc_lo, v26, v39, vcc_lo
	v_add_co_ci_u32_e32 v25, vcc_lo, 0, v40, vcc_lo
	s_delay_alu instid0(VALU_DEP_2) | instskip(NEXT) | instid1(VALU_DEP_2)
	v_add_co_u32 v22, vcc_lo, v23, v22
	v_add_co_ci_u32_e32 v23, vcc_lo, 0, v25, vcc_lo
	s_delay_alu instid0(VALU_DEP_2) | instskip(NEXT) | instid1(VALU_DEP_2)
	v_add_co_u32 v2, vcc_lo, v2, v22
	v_add_co_ci_u32_e32 v21, vcc_lo, v21, v23, vcc_lo
	s_delay_alu instid0(VALU_DEP_2) | instskip(SKIP_1) | instid1(VALU_DEP_3)
	v_mul_hi_u32 v22, s0, v2
	v_mul_lo_u32 v25, s65, v2
	v_mul_lo_u32 v23, s0, v21
	s_delay_alu instid0(VALU_DEP_1) | instskip(SKIP_1) | instid1(VALU_DEP_2)
	v_add_nc_u32_e32 v22, v22, v23
	v_mul_lo_u32 v23, s0, v2
	v_add_nc_u32_e32 v22, v22, v25
	s_delay_alu instid0(VALU_DEP_2) | instskip(NEXT) | instid1(VALU_DEP_2)
	v_mul_hi_u32 v25, v2, v23
	v_mul_lo_u32 v26, v2, v22
	v_mul_hi_u32 v38, v2, v22
	v_mul_hi_u32 v39, v21, v23
	v_mul_lo_u32 v23, v21, v23
	v_mul_hi_u32 v40, v21, v22
	v_mul_lo_u32 v22, v21, v22
	v_add_co_u32 v25, vcc_lo, v25, v26
	v_add_co_ci_u32_e32 v26, vcc_lo, 0, v38, vcc_lo
	s_delay_alu instid0(VALU_DEP_2) | instskip(NEXT) | instid1(VALU_DEP_2)
	v_add_co_u32 v23, vcc_lo, v25, v23
	v_add_co_ci_u32_e32 v23, vcc_lo, v26, v39, vcc_lo
	v_add_co_ci_u32_e32 v25, vcc_lo, 0, v40, vcc_lo
	v_add_co_u32 v26, vcc_lo, v34, v24
	v_add_co_ci_u32_e32 v34, vcc_lo, v35, v24, vcc_lo
	s_delay_alu instid0(VALU_DEP_4) | instskip(NEXT) | instid1(VALU_DEP_4)
	v_add_co_u32 v22, vcc_lo, v23, v22
	v_add_co_ci_u32_e32 v23, vcc_lo, 0, v25, vcc_lo
	s_delay_alu instid0(VALU_DEP_4) | instskip(NEXT) | instid1(VALU_DEP_3)
	v_xor_b32_e32 v38, v26, v24
	v_add_co_u32 v2, vcc_lo, v2, v22
	s_delay_alu instid0(VALU_DEP_3) | instskip(SKIP_1) | instid1(VALU_DEP_3)
	v_add_co_ci_u32_e32 v23, vcc_lo, v21, v23, vcc_lo
	v_xor_b32_e32 v39, v34, v24
	v_mul_hi_u32 v40, v38, v2
	v_xor_b32_e32 v24, s64, v24
	s_delay_alu instid0(VALU_DEP_4) | instskip(NEXT) | instid1(VALU_DEP_4)
	v_mad_u64_u32 v[21:22], null, v38, v23, 0
	v_mad_u64_u32 v[25:26], null, v39, v2, 0
	;; [unrolled: 1-line block ×3, first 2 shown]
	s_delay_alu instid0(VALU_DEP_3) | instskip(NEXT) | instid1(VALU_DEP_4)
	v_add_co_u32 v2, vcc_lo, v40, v21
	v_add_co_ci_u32_e32 v21, vcc_lo, 0, v22, vcc_lo
	s_delay_alu instid0(VALU_DEP_2) | instskip(NEXT) | instid1(VALU_DEP_2)
	v_add_co_u32 v2, vcc_lo, v2, v25
	v_add_co_ci_u32_e32 v2, vcc_lo, v21, v26, vcc_lo
	v_add_co_ci_u32_e32 v21, vcc_lo, 0, v35, vcc_lo
	s_delay_alu instid0(VALU_DEP_2) | instskip(NEXT) | instid1(VALU_DEP_2)
	v_add_co_u32 v2, vcc_lo, v2, v34
	v_add_co_ci_u32_e32 v23, vcc_lo, 0, v21, vcc_lo
	s_delay_alu instid0(VALU_DEP_2) | instskip(SKIP_1) | instid1(VALU_DEP_3)
	v_mul_lo_u32 v25, s67, v2
	v_mad_u64_u32 v[21:22], null, s66, v2, 0
	v_mul_lo_u32 v26, s66, v23
	s_delay_alu instid0(VALU_DEP_2) | instskip(NEXT) | instid1(VALU_DEP_2)
	v_sub_co_u32 v21, vcc_lo, v38, v21
	v_add3_u32 v22, v22, v26, v25
	s_delay_alu instid0(VALU_DEP_1) | instskip(NEXT) | instid1(VALU_DEP_1)
	v_sub_nc_u32_e32 v25, v39, v22
	v_subrev_co_ci_u32_e64 v25, s0, s67, v25, vcc_lo
	v_add_co_u32 v26, s0, v2, 2
	s_delay_alu instid0(VALU_DEP_1) | instskip(SKIP_3) | instid1(VALU_DEP_3)
	v_add_co_ci_u32_e64 v34, s0, 0, v23, s0
	v_sub_co_u32 v35, s0, v21, s66
	v_sub_co_ci_u32_e32 v22, vcc_lo, v39, v22, vcc_lo
	v_subrev_co_ci_u32_e64 v25, s0, 0, v25, s0
	v_cmp_le_u32_e32 vcc_lo, s66, v35
	s_delay_alu instid0(VALU_DEP_3) | instskip(SKIP_1) | instid1(VALU_DEP_4)
	v_cmp_eq_u32_e64 s0, s67, v22
	v_cndmask_b32_e64 v35, 0, -1, vcc_lo
	v_cmp_le_u32_e32 vcc_lo, s67, v25
	v_cndmask_b32_e64 v38, 0, -1, vcc_lo
	v_cmp_le_u32_e32 vcc_lo, s66, v21
	;; [unrolled: 2-line block ×3, first 2 shown]
	v_cndmask_b32_e64 v39, 0, -1, vcc_lo
	v_cmp_eq_u32_e32 vcc_lo, s67, v25
	s_delay_alu instid0(VALU_DEP_2) | instskip(SKIP_3) | instid1(VALU_DEP_3)
	v_cndmask_b32_e64 v21, v39, v21, s0
	v_cndmask_b32_e32 v25, v38, v35, vcc_lo
	v_add_co_u32 v35, vcc_lo, v2, 1
	v_add_co_ci_u32_e32 v38, vcc_lo, 0, v23, vcc_lo
	v_cmp_ne_u32_e32 vcc_lo, 0, v25
	s_delay_alu instid0(VALU_DEP_3) | instskip(NEXT) | instid1(VALU_DEP_3)
	v_cndmask_b32_e32 v25, v35, v26, vcc_lo
	v_cndmask_b32_e32 v22, v38, v34, vcc_lo
	v_cmp_ne_u32_e32 vcc_lo, 0, v21
                                        ; implicit-def: $vgpr38
                                        ; implicit-def: $vgpr34
	s_delay_alu instid0(VALU_DEP_2) | instskip(NEXT) | instid1(VALU_DEP_1)
	v_dual_cndmask_b32 v21, v23, v22 :: v_dual_cndmask_b32 v2, v2, v25
	v_xor_b32_e32 v22, v21, v24
	s_delay_alu instid0(VALU_DEP_2) | instskip(NEXT) | instid1(VALU_DEP_1)
	v_xor_b32_e32 v2, v2, v24
	v_sub_co_u32 v21, vcc_lo, v2, v24
	s_delay_alu instid0(VALU_DEP_3)
	v_sub_co_ci_u32_e32 v22, vcc_lo, v22, v24, vcc_lo
.LBB15_53:                              ;   in Loop: Header=BB15_3 Depth=1
	s_and_not1_saveexec_b32 s0, s80
	s_cbranch_execz .LBB15_55
; %bb.54:                               ;   in Loop: Header=BB15_3 Depth=1
	v_rcp_iflag_f32_e32 v2, v38
	s_sub_i32 s64, 0, s62
	s_waitcnt_depctr 0xfff
	v_mul_f32_e32 v2, 0x4f7ffffe, v2
	s_delay_alu instid0(VALU_DEP_1) | instskip(NEXT) | instid1(VALU_DEP_1)
	v_cvt_u32_f32_e32 v2, v2
	v_mul_lo_u32 v21, s64, v2
	s_delay_alu instid0(VALU_DEP_1) | instskip(NEXT) | instid1(VALU_DEP_1)
	v_mul_hi_u32 v21, v2, v21
	v_add_nc_u32_e32 v2, v2, v21
	s_delay_alu instid0(VALU_DEP_1) | instskip(NEXT) | instid1(VALU_DEP_1)
	v_mul_hi_u32 v2, v34, v2
	v_mul_lo_u32 v21, v2, s62
	v_add_nc_u32_e32 v22, 1, v2
	s_delay_alu instid0(VALU_DEP_2) | instskip(NEXT) | instid1(VALU_DEP_1)
	v_sub_nc_u32_e32 v21, v34, v21
	v_subrev_nc_u32_e32 v23, s62, v21
	v_cmp_le_u32_e32 vcc_lo, s62, v21
	s_delay_alu instid0(VALU_DEP_2) | instskip(NEXT) | instid1(VALU_DEP_1)
	v_dual_cndmask_b32 v21, v21, v23 :: v_dual_cndmask_b32 v2, v2, v22
	v_cmp_le_u32_e32 vcc_lo, s62, v21
	s_delay_alu instid0(VALU_DEP_2) | instskip(NEXT) | instid1(VALU_DEP_1)
	v_add_nc_u32_e32 v22, 1, v2
	v_dual_cndmask_b32 v21, v2, v22 :: v_dual_mov_b32 v22, v1
.LBB15_55:                              ;   in Loop: Header=BB15_3 Depth=1
	s_or_b32 exec_lo, exec_lo, s0
	v_or_b32_e32 v2, s51, v4
                                        ; implicit-def: $vgpr23_vgpr24
	s_mov_b32 s0, exec_lo
	s_delay_alu instid0(VALU_DEP_1)
	v_cmpx_ne_u64_e32 0, v[1:2]
	s_xor_b32 s80, exec_lo, s0
	s_cbranch_execz .LBB15_57
; %bb.56:                               ;   in Loop: Header=BB15_3 Depth=1
	s_ashr_i32 s64, s51, 31
	s_delay_alu instid0(SALU_CYCLE_1) | instskip(SKIP_2) | instid1(SALU_CYCLE_1)
	s_add_u32 s66, s50, s64
	s_mov_b32 s65, s64
	s_addc_u32 s67, s51, s64
	s_xor_b64 s[66:67], s[66:67], s[64:65]
	s_delay_alu instid0(SALU_CYCLE_1) | instskip(SKIP_3) | instid1(VALU_DEP_1)
	v_cvt_f32_u32_e32 v2, s66
	v_cvt_f32_u32_e32 v23, s67
	s_sub_u32 s0, 0, s66
	s_subb_u32 s65, 0, s67
	v_fmac_f32_e32 v2, 0x4f800000, v23
	s_delay_alu instid0(VALU_DEP_1) | instskip(SKIP_2) | instid1(VALU_DEP_1)
	v_rcp_f32_e32 v2, v2
	s_waitcnt_depctr 0xfff
	v_mul_f32_e32 v2, 0x5f7ffffc, v2
	v_mul_f32_e32 v23, 0x2f800000, v2
	s_delay_alu instid0(VALU_DEP_1) | instskip(NEXT) | instid1(VALU_DEP_1)
	v_trunc_f32_e32 v23, v23
	v_fmac_f32_e32 v2, 0xcf800000, v23
	v_cvt_u32_f32_e32 v23, v23
	s_delay_alu instid0(VALU_DEP_2) | instskip(NEXT) | instid1(VALU_DEP_2)
	v_cvt_u32_f32_e32 v2, v2
	v_mul_lo_u32 v24, s0, v23
	s_delay_alu instid0(VALU_DEP_2) | instskip(SKIP_1) | instid1(VALU_DEP_2)
	v_mul_hi_u32 v25, s0, v2
	v_mul_lo_u32 v26, s65, v2
	v_add_nc_u32_e32 v24, v25, v24
	v_mul_lo_u32 v25, s0, v2
	s_delay_alu instid0(VALU_DEP_2) | instskip(NEXT) | instid1(VALU_DEP_2)
	v_add_nc_u32_e32 v24, v24, v26
	v_mul_hi_u32 v26, v2, v25
	s_delay_alu instid0(VALU_DEP_2)
	v_mul_lo_u32 v34, v2, v24
	v_mul_hi_u32 v35, v2, v24
	v_mul_hi_u32 v38, v23, v25
	v_mul_lo_u32 v25, v23, v25
	v_mul_hi_u32 v39, v23, v24
	v_mul_lo_u32 v24, v23, v24
	v_add_co_u32 v26, vcc_lo, v26, v34
	v_add_co_ci_u32_e32 v34, vcc_lo, 0, v35, vcc_lo
	s_delay_alu instid0(VALU_DEP_2) | instskip(NEXT) | instid1(VALU_DEP_2)
	v_add_co_u32 v25, vcc_lo, v26, v25
	v_add_co_ci_u32_e32 v25, vcc_lo, v34, v38, vcc_lo
	v_add_co_ci_u32_e32 v26, vcc_lo, 0, v39, vcc_lo
	s_delay_alu instid0(VALU_DEP_2) | instskip(NEXT) | instid1(VALU_DEP_2)
	v_add_co_u32 v24, vcc_lo, v25, v24
	v_add_co_ci_u32_e32 v25, vcc_lo, 0, v26, vcc_lo
	s_delay_alu instid0(VALU_DEP_2) | instskip(NEXT) | instid1(VALU_DEP_2)
	v_add_co_u32 v2, vcc_lo, v2, v24
	v_add_co_ci_u32_e32 v23, vcc_lo, v23, v25, vcc_lo
	s_delay_alu instid0(VALU_DEP_2) | instskip(SKIP_1) | instid1(VALU_DEP_3)
	v_mul_hi_u32 v24, s0, v2
	v_mul_lo_u32 v26, s65, v2
	v_mul_lo_u32 v25, s0, v23
	s_delay_alu instid0(VALU_DEP_1) | instskip(SKIP_1) | instid1(VALU_DEP_2)
	v_add_nc_u32_e32 v24, v24, v25
	v_mul_lo_u32 v25, s0, v2
	v_add_nc_u32_e32 v24, v24, v26
	s_delay_alu instid0(VALU_DEP_2) | instskip(NEXT) | instid1(VALU_DEP_2)
	v_mul_hi_u32 v26, v2, v25
	v_mul_lo_u32 v34, v2, v24
	v_mul_hi_u32 v35, v2, v24
	v_mul_hi_u32 v38, v23, v25
	v_mul_lo_u32 v25, v23, v25
	v_mul_hi_u32 v39, v23, v24
	v_mul_lo_u32 v24, v23, v24
	v_add_co_u32 v26, vcc_lo, v26, v34
	v_add_co_ci_u32_e32 v34, vcc_lo, 0, v35, vcc_lo
	s_delay_alu instid0(VALU_DEP_2) | instskip(NEXT) | instid1(VALU_DEP_2)
	v_add_co_u32 v25, vcc_lo, v26, v25
	v_add_co_ci_u32_e32 v25, vcc_lo, v34, v38, vcc_lo
	v_add_co_ci_u32_e32 v26, vcc_lo, 0, v39, vcc_lo
	v_add_co_u32 v34, vcc_lo, v3, v27
	v_add_co_ci_u32_e32 v35, vcc_lo, v4, v27, vcc_lo
	s_delay_alu instid0(VALU_DEP_4) | instskip(NEXT) | instid1(VALU_DEP_4)
	v_add_co_u32 v24, vcc_lo, v25, v24
	v_add_co_ci_u32_e32 v25, vcc_lo, 0, v26, vcc_lo
	s_delay_alu instid0(VALU_DEP_4) | instskip(NEXT) | instid1(VALU_DEP_3)
	v_xor_b32_e32 v38, v34, v27
	v_add_co_u32 v2, vcc_lo, v2, v24
	s_delay_alu instid0(VALU_DEP_3) | instskip(SKIP_1) | instid1(VALU_DEP_3)
	v_add_co_ci_u32_e32 v39, vcc_lo, v23, v25, vcc_lo
	v_xor_b32_e32 v40, v35, v27
	v_mul_hi_u32 v41, v38, v2
	s_delay_alu instid0(VALU_DEP_3) | instskip(NEXT) | instid1(VALU_DEP_3)
	v_mad_u64_u32 v[23:24], null, v38, v39, 0
	v_mad_u64_u32 v[25:26], null, v40, v2, 0
	;; [unrolled: 1-line block ×3, first 2 shown]
	s_delay_alu instid0(VALU_DEP_3) | instskip(NEXT) | instid1(VALU_DEP_4)
	v_add_co_u32 v2, vcc_lo, v41, v23
	v_add_co_ci_u32_e32 v23, vcc_lo, 0, v24, vcc_lo
	s_delay_alu instid0(VALU_DEP_2) | instskip(NEXT) | instid1(VALU_DEP_2)
	v_add_co_u32 v2, vcc_lo, v2, v25
	v_add_co_ci_u32_e32 v2, vcc_lo, v23, v26, vcc_lo
	v_add_co_ci_u32_e32 v23, vcc_lo, 0, v35, vcc_lo
	s_delay_alu instid0(VALU_DEP_2) | instskip(NEXT) | instid1(VALU_DEP_2)
	v_add_co_u32 v2, vcc_lo, v2, v34
	v_add_co_ci_u32_e32 v25, vcc_lo, 0, v23, vcc_lo
	s_delay_alu instid0(VALU_DEP_2) | instskip(SKIP_1) | instid1(VALU_DEP_3)
	v_mul_lo_u32 v26, s67, v2
	v_mad_u64_u32 v[23:24], null, s66, v2, 0
	v_mul_lo_u32 v34, s66, v25
	s_delay_alu instid0(VALU_DEP_2) | instskip(NEXT) | instid1(VALU_DEP_2)
	v_sub_co_u32 v23, vcc_lo, v38, v23
	v_add3_u32 v24, v24, v34, v26
	s_delay_alu instid0(VALU_DEP_1) | instskip(NEXT) | instid1(VALU_DEP_1)
	v_sub_nc_u32_e32 v26, v40, v24
	v_subrev_co_ci_u32_e64 v26, s0, s67, v26, vcc_lo
	v_add_co_u32 v34, s0, v2, 2
	s_delay_alu instid0(VALU_DEP_1) | instskip(SKIP_3) | instid1(VALU_DEP_3)
	v_add_co_ci_u32_e64 v35, s0, 0, v25, s0
	v_sub_co_u32 v38, s0, v23, s66
	v_sub_co_ci_u32_e32 v24, vcc_lo, v40, v24, vcc_lo
	v_subrev_co_ci_u32_e64 v26, s0, 0, v26, s0
	v_cmp_le_u32_e32 vcc_lo, s66, v38
	s_delay_alu instid0(VALU_DEP_3) | instskip(SKIP_1) | instid1(VALU_DEP_4)
	v_cmp_eq_u32_e64 s0, s67, v24
	v_cndmask_b32_e64 v38, 0, -1, vcc_lo
	v_cmp_le_u32_e32 vcc_lo, s67, v26
	v_cndmask_b32_e64 v39, 0, -1, vcc_lo
	v_cmp_le_u32_e32 vcc_lo, s66, v23
	;; [unrolled: 2-line block ×3, first 2 shown]
	v_cndmask_b32_e64 v40, 0, -1, vcc_lo
	v_cmp_eq_u32_e32 vcc_lo, s67, v26
	s_delay_alu instid0(VALU_DEP_2) | instskip(SKIP_3) | instid1(VALU_DEP_3)
	v_cndmask_b32_e64 v23, v40, v23, s0
	v_cndmask_b32_e32 v26, v39, v38, vcc_lo
	v_add_co_u32 v38, vcc_lo, v2, 1
	v_add_co_ci_u32_e32 v39, vcc_lo, 0, v25, vcc_lo
	v_cmp_ne_u32_e32 vcc_lo, 0, v26
	s_delay_alu instid0(VALU_DEP_2) | instskip(NEXT) | instid1(VALU_DEP_4)
	v_cndmask_b32_e32 v24, v39, v35, vcc_lo
	v_cndmask_b32_e32 v26, v38, v34, vcc_lo
	v_cmp_ne_u32_e32 vcc_lo, 0, v23
	v_xor_b32_e32 v34, s64, v27
	s_delay_alu instid0(VALU_DEP_3) | instskip(NEXT) | instid1(VALU_DEP_1)
	v_dual_cndmask_b32 v2, v2, v26 :: v_dual_cndmask_b32 v23, v25, v24
	v_xor_b32_e32 v2, v2, v34
	s_delay_alu instid0(VALU_DEP_2) | instskip(NEXT) | instid1(VALU_DEP_2)
	v_xor_b32_e32 v24, v23, v34
	v_sub_co_u32 v23, vcc_lo, v2, v34
	s_delay_alu instid0(VALU_DEP_2)
	v_sub_co_ci_u32_e32 v24, vcc_lo, v24, v34, vcc_lo
.LBB15_57:                              ;   in Loop: Header=BB15_3 Depth=1
	s_and_not1_saveexec_b32 s0, s80
	s_cbranch_execz .LBB15_59
; %bb.58:                               ;   in Loop: Header=BB15_3 Depth=1
	v_cvt_f32_u32_e32 v2, s50
	s_sub_i32 s64, 0, s50
	s_delay_alu instid0(VALU_DEP_1) | instskip(SKIP_2) | instid1(VALU_DEP_1)
	v_rcp_iflag_f32_e32 v2, v2
	s_waitcnt_depctr 0xfff
	v_mul_f32_e32 v2, 0x4f7ffffe, v2
	v_cvt_u32_f32_e32 v2, v2
	s_delay_alu instid0(VALU_DEP_1) | instskip(NEXT) | instid1(VALU_DEP_1)
	v_mul_lo_u32 v23, s64, v2
	v_mul_hi_u32 v23, v2, v23
	s_delay_alu instid0(VALU_DEP_1) | instskip(NEXT) | instid1(VALU_DEP_1)
	v_add_nc_u32_e32 v2, v2, v23
	v_mul_hi_u32 v2, v3, v2
	s_delay_alu instid0(VALU_DEP_1) | instskip(SKIP_1) | instid1(VALU_DEP_2)
	v_mul_lo_u32 v23, v2, s50
	v_add_nc_u32_e32 v24, 1, v2
	v_sub_nc_u32_e32 v23, v3, v23
	s_delay_alu instid0(VALU_DEP_1) | instskip(SKIP_1) | instid1(VALU_DEP_2)
	v_subrev_nc_u32_e32 v25, s50, v23
	v_cmp_le_u32_e32 vcc_lo, s50, v23
	v_dual_cndmask_b32 v23, v23, v25 :: v_dual_cndmask_b32 v2, v2, v24
	s_delay_alu instid0(VALU_DEP_1) | instskip(NEXT) | instid1(VALU_DEP_2)
	v_cmp_le_u32_e32 vcc_lo, s50, v23
	v_add_nc_u32_e32 v24, 1, v2
	s_delay_alu instid0(VALU_DEP_1)
	v_dual_cndmask_b32 v23, v2, v24 :: v_dual_mov_b32 v24, v1
.LBB15_59:                              ;   in Loop: Header=BB15_3 Depth=1
	s_or_b32 exec_lo, exec_lo, s0
	s_delay_alu instid0(VALU_DEP_1) | instskip(NEXT) | instid1(VALU_DEP_2)
	v_mad_u64_u32 v[25:26], null, s73, v23, v[3:4]
	v_mul_lo_u32 v2, s73, v24
	v_mul_lo_u32 v34, s74, v23
	;; [unrolled: 1-line block ×4, first 2 shown]
	s_mov_b32 s0, exec_lo
	s_delay_alu instid0(VALU_DEP_3) | instskip(SKIP_3) | instid1(VALU_DEP_4)
	v_add3_u32 v2, v34, v26, v2
	v_mad_u64_u32 v[34:35], null, v23, s16, 0
	v_mul_lo_u32 v26, v25, s19
	v_mad_u64_u32 v[23:24], null, v25, s18, 0
	v_mul_lo_u32 v2, v2, s18
	s_delay_alu instid0(VALU_DEP_4) | instskip(NEXT) | instid1(VALU_DEP_2)
	v_add3_u32 v35, v35, v39, v38
	v_add3_u32 v24, v24, v26, v2
	s_delay_alu instid0(VALU_DEP_2) | instskip(NEXT) | instid1(VALU_DEP_2)
	v_lshlrev_b64 v[25:26], 1, v[34:35]
	v_lshlrev_b64 v[23:24], 1, v[23:24]
	s_delay_alu instid0(VALU_DEP_2) | instskip(NEXT) | instid1(VALU_DEP_3)
	v_add_co_u32 v2, vcc_lo, s48, v25
	v_add_co_ci_u32_e32 v25, vcc_lo, s49, v26, vcc_lo
	s_delay_alu instid0(VALU_DEP_2) | instskip(NEXT) | instid1(VALU_DEP_2)
	v_add_co_u32 v23, vcc_lo, v2, v23
	v_add_co_ci_u32_e32 v24, vcc_lo, v25, v24, vcc_lo
	v_or_b32_e32 v2, s55, v4
	global_load_u16 v34, v[23:24], off
                                        ; implicit-def: $vgpr23_vgpr24
	v_cmpx_ne_u64_e32 0, v[1:2]
	s_xor_b32 s80, exec_lo, s0
	s_cbranch_execz .LBB15_61
; %bb.60:                               ;   in Loop: Header=BB15_3 Depth=1
	s_ashr_i32 s64, s55, 31
	s_delay_alu instid0(SALU_CYCLE_1) | instskip(SKIP_2) | instid1(SALU_CYCLE_1)
	s_add_u32 s66, s54, s64
	s_mov_b32 s65, s64
	s_addc_u32 s67, s55, s64
	s_xor_b64 s[66:67], s[66:67], s[64:65]
	s_delay_alu instid0(SALU_CYCLE_1) | instskip(SKIP_3) | instid1(VALU_DEP_1)
	v_cvt_f32_u32_e32 v2, s66
	v_cvt_f32_u32_e32 v23, s67
	s_sub_u32 s0, 0, s66
	s_subb_u32 s65, 0, s67
	v_fmac_f32_e32 v2, 0x4f800000, v23
	s_delay_alu instid0(VALU_DEP_1) | instskip(SKIP_2) | instid1(VALU_DEP_1)
	v_rcp_f32_e32 v2, v2
	s_waitcnt_depctr 0xfff
	v_mul_f32_e32 v2, 0x5f7ffffc, v2
	v_mul_f32_e32 v23, 0x2f800000, v2
	s_delay_alu instid0(VALU_DEP_1) | instskip(NEXT) | instid1(VALU_DEP_1)
	v_trunc_f32_e32 v23, v23
	v_fmac_f32_e32 v2, 0xcf800000, v23
	v_cvt_u32_f32_e32 v23, v23
	s_delay_alu instid0(VALU_DEP_2) | instskip(NEXT) | instid1(VALU_DEP_2)
	v_cvt_u32_f32_e32 v2, v2
	v_mul_lo_u32 v24, s0, v23
	s_delay_alu instid0(VALU_DEP_2) | instskip(SKIP_1) | instid1(VALU_DEP_2)
	v_mul_hi_u32 v25, s0, v2
	v_mul_lo_u32 v26, s65, v2
	v_add_nc_u32_e32 v24, v25, v24
	v_mul_lo_u32 v25, s0, v2
	s_delay_alu instid0(VALU_DEP_2) | instskip(NEXT) | instid1(VALU_DEP_2)
	v_add_nc_u32_e32 v24, v24, v26
	v_mul_hi_u32 v26, v2, v25
	s_delay_alu instid0(VALU_DEP_2)
	v_mul_lo_u32 v35, v2, v24
	v_mul_hi_u32 v38, v2, v24
	v_mul_hi_u32 v39, v23, v25
	v_mul_lo_u32 v25, v23, v25
	v_mul_hi_u32 v40, v23, v24
	v_mul_lo_u32 v24, v23, v24
	v_add_co_u32 v26, vcc_lo, v26, v35
	v_add_co_ci_u32_e32 v35, vcc_lo, 0, v38, vcc_lo
	s_delay_alu instid0(VALU_DEP_2) | instskip(NEXT) | instid1(VALU_DEP_2)
	v_add_co_u32 v25, vcc_lo, v26, v25
	v_add_co_ci_u32_e32 v25, vcc_lo, v35, v39, vcc_lo
	v_add_co_ci_u32_e32 v26, vcc_lo, 0, v40, vcc_lo
	s_delay_alu instid0(VALU_DEP_2) | instskip(NEXT) | instid1(VALU_DEP_2)
	v_add_co_u32 v24, vcc_lo, v25, v24
	v_add_co_ci_u32_e32 v25, vcc_lo, 0, v26, vcc_lo
	s_delay_alu instid0(VALU_DEP_2) | instskip(NEXT) | instid1(VALU_DEP_2)
	v_add_co_u32 v2, vcc_lo, v2, v24
	v_add_co_ci_u32_e32 v23, vcc_lo, v23, v25, vcc_lo
	s_delay_alu instid0(VALU_DEP_2) | instskip(SKIP_1) | instid1(VALU_DEP_3)
	v_mul_hi_u32 v24, s0, v2
	v_mul_lo_u32 v26, s65, v2
	v_mul_lo_u32 v25, s0, v23
	s_delay_alu instid0(VALU_DEP_1) | instskip(SKIP_1) | instid1(VALU_DEP_2)
	v_add_nc_u32_e32 v24, v24, v25
	v_mul_lo_u32 v25, s0, v2
	v_add_nc_u32_e32 v24, v24, v26
	s_delay_alu instid0(VALU_DEP_2) | instskip(NEXT) | instid1(VALU_DEP_2)
	v_mul_hi_u32 v26, v2, v25
	v_mul_lo_u32 v35, v2, v24
	v_mul_hi_u32 v38, v2, v24
	v_mul_hi_u32 v39, v23, v25
	v_mul_lo_u32 v25, v23, v25
	v_mul_hi_u32 v40, v23, v24
	v_mul_lo_u32 v24, v23, v24
	v_add_co_u32 v26, vcc_lo, v26, v35
	v_add_co_ci_u32_e32 v35, vcc_lo, 0, v38, vcc_lo
	s_delay_alu instid0(VALU_DEP_2) | instskip(NEXT) | instid1(VALU_DEP_2)
	v_add_co_u32 v25, vcc_lo, v26, v25
	v_add_co_ci_u32_e32 v25, vcc_lo, v35, v39, vcc_lo
	v_add_co_ci_u32_e32 v26, vcc_lo, 0, v40, vcc_lo
	v_add_co_u32 v35, vcc_lo, v3, v27
	v_add_co_ci_u32_e32 v38, vcc_lo, v4, v27, vcc_lo
	s_delay_alu instid0(VALU_DEP_4) | instskip(NEXT) | instid1(VALU_DEP_4)
	v_add_co_u32 v24, vcc_lo, v25, v24
	v_add_co_ci_u32_e32 v25, vcc_lo, 0, v26, vcc_lo
	s_delay_alu instid0(VALU_DEP_4) | instskip(NEXT) | instid1(VALU_DEP_3)
	v_xor_b32_e32 v35, v35, v27
	v_add_co_u32 v2, vcc_lo, v2, v24
	s_delay_alu instid0(VALU_DEP_3) | instskip(SKIP_1) | instid1(VALU_DEP_3)
	v_add_co_ci_u32_e32 v40, vcc_lo, v23, v25, vcc_lo
	v_xor_b32_e32 v41, v38, v27
	v_mul_hi_u32 v42, v35, v2
	s_delay_alu instid0(VALU_DEP_3) | instskip(NEXT) | instid1(VALU_DEP_3)
	v_mad_u64_u32 v[23:24], null, v35, v40, 0
	v_mad_u64_u32 v[25:26], null, v41, v2, 0
	;; [unrolled: 1-line block ×3, first 2 shown]
	s_delay_alu instid0(VALU_DEP_3) | instskip(NEXT) | instid1(VALU_DEP_4)
	v_add_co_u32 v2, vcc_lo, v42, v23
	v_add_co_ci_u32_e32 v23, vcc_lo, 0, v24, vcc_lo
	s_delay_alu instid0(VALU_DEP_2) | instskip(NEXT) | instid1(VALU_DEP_2)
	v_add_co_u32 v2, vcc_lo, v2, v25
	v_add_co_ci_u32_e32 v2, vcc_lo, v23, v26, vcc_lo
	v_add_co_ci_u32_e32 v23, vcc_lo, 0, v39, vcc_lo
	s_delay_alu instid0(VALU_DEP_2) | instskip(NEXT) | instid1(VALU_DEP_2)
	v_add_co_u32 v2, vcc_lo, v2, v38
	v_add_co_ci_u32_e32 v25, vcc_lo, 0, v23, vcc_lo
	s_delay_alu instid0(VALU_DEP_2) | instskip(SKIP_1) | instid1(VALU_DEP_3)
	v_mul_lo_u32 v26, s67, v2
	v_mad_u64_u32 v[23:24], null, s66, v2, 0
	v_mul_lo_u32 v38, s66, v25
	s_delay_alu instid0(VALU_DEP_2) | instskip(NEXT) | instid1(VALU_DEP_2)
	v_sub_co_u32 v23, vcc_lo, v35, v23
	v_add3_u32 v24, v24, v38, v26
	s_delay_alu instid0(VALU_DEP_1) | instskip(NEXT) | instid1(VALU_DEP_1)
	v_sub_nc_u32_e32 v26, v41, v24
	v_subrev_co_ci_u32_e64 v26, s0, s67, v26, vcc_lo
	v_add_co_u32 v35, s0, v2, 2
	s_delay_alu instid0(VALU_DEP_1) | instskip(SKIP_3) | instid1(VALU_DEP_3)
	v_add_co_ci_u32_e64 v38, s0, 0, v25, s0
	v_sub_co_u32 v39, s0, v23, s66
	v_sub_co_ci_u32_e32 v24, vcc_lo, v41, v24, vcc_lo
	v_subrev_co_ci_u32_e64 v26, s0, 0, v26, s0
	v_cmp_le_u32_e32 vcc_lo, s66, v39
	s_delay_alu instid0(VALU_DEP_3) | instskip(SKIP_1) | instid1(VALU_DEP_4)
	v_cmp_eq_u32_e64 s0, s67, v24
	v_cndmask_b32_e64 v39, 0, -1, vcc_lo
	v_cmp_le_u32_e32 vcc_lo, s67, v26
	v_cndmask_b32_e64 v40, 0, -1, vcc_lo
	v_cmp_le_u32_e32 vcc_lo, s66, v23
	;; [unrolled: 2-line block ×3, first 2 shown]
	v_cndmask_b32_e64 v41, 0, -1, vcc_lo
	v_cmp_eq_u32_e32 vcc_lo, s67, v26
	s_delay_alu instid0(VALU_DEP_2) | instskip(SKIP_3) | instid1(VALU_DEP_3)
	v_cndmask_b32_e64 v23, v41, v23, s0
	v_cndmask_b32_e32 v26, v40, v39, vcc_lo
	v_add_co_u32 v39, vcc_lo, v2, 1
	v_add_co_ci_u32_e32 v40, vcc_lo, 0, v25, vcc_lo
	v_cmp_ne_u32_e32 vcc_lo, 0, v26
	s_delay_alu instid0(VALU_DEP_2) | instskip(NEXT) | instid1(VALU_DEP_4)
	v_cndmask_b32_e32 v24, v40, v38, vcc_lo
	v_cndmask_b32_e32 v26, v39, v35, vcc_lo
	v_cmp_ne_u32_e32 vcc_lo, 0, v23
	v_xor_b32_e32 v35, s64, v27
	s_delay_alu instid0(VALU_DEP_3) | instskip(NEXT) | instid1(VALU_DEP_1)
	v_dual_cndmask_b32 v2, v2, v26 :: v_dual_cndmask_b32 v23, v25, v24
	v_xor_b32_e32 v2, v2, v35
	s_delay_alu instid0(VALU_DEP_2) | instskip(NEXT) | instid1(VALU_DEP_2)
	v_xor_b32_e32 v24, v23, v35
	v_sub_co_u32 v23, vcc_lo, v2, v35
	s_delay_alu instid0(VALU_DEP_2)
	v_sub_co_ci_u32_e32 v24, vcc_lo, v24, v35, vcc_lo
.LBB15_61:                              ;   in Loop: Header=BB15_3 Depth=1
	s_and_not1_saveexec_b32 s0, s80
	s_cbranch_execz .LBB15_63
; %bb.62:                               ;   in Loop: Header=BB15_3 Depth=1
	v_cvt_f32_u32_e32 v2, s54
	s_sub_i32 s64, 0, s54
	s_delay_alu instid0(VALU_DEP_1) | instskip(SKIP_2) | instid1(VALU_DEP_1)
	v_rcp_iflag_f32_e32 v2, v2
	s_waitcnt_depctr 0xfff
	v_mul_f32_e32 v2, 0x4f7ffffe, v2
	v_cvt_u32_f32_e32 v2, v2
	s_delay_alu instid0(VALU_DEP_1) | instskip(NEXT) | instid1(VALU_DEP_1)
	v_mul_lo_u32 v23, s64, v2
	v_mul_hi_u32 v23, v2, v23
	s_delay_alu instid0(VALU_DEP_1) | instskip(NEXT) | instid1(VALU_DEP_1)
	v_add_nc_u32_e32 v2, v2, v23
	v_mul_hi_u32 v2, v3, v2
	s_delay_alu instid0(VALU_DEP_1) | instskip(SKIP_1) | instid1(VALU_DEP_2)
	v_mul_lo_u32 v23, v2, s54
	v_add_nc_u32_e32 v24, 1, v2
	v_sub_nc_u32_e32 v23, v3, v23
	s_delay_alu instid0(VALU_DEP_1) | instskip(SKIP_1) | instid1(VALU_DEP_2)
	v_subrev_nc_u32_e32 v25, s54, v23
	v_cmp_le_u32_e32 vcc_lo, s54, v23
	v_dual_cndmask_b32 v23, v23, v25 :: v_dual_cndmask_b32 v2, v2, v24
	s_delay_alu instid0(VALU_DEP_1) | instskip(NEXT) | instid1(VALU_DEP_2)
	v_cmp_le_u32_e32 vcc_lo, s54, v23
	v_add_nc_u32_e32 v24, 1, v2
	s_delay_alu instid0(VALU_DEP_1)
	v_dual_cndmask_b32 v23, v2, v24 :: v_dual_mov_b32 v24, v1
.LBB15_63:                              ;   in Loop: Header=BB15_3 Depth=1
	s_or_b32 exec_lo, exec_lo, s0
	v_or_b32_e32 v2, s59, v4
                                        ; implicit-def: $vgpr25_vgpr26
	s_mov_b32 s0, exec_lo
	s_delay_alu instid0(VALU_DEP_1)
	v_cmpx_ne_u64_e32 0, v[1:2]
	s_xor_b32 s80, exec_lo, s0
	s_cbranch_execz .LBB15_65
; %bb.64:                               ;   in Loop: Header=BB15_3 Depth=1
	s_ashr_i32 s64, s59, 31
	s_delay_alu instid0(SALU_CYCLE_1) | instskip(SKIP_2) | instid1(SALU_CYCLE_1)
	s_add_u32 s66, s58, s64
	s_mov_b32 s65, s64
	s_addc_u32 s67, s59, s64
	s_xor_b64 s[66:67], s[66:67], s[64:65]
	s_delay_alu instid0(SALU_CYCLE_1) | instskip(SKIP_3) | instid1(VALU_DEP_1)
	v_cvt_f32_u32_e32 v2, s66
	v_cvt_f32_u32_e32 v25, s67
	s_sub_u32 s0, 0, s66
	s_subb_u32 s65, 0, s67
	v_fmac_f32_e32 v2, 0x4f800000, v25
	s_delay_alu instid0(VALU_DEP_1) | instskip(SKIP_2) | instid1(VALU_DEP_1)
	v_rcp_f32_e32 v2, v2
	s_waitcnt_depctr 0xfff
	v_mul_f32_e32 v2, 0x5f7ffffc, v2
	v_mul_f32_e32 v25, 0x2f800000, v2
	s_delay_alu instid0(VALU_DEP_1) | instskip(NEXT) | instid1(VALU_DEP_1)
	v_trunc_f32_e32 v25, v25
	v_fmac_f32_e32 v2, 0xcf800000, v25
	v_cvt_u32_f32_e32 v25, v25
	s_delay_alu instid0(VALU_DEP_2) | instskip(NEXT) | instid1(VALU_DEP_2)
	v_cvt_u32_f32_e32 v2, v2
	v_mul_lo_u32 v26, s0, v25
	s_delay_alu instid0(VALU_DEP_2) | instskip(SKIP_1) | instid1(VALU_DEP_2)
	v_mul_hi_u32 v35, s0, v2
	v_mul_lo_u32 v38, s65, v2
	v_add_nc_u32_e32 v26, v35, v26
	v_mul_lo_u32 v35, s0, v2
	s_delay_alu instid0(VALU_DEP_2) | instskip(NEXT) | instid1(VALU_DEP_2)
	v_add_nc_u32_e32 v26, v26, v38
	v_mul_hi_u32 v38, v2, v35
	s_delay_alu instid0(VALU_DEP_2)
	v_mul_lo_u32 v39, v2, v26
	v_mul_hi_u32 v40, v2, v26
	v_mul_hi_u32 v41, v25, v35
	v_mul_lo_u32 v35, v25, v35
	v_mul_hi_u32 v42, v25, v26
	v_mul_lo_u32 v26, v25, v26
	v_add_co_u32 v38, vcc_lo, v38, v39
	v_add_co_ci_u32_e32 v39, vcc_lo, 0, v40, vcc_lo
	s_delay_alu instid0(VALU_DEP_2) | instskip(NEXT) | instid1(VALU_DEP_2)
	v_add_co_u32 v35, vcc_lo, v38, v35
	v_add_co_ci_u32_e32 v35, vcc_lo, v39, v41, vcc_lo
	v_add_co_ci_u32_e32 v38, vcc_lo, 0, v42, vcc_lo
	s_delay_alu instid0(VALU_DEP_2) | instskip(NEXT) | instid1(VALU_DEP_2)
	v_add_co_u32 v26, vcc_lo, v35, v26
	v_add_co_ci_u32_e32 v35, vcc_lo, 0, v38, vcc_lo
	s_delay_alu instid0(VALU_DEP_2) | instskip(NEXT) | instid1(VALU_DEP_2)
	v_add_co_u32 v2, vcc_lo, v2, v26
	v_add_co_ci_u32_e32 v25, vcc_lo, v25, v35, vcc_lo
	s_delay_alu instid0(VALU_DEP_2) | instskip(SKIP_1) | instid1(VALU_DEP_3)
	v_mul_hi_u32 v26, s0, v2
	v_mul_lo_u32 v38, s65, v2
	v_mul_lo_u32 v35, s0, v25
	s_delay_alu instid0(VALU_DEP_1) | instskip(SKIP_1) | instid1(VALU_DEP_2)
	v_add_nc_u32_e32 v26, v26, v35
	v_mul_lo_u32 v35, s0, v2
	v_add_nc_u32_e32 v26, v26, v38
	s_delay_alu instid0(VALU_DEP_2) | instskip(NEXT) | instid1(VALU_DEP_2)
	v_mul_hi_u32 v38, v2, v35
	v_mul_lo_u32 v39, v2, v26
	v_mul_hi_u32 v40, v2, v26
	v_mul_hi_u32 v41, v25, v35
	v_mul_lo_u32 v35, v25, v35
	v_mul_hi_u32 v42, v25, v26
	v_mul_lo_u32 v26, v25, v26
	v_add_co_u32 v38, vcc_lo, v38, v39
	v_add_co_ci_u32_e32 v39, vcc_lo, 0, v40, vcc_lo
	s_delay_alu instid0(VALU_DEP_2) | instskip(NEXT) | instid1(VALU_DEP_2)
	v_add_co_u32 v35, vcc_lo, v38, v35
	v_add_co_ci_u32_e32 v35, vcc_lo, v39, v41, vcc_lo
	v_add_co_ci_u32_e32 v38, vcc_lo, 0, v42, vcc_lo
	v_add_co_u32 v39, vcc_lo, v3, v27
	v_add_co_ci_u32_e32 v40, vcc_lo, v4, v27, vcc_lo
	s_delay_alu instid0(VALU_DEP_4) | instskip(NEXT) | instid1(VALU_DEP_4)
	v_add_co_u32 v26, vcc_lo, v35, v26
	v_add_co_ci_u32_e32 v35, vcc_lo, 0, v38, vcc_lo
	s_delay_alu instid0(VALU_DEP_4) | instskip(NEXT) | instid1(VALU_DEP_3)
	v_xor_b32_e32 v42, v39, v27
	v_add_co_u32 v2, vcc_lo, v2, v26
	s_delay_alu instid0(VALU_DEP_3) | instskip(SKIP_1) | instid1(VALU_DEP_3)
	v_add_co_ci_u32_e32 v35, vcc_lo, v25, v35, vcc_lo
	v_xor_b32_e32 v43, v40, v27
	v_mul_hi_u32 v44, v42, v2
	v_xor_b32_e32 v27, s64, v27
	s_delay_alu instid0(VALU_DEP_4) | instskip(NEXT) | instid1(VALU_DEP_4)
	v_mad_u64_u32 v[25:26], null, v42, v35, 0
	v_mad_u64_u32 v[38:39], null, v43, v2, 0
	v_mad_u64_u32 v[40:41], null, v43, v35, 0
	s_delay_alu instid0(VALU_DEP_3) | instskip(NEXT) | instid1(VALU_DEP_4)
	v_add_co_u32 v2, vcc_lo, v44, v25
	v_add_co_ci_u32_e32 v25, vcc_lo, 0, v26, vcc_lo
	s_delay_alu instid0(VALU_DEP_2) | instskip(NEXT) | instid1(VALU_DEP_2)
	v_add_co_u32 v2, vcc_lo, v2, v38
	v_add_co_ci_u32_e32 v2, vcc_lo, v25, v39, vcc_lo
	v_add_co_ci_u32_e32 v25, vcc_lo, 0, v41, vcc_lo
	s_delay_alu instid0(VALU_DEP_2) | instskip(NEXT) | instid1(VALU_DEP_2)
	v_add_co_u32 v2, vcc_lo, v2, v40
	v_add_co_ci_u32_e32 v35, vcc_lo, 0, v25, vcc_lo
	s_delay_alu instid0(VALU_DEP_2) | instskip(SKIP_1) | instid1(VALU_DEP_3)
	v_mul_lo_u32 v38, s67, v2
	v_mad_u64_u32 v[25:26], null, s66, v2, 0
	v_mul_lo_u32 v39, s66, v35
	s_delay_alu instid0(VALU_DEP_2) | instskip(NEXT) | instid1(VALU_DEP_2)
	v_sub_co_u32 v25, vcc_lo, v42, v25
	v_add3_u32 v26, v26, v39, v38
	s_delay_alu instid0(VALU_DEP_1) | instskip(NEXT) | instid1(VALU_DEP_1)
	v_sub_nc_u32_e32 v38, v43, v26
	v_subrev_co_ci_u32_e64 v38, s0, s67, v38, vcc_lo
	v_add_co_u32 v39, s0, v2, 2
	s_delay_alu instid0(VALU_DEP_1) | instskip(SKIP_3) | instid1(VALU_DEP_3)
	v_add_co_ci_u32_e64 v40, s0, 0, v35, s0
	v_sub_co_u32 v41, s0, v25, s66
	v_sub_co_ci_u32_e32 v26, vcc_lo, v43, v26, vcc_lo
	v_subrev_co_ci_u32_e64 v38, s0, 0, v38, s0
	v_cmp_le_u32_e32 vcc_lo, s66, v41
	s_delay_alu instid0(VALU_DEP_3) | instskip(SKIP_1) | instid1(VALU_DEP_4)
	v_cmp_eq_u32_e64 s0, s67, v26
	v_cndmask_b32_e64 v41, 0, -1, vcc_lo
	v_cmp_le_u32_e32 vcc_lo, s67, v38
	v_cndmask_b32_e64 v42, 0, -1, vcc_lo
	v_cmp_le_u32_e32 vcc_lo, s66, v25
	;; [unrolled: 2-line block ×3, first 2 shown]
	v_cndmask_b32_e64 v43, 0, -1, vcc_lo
	v_cmp_eq_u32_e32 vcc_lo, s67, v38
	s_delay_alu instid0(VALU_DEP_2) | instskip(SKIP_3) | instid1(VALU_DEP_3)
	v_cndmask_b32_e64 v25, v43, v25, s0
	v_cndmask_b32_e32 v38, v42, v41, vcc_lo
	v_add_co_u32 v41, vcc_lo, v2, 1
	v_add_co_ci_u32_e32 v42, vcc_lo, 0, v35, vcc_lo
	v_cmp_ne_u32_e32 vcc_lo, 0, v38
	s_delay_alu instid0(VALU_DEP_2) | instskip(NEXT) | instid1(VALU_DEP_4)
	v_cndmask_b32_e32 v26, v42, v40, vcc_lo
	v_cndmask_b32_e32 v38, v41, v39, vcc_lo
	v_cmp_ne_u32_e32 vcc_lo, 0, v25
	s_delay_alu instid0(VALU_DEP_2) | instskip(NEXT) | instid1(VALU_DEP_4)
	v_cndmask_b32_e32 v2, v2, v38, vcc_lo
	v_cndmask_b32_e32 v25, v35, v26, vcc_lo
	s_delay_alu instid0(VALU_DEP_2) | instskip(NEXT) | instid1(VALU_DEP_2)
	v_xor_b32_e32 v2, v2, v27
	v_xor_b32_e32 v26, v25, v27
	s_delay_alu instid0(VALU_DEP_2) | instskip(NEXT) | instid1(VALU_DEP_2)
	v_sub_co_u32 v25, vcc_lo, v2, v27
	v_sub_co_ci_u32_e32 v26, vcc_lo, v26, v27, vcc_lo
.LBB15_65:                              ;   in Loop: Header=BB15_3 Depth=1
	s_and_not1_saveexec_b32 s0, s80
	s_cbranch_execz .LBB15_67
; %bb.66:                               ;   in Loop: Header=BB15_3 Depth=1
	v_cvt_f32_u32_e32 v2, s58
	s_sub_i32 s64, 0, s58
	s_delay_alu instid0(VALU_DEP_1) | instskip(SKIP_2) | instid1(VALU_DEP_1)
	v_rcp_iflag_f32_e32 v2, v2
	s_waitcnt_depctr 0xfff
	v_mul_f32_e32 v2, 0x4f7ffffe, v2
	v_cvt_u32_f32_e32 v2, v2
	s_delay_alu instid0(VALU_DEP_1) | instskip(NEXT) | instid1(VALU_DEP_1)
	v_mul_lo_u32 v25, s64, v2
	v_mul_hi_u32 v25, v2, v25
	s_delay_alu instid0(VALU_DEP_1) | instskip(NEXT) | instid1(VALU_DEP_1)
	v_add_nc_u32_e32 v2, v2, v25
	v_mul_hi_u32 v2, v3, v2
	s_delay_alu instid0(VALU_DEP_1) | instskip(SKIP_1) | instid1(VALU_DEP_2)
	v_mul_lo_u32 v25, v2, s58
	v_add_nc_u32_e32 v26, 1, v2
	v_sub_nc_u32_e32 v25, v3, v25
	s_delay_alu instid0(VALU_DEP_1) | instskip(SKIP_1) | instid1(VALU_DEP_2)
	v_subrev_nc_u32_e32 v27, s58, v25
	v_cmp_le_u32_e32 vcc_lo, s58, v25
	v_dual_cndmask_b32 v25, v25, v27 :: v_dual_cndmask_b32 v2, v2, v26
	s_delay_alu instid0(VALU_DEP_1) | instskip(NEXT) | instid1(VALU_DEP_2)
	v_cmp_le_u32_e32 vcc_lo, s58, v25
	v_add_nc_u32_e32 v26, 1, v2
	s_delay_alu instid0(VALU_DEP_1)
	v_dual_cndmask_b32 v25, v2, v26 :: v_dual_mov_b32 v26, v1
.LBB15_67:                              ;   in Loop: Header=BB15_3 Depth=1
	s_or_b32 exec_lo, exec_lo, s0
	v_dual_mov_b32 v35, 0 :: v_dual_mov_b32 v2, 0
	v_dual_mov_b32 v27, 0 :: v_dual_mov_b32 v38, 0
	;; [unrolled: 1-line block ×4, first 2 shown]
	s_and_not1_b32 vcc_lo, exec_lo, s1
	s_cbranch_vccnz .LBB15_69
; %bb.68:                               ;   in Loop: Header=BB15_3 Depth=1
	v_sub_co_u32 v2, vcc_lo, 1, v9
	v_sub_co_ci_u32_e32 v27, vcc_lo, 0, v10, vcc_lo
	v_mad_u64_u32 v[38:39], null, s71, v9, v[3:4]
	v_mul_lo_u32 v35, s71, v10
	v_mul_lo_u32 v42, s72, v9
	s_delay_alu instid0(VALU_DEP_4) | instskip(SKIP_2) | instid1(VALU_DEP_4)
	v_mul_lo_u32 v27, s4, v27
	v_mul_lo_u32 v43, s5, v2
	v_mad_u64_u32 v[40:41], null, s4, v2, v[3:4]
	v_add3_u32 v2, v42, v39, v35
	v_sub_co_u32 v39, vcc_lo, 2, v9
	s_delay_alu instid0(VALU_DEP_3) | instskip(SKIP_1) | instid1(VALU_DEP_3)
	v_add3_u32 v27, v43, v41, v27
	v_sub_co_ci_u32_e32 v43, vcc_lo, 0, v10, vcc_lo
	v_mul_lo_u32 v46, s5, v39
	v_mul_lo_u32 v35, v38, s43
	;; [unrolled: 1-line block ×3, first 2 shown]
	s_delay_alu instid0(VALU_DEP_4) | instskip(SKIP_4) | instid1(VALU_DEP_4)
	v_mul_lo_u32 v45, s4, v43
	v_mad_u64_u32 v[43:44], null, s4, v39, v[3:4]
	v_sub_co_u32 v39, vcc_lo, 3, v9
	v_sub_co_ci_u32_e32 v47, vcc_lo, 0, v10, vcc_lo
	v_mad_u64_u32 v[41:42], null, v38, s42, 0
	v_add3_u32 v51, v46, v44, v45
	s_delay_alu instid0(VALU_DEP_3)
	v_mul_lo_u32 v52, s4, v47
	v_mul_lo_u32 v53, s5, v39
	v_mad_u64_u32 v[44:45], null, s4, v39, v[3:4]
	v_mul_lo_u32 v49, v27, s42
	v_mul_lo_u32 v50, v40, s43
	v_mad_u64_u32 v[9:10], null, v40, s42, 0
	;; [unrolled: 3-line block ×3, first 2 shown]
	v_add3_u32 v42, v42, v35, v48
	v_add3_u32 v35, v53, v45, v52
	;; [unrolled: 1-line block ×3, first 2 shown]
	v_mul_lo_u32 v50, v44, s43
	v_mad_u64_u32 v[48:49], null, v44, s42, 0
	v_add3_u32 v47, v47, v54, v39
	v_mul_lo_u32 v39, v35, s42
	v_mul_lo_u32 v52, v38, s47
	;; [unrolled: 1-line block ×3, first 2 shown]
	v_lshlrev_b64 v[41:42], 1, v[41:42]
	v_lshlrev_b64 v[45:46], 1, v[46:47]
	v_mul_lo_u32 v27, v27, s46
	v_mul_lo_u32 v53, v40, s47
	v_lshlrev_b64 v[9:10], 1, v[9:10]
	v_add3_u32 v49, v49, v50, v39
	v_add_co_u32 v41, vcc_lo, s38, v41
	v_add_co_ci_u32_e32 v42, vcc_lo, s39, v42, vcc_lo
	s_delay_alu instid0(VALU_DEP_3)
	v_lshlrev_b64 v[47:48], 1, v[48:49]
	v_mad_u64_u32 v[49:50], null, v38, s46, 0
	v_mad_u64_u32 v[38:39], null, v40, s46, 0
	v_mul_lo_u32 v40, v43, s47
	v_add_co_u32 v9, vcc_lo, s38, v9
	v_add_co_ci_u32_e32 v10, vcc_lo, s39, v10, vcc_lo
	v_add3_u32 v50, v50, v52, v2
	v_mul_lo_u32 v2, v51, s46
	v_mad_u64_u32 v[51:52], null, v43, s46, 0
	v_add3_u32 v39, v39, v53, v27
	v_mul_lo_u32 v27, v35, s46
	v_mul_lo_u32 v35, v44, s47
	v_mad_u64_u32 v[53:54], null, v44, s46, 0
	v_add_co_u32 v45, vcc_lo, s38, v45
	v_lshlrev_b64 v[49:50], 1, v[49:50]
	v_add_co_ci_u32_e32 v46, vcc_lo, s39, v46, vcc_lo
	v_add_co_u32 v47, vcc_lo, s38, v47
	v_lshlrev_b64 v[38:39], 1, v[38:39]
	v_add3_u32 v52, v52, v40, v2
	v_add_co_ci_u32_e32 v48, vcc_lo, s39, v48, vcc_lo
	v_add_co_u32 v43, vcc_lo, s44, v49
	v_add3_u32 v54, v54, v35, v27
	v_add_co_ci_u32_e32 v44, vcc_lo, s45, v50, vcc_lo
	v_lshlrev_b64 v[49:50], 1, v[51:52]
	v_add_co_u32 v51, vcc_lo, s44, v38
	v_add_co_ci_u32_e32 v52, vcc_lo, s45, v39, vcc_lo
	v_lshlrev_b64 v[38:39], 1, v[53:54]
	s_delay_alu instid0(VALU_DEP_4) | instskip(SKIP_1) | instid1(VALU_DEP_3)
	v_add_co_u32 v49, vcc_lo, s44, v49
	v_add_co_ci_u32_e32 v50, vcc_lo, s45, v50, vcc_lo
	v_add_co_u32 v53, vcc_lo, s44, v38
	s_delay_alu instid0(VALU_DEP_4)
	v_add_co_ci_u32_e32 v54, vcc_lo, s45, v39, vcc_lo
	s_clause 0x3
	global_load_u16 v41, v[41:42], off
	global_load_u16 v40, v[9:10], off
	;; [unrolled: 1-line block ×4, first 2 shown]
	s_clause 0x3
	global_load_u16 v39, v[43:44], off
	global_load_u16 v27, v[51:52], off
	;; [unrolled: 1-line block ×4, first 2 shown]
.LBB15_69:                              ;   in Loop: Header=BB15_3 Depth=1
	s_waitcnt vmcnt(6)
	v_lshlrev_b32_e32 v9, 16, v30
	s_waitcnt vmcnt(5)
	v_lshlrev_b32_e32 v30, 16, v42
	s_waitcnt vmcnt(2)
	v_lshlrev_b32_e32 v10, 16, v36
	s_waitcnt vmcnt(1)
	v_lshlrev_b32_e32 v2, 16, v2
	s_delay_alu instid0(VALU_DEP_2) | instskip(NEXT) | instid1(VALU_DEP_1)
	v_add_f32_e32 v9, v9, v10
	v_add_f32_e32 v9, v9, v30
	s_delay_alu instid0(VALU_DEP_1) | instskip(NEXT) | instid1(VALU_DEP_1)
	v_add_f32_e32 v2, v9, v2
                                        ; implicit-def: $vgpr9
	v_cmp_ngt_f32_e64 s0, 0x3f200000, |v2|
	s_delay_alu instid0(VALU_DEP_1) | instskip(NEXT) | instid1(SALU_CYCLE_1)
	s_and_saveexec_b32 s64, s0
	s_xor_b32 s0, exec_lo, s64
	s_cbranch_execz .LBB15_71
; %bb.70:                               ;   in Loop: Header=BB15_3 Depth=1
	v_add_f32_e64 v9, |v2|, |v2|
	s_delay_alu instid0(VALU_DEP_1) | instskip(SKIP_1) | instid1(VALU_DEP_2)
	v_mul_f32_e32 v10, 0x3fb8aa3b, v9
	v_cmp_ngt_f32_e32 vcc_lo, 0xc2ce8ed0, v9
	v_rndne_f32_e32 v30, v10
	v_fma_f32 v36, 0x3fb8aa3b, v9, -v10
	s_delay_alu instid0(VALU_DEP_2) | instskip(NEXT) | instid1(VALU_DEP_2)
	v_sub_f32_e32 v10, v10, v30
	v_fmac_f32_e32 v36, 0x32a5705f, v9
	v_cvt_i32_f32_e32 v30, v30
	s_delay_alu instid0(VALU_DEP_2) | instskip(NEXT) | instid1(VALU_DEP_1)
	v_add_f32_e32 v10, v10, v36
	v_exp_f32_e32 v10, v10
	s_waitcnt_depctr 0xfff
	v_ldexp_f32 v10, v10, v30
	s_delay_alu instid0(VALU_DEP_1) | instskip(SKIP_1) | instid1(VALU_DEP_2)
	v_cndmask_b32_e32 v10, 0, v10, vcc_lo
	v_cmp_nlt_f32_e32 vcc_lo, 0x42b17218, v9
	v_cndmask_b32_e32 v9, 0x7f800000, v10, vcc_lo
	s_delay_alu instid0(VALU_DEP_1) | instskip(NEXT) | instid1(VALU_DEP_1)
	v_add_f32_e32 v9, 1.0, v9
	v_rcp_f32_e32 v9, v9
	s_waitcnt_depctr 0xfff
	v_fma_f32 v9, v9, -2.0, 1.0
.LBB15_71:                              ;   in Loop: Header=BB15_3 Depth=1
	s_and_not1_saveexec_b32 s0, s0
; %bb.72:                               ;   in Loop: Header=BB15_3 Depth=1
	v_mul_f32_e32 v9, v2, v2
	s_delay_alu instid0(VALU_DEP_1) | instskip(NEXT) | instid1(VALU_DEP_1)
	v_fmaak_f32 v10, s79, v9, 0x3ca908c9
	v_fmaak_f32 v10, v9, v10, 0xbd5c1c4e
	s_delay_alu instid0(VALU_DEP_1) | instskip(NEXT) | instid1(VALU_DEP_1)
	v_fmaak_f32 v10, v9, v10, 0x3e088382
	v_fmaak_f32 v10, v9, v10, 0xbeaaaa99
	s_delay_alu instid0(VALU_DEP_1) | instskip(NEXT) | instid1(VALU_DEP_1)
	v_mul_f32_e64 v10, |v2|, v10
	v_fma_f32 v9, v9, v10, |v2|
; %bb.73:                               ;   in Loop: Header=BB15_3 Depth=1
	s_or_b32 exec_lo, exec_lo, s0
	v_lshlrev_b32_e32 v29, 16, v29
	v_lshlrev_b32_e32 v27, 16, v27
	;; [unrolled: 1-line block ×5, first 2 shown]
	v_bfi_b32 v2, 0x7fffffff, v9, v2
	s_delay_alu instid0(VALU_DEP_2) | instskip(SKIP_1) | instid1(VALU_DEP_1)
	v_dual_add_f32 v29, v29, v30 :: v_dual_add_f32 v10, v10, v28
	v_lshlrev_b32_e32 v28, 16, v40
	v_add_f32_e32 v28, v29, v28
	s_delay_alu instid0(VALU_DEP_1) | instskip(NEXT) | instid1(VALU_DEP_1)
	v_add_f32_e32 v27, v28, v27
	v_mul_f32_e32 v29, 0xbfb8aa3b, v27
	s_delay_alu instid0(VALU_DEP_1) | instskip(SKIP_3) | instid1(VALU_DEP_3)
	v_fma_f32 v33, 0xbfb8aa3b, v27, -v29
	v_lshlrev_b32_e32 v32, 16, v41
	v_rndne_f32_e32 v36, v29
	v_lshlrev_b32_e32 v30, 16, v39
	v_dual_fmac_f32 v33, 0xb2a5705f, v27 :: v_dual_add_f32 v10, v10, v32
	s_delay_alu instid0(VALU_DEP_1) | instskip(NEXT) | instid1(VALU_DEP_1)
	v_dual_sub_f32 v29, v29, v36 :: v_dual_add_f32 v10, v10, v30
	v_dual_add_f32 v29, v29, v33 :: v_dual_mul_f32 v28, 0xbfb8aa3b, v10
	s_delay_alu instid0(VALU_DEP_1) | instskip(SKIP_1) | instid1(VALU_DEP_2)
	v_exp_f32_e32 v29, v29
	v_cmp_nlt_f32_e32 vcc_lo, 0x42ce8ed0, v10
	v_fma_f32 v30, 0xbfb8aa3b, v10, -v28
	v_rndne_f32_e32 v32, v28
	s_delay_alu instid0(VALU_DEP_2) | instskip(NEXT) | instid1(VALU_DEP_2)
	v_fmac_f32_e32 v30, 0xb2a5705f, v10
	v_sub_f32_e32 v28, v28, v32
	s_delay_alu instid0(VALU_DEP_1) | instskip(SKIP_2) | instid1(VALU_DEP_3)
	v_add_f32_e32 v28, v28, v30
	v_cvt_i32_f32_e32 v30, v32
	v_cvt_i32_f32_e32 v32, v36
	v_exp_f32_e32 v28, v28
	s_delay_alu instid0(VALU_DEP_1) | instskip(SKIP_2) | instid1(VALU_DEP_1)
	v_ldexp_f32 v29, v29, v32
	s_waitcnt_depctr 0xfff
	v_ldexp_f32 v28, v28, v30
	v_cndmask_b32_e32 v28, 0, v28, vcc_lo
	v_cmp_nlt_f32_e32 vcc_lo, 0x42ce8ed0, v27
	v_cndmask_b32_e32 v29, 0, v29, vcc_lo
	v_cmp_ngt_f32_e32 vcc_lo, 0xc2b17218, v10
	s_delay_alu instid0(VALU_DEP_4) | instskip(SKIP_1) | instid1(VALU_DEP_2)
	v_cndmask_b32_e32 v10, 0x7f800000, v28, vcc_lo
	v_cmp_ngt_f32_e32 vcc_lo, 0xc2b17218, v27
	v_dual_add_f32 v10, 1.0, v10 :: v_dual_cndmask_b32 v27, 0x7f800000, v29
	s_delay_alu instid0(VALU_DEP_1) | instskip(NEXT) | instid1(VALU_DEP_2)
	v_div_scale_f32 v28, null, v10, v10, 1.0
	v_add_f32_e32 v27, 1.0, v27
	v_div_scale_f32 v39, vcc_lo, 1.0, v10, 1.0
	s_delay_alu instid0(VALU_DEP_3) | instskip(NEXT) | instid1(VALU_DEP_2)
	v_rcp_f32_e32 v30, v28
	v_div_scale_f32 v29, null, v27, v27, 1.0
	s_delay_alu instid0(VALU_DEP_1) | instskip(SKIP_2) | instid1(VALU_DEP_1)
	v_rcp_f32_e32 v32, v29
	s_waitcnt_depctr 0xfff
	v_fma_f32 v33, -v28, v30, 1.0
	v_fmac_f32_e32 v30, v33, v30
	v_div_scale_f32 v33, s0, 1.0, v27, 1.0
	v_fma_f32 v36, -v29, v32, 1.0
	s_delay_alu instid0(VALU_DEP_1) | instskip(NEXT) | instid1(VALU_DEP_4)
	v_fmac_f32_e32 v32, v36, v32
	v_mul_f32_e32 v36, v39, v30
	s_delay_alu instid0(VALU_DEP_2) | instskip(NEXT) | instid1(VALU_DEP_2)
	v_mul_f32_e32 v40, v33, v32
	v_fma_f32 v41, -v28, v36, v39
	s_delay_alu instid0(VALU_DEP_2) | instskip(NEXT) | instid1(VALU_DEP_2)
	v_fma_f32 v42, -v29, v40, v33
	v_fmac_f32_e32 v36, v41, v30
	s_delay_alu instid0(VALU_DEP_2) | instskip(NEXT) | instid1(VALU_DEP_2)
	v_fmac_f32_e32 v40, v42, v32
	v_fma_f32 v28, -v28, v36, v39
	s_delay_alu instid0(VALU_DEP_2) | instskip(NEXT) | instid1(VALU_DEP_2)
	v_fma_f32 v29, -v29, v40, v33
	v_div_fmas_f32 v28, v28, v30, v36
	s_mov_b32 vcc_lo, s0
	s_delay_alu instid0(VALU_DEP_2) | instskip(NEXT) | instid1(VALU_DEP_2)
	v_div_fmas_f32 v29, v29, v32, v40
	v_div_fixup_f32 v10, v28, v10, 1.0
	s_waitcnt vmcnt(0)
	v_lshlrev_b32_e32 v28, 16, v34
	s_delay_alu instid0(VALU_DEP_3) | instskip(NEXT) | instid1(VALU_DEP_3)
	v_div_fixup_f32 v9, v29, v27, 1.0
	v_mul_f32_e32 v27, v10, v2
	s_delay_alu instid0(VALU_DEP_1) | instskip(NEXT) | instid1(VALU_DEP_1)
	v_fmac_f32_e32 v27, v9, v28
                                        ; implicit-def: $vgpr28
	v_cmp_ngt_f32_e64 s0, 0x3f200000, |v27|
	s_delay_alu instid0(VALU_DEP_1) | instskip(NEXT) | instid1(SALU_CYCLE_1)
	s_and_saveexec_b32 s64, s0
	s_xor_b32 s0, exec_lo, s64
	s_cbranch_execz .LBB15_75
; %bb.74:                               ;   in Loop: Header=BB15_3 Depth=1
	v_add_f32_e64 v28, |v27|, |v27|
	s_delay_alu instid0(VALU_DEP_1) | instskip(SKIP_1) | instid1(VALU_DEP_2)
	v_mul_f32_e32 v29, 0x3fb8aa3b, v28
	v_cmp_ngt_f32_e32 vcc_lo, 0xc2ce8ed0, v28
	v_rndne_f32_e32 v30, v29
	v_fma_f32 v32, 0x3fb8aa3b, v28, -v29
	s_delay_alu instid0(VALU_DEP_1) | instskip(SKIP_1) | instid1(VALU_DEP_2)
	v_dual_sub_f32 v29, v29, v30 :: v_dual_fmac_f32 v32, 0x32a5705f, v28
	v_cvt_i32_f32_e32 v30, v30
	v_add_f32_e32 v29, v29, v32
	s_delay_alu instid0(VALU_DEP_1) | instskip(SKIP_2) | instid1(VALU_DEP_1)
	v_exp_f32_e32 v29, v29
	s_waitcnt_depctr 0xfff
	v_ldexp_f32 v29, v29, v30
	v_cndmask_b32_e32 v29, 0, v29, vcc_lo
	v_cmp_nlt_f32_e32 vcc_lo, 0x42b17218, v28
	s_delay_alu instid0(VALU_DEP_2) | instskip(NEXT) | instid1(VALU_DEP_1)
	v_cndmask_b32_e32 v28, 0x7f800000, v29, vcc_lo
	v_add_f32_e32 v28, 1.0, v28
	s_delay_alu instid0(VALU_DEP_1)
	v_rcp_f32_e32 v28, v28
	s_waitcnt_depctr 0xfff
	v_fma_f32 v28, v28, -2.0, 1.0
.LBB15_75:                              ;   in Loop: Header=BB15_3 Depth=1
	s_and_not1_saveexec_b32 s0, s0
	s_cbranch_execz .LBB15_2
; %bb.76:                               ;   in Loop: Header=BB15_3 Depth=1
	v_mul_f32_e32 v28, v27, v27
	s_delay_alu instid0(VALU_DEP_1) | instskip(NEXT) | instid1(VALU_DEP_1)
	v_fmaak_f32 v29, s79, v28, 0x3ca908c9
	v_fmaak_f32 v29, v28, v29, 0xbd5c1c4e
	s_delay_alu instid0(VALU_DEP_1) | instskip(NEXT) | instid1(VALU_DEP_1)
	v_fmaak_f32 v29, v28, v29, 0x3e088382
	v_fmaak_f32 v29, v28, v29, 0xbeaaaa99
	s_delay_alu instid0(VALU_DEP_1) | instskip(NEXT) | instid1(VALU_DEP_1)
	v_mul_f32_e64 v29, |v27|, v29
	v_fma_f32 v28, v28, v29, |v27|
	s_branch .LBB15_2
.LBB15_77:
	s_nop 0
	s_sendmsg sendmsg(MSG_DEALLOC_VGPRS)
	s_endpgm
	.section	.rodata,"a",@progbits
	.p2align	6, 0x0
	.amdhsa_kernel _ZN2at6native12_GLOBAL__N_16kernel17lstm_cell_forwardIN3c108BFloat16EflLi2EEEvNS_4cuda6detail10TensorInfoIT_T1_EESB_SB_SB_SB_SB_SB_SB_SA_SA_
		.amdhsa_group_segment_fixed_size 0
		.amdhsa_private_segment_fixed_size 0
		.amdhsa_kernarg_size 3600
		.amdhsa_user_sgpr_count 15
		.amdhsa_user_sgpr_dispatch_ptr 0
		.amdhsa_user_sgpr_queue_ptr 0
		.amdhsa_user_sgpr_kernarg_segment_ptr 1
		.amdhsa_user_sgpr_dispatch_id 0
		.amdhsa_user_sgpr_private_segment_size 0
		.amdhsa_wavefront_size32 1
		.amdhsa_uses_dynamic_stack 0
		.amdhsa_enable_private_segment 0
		.amdhsa_system_sgpr_workgroup_id_x 1
		.amdhsa_system_sgpr_workgroup_id_y 0
		.amdhsa_system_sgpr_workgroup_id_z 0
		.amdhsa_system_sgpr_workgroup_info 0
		.amdhsa_system_vgpr_workitem_id 0
		.amdhsa_next_free_vgpr 55
		.amdhsa_next_free_sgpr 81
		.amdhsa_reserve_vcc 1
		.amdhsa_float_round_mode_32 0
		.amdhsa_float_round_mode_16_64 0
		.amdhsa_float_denorm_mode_32 3
		.amdhsa_float_denorm_mode_16_64 3
		.amdhsa_dx10_clamp 1
		.amdhsa_ieee_mode 1
		.amdhsa_fp16_overflow 0
		.amdhsa_workgroup_processor_mode 1
		.amdhsa_memory_ordered 1
		.amdhsa_forward_progress 0
		.amdhsa_shared_vgpr_count 0
		.amdhsa_exception_fp_ieee_invalid_op 0
		.amdhsa_exception_fp_denorm_src 0
		.amdhsa_exception_fp_ieee_div_zero 0
		.amdhsa_exception_fp_ieee_overflow 0
		.amdhsa_exception_fp_ieee_underflow 0
		.amdhsa_exception_fp_ieee_inexact 0
		.amdhsa_exception_int_div_zero 0
	.end_amdhsa_kernel
	.section	.text._ZN2at6native12_GLOBAL__N_16kernel17lstm_cell_forwardIN3c108BFloat16EflLi2EEEvNS_4cuda6detail10TensorInfoIT_T1_EESB_SB_SB_SB_SB_SB_SB_SA_SA_,"axG",@progbits,_ZN2at6native12_GLOBAL__N_16kernel17lstm_cell_forwardIN3c108BFloat16EflLi2EEEvNS_4cuda6detail10TensorInfoIT_T1_EESB_SB_SB_SB_SB_SB_SB_SA_SA_,comdat
.Lfunc_end15:
	.size	_ZN2at6native12_GLOBAL__N_16kernel17lstm_cell_forwardIN3c108BFloat16EflLi2EEEvNS_4cuda6detail10TensorInfoIT_T1_EESB_SB_SB_SB_SB_SB_SB_SA_SA_, .Lfunc_end15-_ZN2at6native12_GLOBAL__N_16kernel17lstm_cell_forwardIN3c108BFloat16EflLi2EEEvNS_4cuda6detail10TensorInfoIT_T1_EESB_SB_SB_SB_SB_SB_SB_SA_SA_
                                        ; -- End function
	.section	.AMDGPU.csdata,"",@progbits
; Kernel info:
; codeLenInByte = 21464
; NumSgprs: 83
; NumVgprs: 55
; ScratchSize: 0
; MemoryBound: 0
; FloatMode: 240
; IeeeMode: 1
; LDSByteSize: 0 bytes/workgroup (compile time only)
; SGPRBlocks: 10
; VGPRBlocks: 6
; NumSGPRsForWavesPerEU: 83
; NumVGPRsForWavesPerEU: 55
; Occupancy: 16
; WaveLimiterHint : 1
; COMPUTE_PGM_RSRC2:SCRATCH_EN: 0
; COMPUTE_PGM_RSRC2:USER_SGPR: 15
; COMPUTE_PGM_RSRC2:TRAP_HANDLER: 0
; COMPUTE_PGM_RSRC2:TGID_X_EN: 1
; COMPUTE_PGM_RSRC2:TGID_Y_EN: 0
; COMPUTE_PGM_RSRC2:TGID_Z_EN: 0
; COMPUTE_PGM_RSRC2:TIDIG_COMP_CNT: 0
	.section	.text._ZN2at6native12_GLOBAL__N_16kernel18lstm_cell_backwardIddiLi1EEEvNS_4cuda6detail10TensorInfoIT_T1_EES9_S9_S9_S9_S9_S9_S8_S8_,"axG",@progbits,_ZN2at6native12_GLOBAL__N_16kernel18lstm_cell_backwardIddiLi1EEEvNS_4cuda6detail10TensorInfoIT_T1_EES9_S9_S9_S9_S9_S9_S8_S8_,comdat
	.globl	_ZN2at6native12_GLOBAL__N_16kernel18lstm_cell_backwardIddiLi1EEEvNS_4cuda6detail10TensorInfoIT_T1_EES9_S9_S9_S9_S9_S9_S8_S8_ ; -- Begin function _ZN2at6native12_GLOBAL__N_16kernel18lstm_cell_backwardIddiLi1EEEvNS_4cuda6detail10TensorInfoIT_T1_EES9_S9_S9_S9_S9_S9_S8_S8_
	.p2align	8
	.type	_ZN2at6native12_GLOBAL__N_16kernel18lstm_cell_backwardIddiLi1EEEvNS_4cuda6detail10TensorInfoIT_T1_EES9_S9_S9_S9_S9_S9_S8_S8_,@function
_ZN2at6native12_GLOBAL__N_16kernel18lstm_cell_backwardIddiLi1EEEvNS_4cuda6detail10TensorInfoIT_T1_EES9_S9_S9_S9_S9_S9_S8_S8_: ; @_ZN2at6native12_GLOBAL__N_16kernel18lstm_cell_backwardIddiLi1EEEvNS_4cuda6detail10TensorInfoIT_T1_EES9_S9_S9_S9_S9_S9_S8_S8_
; %bb.0:
	s_clause 0x1
	s_load_b32 s4, s[0:1], 0x5fc
	s_load_b64 s[2:3], s[0:1], 0x5e8
	s_add_u32 s18, s0, 0x5f0
	s_addc_u32 s19, s1, 0
	s_waitcnt lgkmcnt(0)
	s_and_b32 s52, s4, 0xffff
	s_mov_b32 s4, exec_lo
	v_mad_u64_u32 v[1:2], null, s15, s52, v[0:1]
	s_delay_alu instid0(VALU_DEP_1)
	v_cmpx_gt_i32_e64 s3, v1
	s_cbranch_execz .LBB16_7
; %bb.1:
	s_clause 0xd
	s_load_b64 s[4:5], s[0:1], 0x360
	s_load_b64 s[6:7], s[0:1], 0x438
	s_load_b32 s57, s[0:1], 0x3cc
	s_load_b64 s[8:9], s[0:1], 0x0
	s_load_b32 s33, s[0:1], 0x6c
	;; [unrolled: 2-line block ×5, first 2 shown]
	s_load_b32 s58, s[0:1], 0x4a4
	s_load_b64 s[16:17], s[0:1], 0x510
	s_load_b32 s56, s[0:1], 0x57c
	s_load_b32 s55, s[18:19], 0x0
	s_mov_b32 s0, 0x652b82fe
	s_mov_b32 s18, 0xfefa3000
	s_mov_b32 s20, 0xf278e000
	s_mov_b32 s22, 0xf97b57a0
	s_mov_b32 s24, 0xfca7ab0c
	s_waitcnt lgkmcnt(0)
	s_cmp_lg_u64 s[4:5], 0
	s_mov_b32 s26, 0x6a5dcb37
	s_cselect_b32 s48, -1, 0
	s_cmp_lg_u64 s[6:7], 0
	v_mul_lo_u32 v8, v1, s57
	s_cselect_b32 s50, -1, 0
	s_abs_i32 s51, s2
	s_mov_b32 s28, 0x623fde64
	v_cvt_f32_u32_e32 v0, s51
	s_sub_i32 s42, 0, s51
	v_mul_lo_u32 v2, v1, s53
	v_mul_lo_u32 v4, v1, s54
	;; [unrolled: 1-line block ×3, first 2 shown]
	v_rcp_iflag_f32_e32 v0, v0
	v_mul_lo_u32 v6, v1, s56
	s_mul_i32 s52, s55, s52
	s_mov_b32 s30, 0x7c89e6b0
	s_mov_b32 s34, 0x14761f6e
	;; [unrolled: 1-line block ×7, first 2 shown]
	s_waitcnt_depctr 0xfff
	v_mul_f32_e32 v0, 0x4f7ffffe, v0
	s_mul_i32 s49, s2, 3
	s_mov_b32 s1, 0x3ff71547
	s_mov_b32 s19, 0xbfe62e42
	s_mov_b32 s21, 0xbd53de6a
	v_cvt_u32_f32_e32 v0, v0
	s_mov_b32 s23, 0xbac9cc01
	s_mov_b32 s25, 0x3e928af3
	;; [unrolled: 1-line block ×4, first 2 shown]
	v_mul_lo_u32 v3, s42, v0
	s_mov_b32 s42, 0x55555511
	s_mov_b32 s31, 0x3efa0199
	;; [unrolled: 1-line block ×7, first 2 shown]
	v_mul_hi_u32 v3, v0, v3
	s_mov_b32 s45, 0x3fe00000
	s_mul_i32 s53, s52, s53
	s_mul_i32 s54, s52, s54
	s_ashr_i32 s55, s2, 31
	s_mul_i32 s56, s52, s56
	s_mul_i32 s57, s52, s57
	;; [unrolled: 1-line block ×3, first 2 shown]
	v_add_nc_u32_e32 v0, v0, v3
	s_branch .LBB16_3
.LBB16_2:                               ;   in Loop: Header=BB16_3 Depth=1
	s_waitcnt vmcnt(0)
	v_mul_f64 v[31:32], |v[27:28]|, s[0:1]
	v_cmp_nlt_f64_e64 vcc_lo, 0x40331000, |v[27:28]|
	v_and_b32_e32 v9, 0x7fffffff, v28
	v_mul_lo_u32 v11, v12, s46
	v_mul_lo_u32 v13, v13, s46
	v_add_nc_u32_e32 v1, s52, v1
	v_add_nc_u32_e32 v10, s58, v10
	;; [unrolled: 1-line block ×5, first 2 shown]
	v_ashrrev_i32_e32 v12, 31, v11
	s_delay_alu instid0(VALU_DEP_1) | instskip(SKIP_1) | instid1(VALU_DEP_1)
	v_lshlrev_b64 v[11:12], 3, v[11:12]
	v_rndne_f64_e32 v[31:32], v[31:32]
	v_fma_f64 v[33:34], v[31:32], s[18:19], |v[27:28]|
	v_mul_f64 v[35:36], v[31:32], s[20:21]
	v_cvt_i32_f64_e32 v5, v[31:32]
	s_delay_alu instid0(VALU_DEP_3) | instskip(NEXT) | instid1(VALU_DEP_1)
	v_add_f64 v[37:38], v[33:34], 0
	v_add_f64 v[39:40], v[37:38], v[35:36]
	v_add_f64 v[33:34], v[33:34], -v[37:38]
	s_delay_alu instid0(VALU_DEP_2) | instskip(NEXT) | instid1(VALU_DEP_2)
	v_add_f64 v[37:38], v[37:38], -v[39:40]
	v_add_f64 v[33:34], v[33:34], 0
	s_delay_alu instid0(VALU_DEP_2) | instskip(NEXT) | instid1(VALU_DEP_1)
	v_add_f64 v[35:36], v[37:38], v[35:36]
	v_add_f64 v[33:34], v[33:34], v[35:36]
	v_mul_f64 v[35:36], v[31:32], s[22:23]
	s_delay_alu instid0(VALU_DEP_2) | instskip(NEXT) | instid1(VALU_DEP_1)
	v_add_f64 v[37:38], v[39:40], v[33:34]
	v_add_f64 v[41:42], v[37:38], v[35:36]
	v_add_f64 v[39:40], v[39:40], -v[37:38]
	s_delay_alu instid0(VALU_DEP_2) | instskip(NEXT) | instid1(VALU_DEP_2)
	v_add_f64 v[37:38], v[37:38], -v[41:42]
	v_add_f64 v[33:34], v[33:34], v[39:40]
	s_delay_alu instid0(VALU_DEP_2) | instskip(NEXT) | instid1(VALU_DEP_1)
	v_add_f64 v[35:36], v[37:38], v[35:36]
	v_add_f64 v[33:34], v[33:34], v[35:36]
	s_delay_alu instid0(VALU_DEP_1) | instskip(NEXT) | instid1(VALU_DEP_1)
	v_add_f64 v[35:36], v[41:42], v[33:34]
	v_fma_f64 v[37:38], v[35:36], s[26:27], s[24:25]
	v_add_f64 v[39:40], v[41:42], -v[35:36]
	v_mul_f64 v[41:42], v[35:36], v[35:36]
	s_delay_alu instid0(VALU_DEP_3) | instskip(NEXT) | instid1(VALU_DEP_3)
	v_fma_f64 v[37:38], v[35:36], v[37:38], s[28:29]
	v_add_f64 v[33:34], v[33:34], v[39:40]
	s_delay_alu instid0(VALU_DEP_3) | instskip(NEXT) | instid1(VALU_DEP_3)
	v_fma_f64 v[39:40], v[35:36], v[35:36], -v[41:42]
	v_fma_f64 v[37:38], v[35:36], v[37:38], s[30:31]
	s_delay_alu instid0(VALU_DEP_3) | instskip(NEXT) | instid1(VALU_DEP_2)
	v_add_f64 v[43:44], v[33:34], v[33:34]
	v_fma_f64 v[37:38], v[35:36], v[37:38], s[34:35]
	s_delay_alu instid0(VALU_DEP_2) | instskip(NEXT) | instid1(VALU_DEP_2)
	v_fma_f64 v[39:40], v[35:36], v[43:44], v[39:40]
	v_fma_f64 v[37:38], v[35:36], v[37:38], s[36:37]
	s_delay_alu instid0(VALU_DEP_2) | instskip(NEXT) | instid1(VALU_DEP_2)
	v_add_f64 v[43:44], v[41:42], v[39:40]
	v_fma_f64 v[37:38], v[35:36], v[37:38], s[38:39]
	s_delay_alu instid0(VALU_DEP_2) | instskip(NEXT) | instid1(VALU_DEP_2)
	v_add_f64 v[41:42], v[43:44], -v[41:42]
	v_fma_f64 v[37:38], v[35:36], v[37:38], s[40:41]
	s_delay_alu instid0(VALU_DEP_2) | instskip(NEXT) | instid1(VALU_DEP_2)
	v_add_f64 v[39:40], v[39:40], -v[41:42]
	v_fma_f64 v[37:38], v[35:36], v[37:38], s[42:43]
	s_delay_alu instid0(VALU_DEP_1) | instskip(NEXT) | instid1(VALU_DEP_1)
	v_fma_f64 v[37:38], v[35:36], v[37:38], s[44:45]
	v_mul_f64 v[45:46], v[43:44], v[37:38]
	s_delay_alu instid0(VALU_DEP_1) | instskip(NEXT) | instid1(VALU_DEP_1)
	v_fma_f64 v[41:42], v[43:44], v[37:38], -v[45:46]
	v_fma_f64 v[37:38], v[39:40], v[37:38], v[41:42]
	s_delay_alu instid0(VALU_DEP_1) | instskip(NEXT) | instid1(VALU_DEP_1)
	v_add_f64 v[39:40], v[45:46], v[37:38]
	v_add_f64 v[41:42], v[35:36], v[39:40]
	v_add_f64 v[43:44], v[39:40], -v[45:46]
	s_delay_alu instid0(VALU_DEP_2) | instskip(NEXT) | instid1(VALU_DEP_2)
	v_add_f64 v[35:36], v[41:42], -v[35:36]
	v_add_f64 v[37:38], v[37:38], -v[43:44]
	s_delay_alu instid0(VALU_DEP_2) | instskip(NEXT) | instid1(VALU_DEP_2)
	v_add_f64 v[35:36], v[39:40], -v[35:36]
	v_add_f64 v[33:34], v[33:34], v[37:38]
	s_delay_alu instid0(VALU_DEP_1) | instskip(NEXT) | instid1(VALU_DEP_1)
	v_add_f64 v[33:34], v[33:34], v[35:36]
	v_add_f64 v[35:36], v[41:42], v[33:34]
	s_delay_alu instid0(VALU_DEP_1) | instskip(SKIP_1) | instid1(VALU_DEP_2)
	v_add_f64 v[37:38], v[35:36], 1.0
	v_add_f64 v[39:40], v[35:36], -v[41:42]
	v_add_f64 v[41:42], v[37:38], -1.0
	s_delay_alu instid0(VALU_DEP_2) | instskip(NEXT) | instid1(VALU_DEP_2)
	v_add_f64 v[33:34], v[33:34], -v[39:40]
	v_add_f64 v[35:36], v[35:36], -v[41:42]
	s_delay_alu instid0(VALU_DEP_1) | instskip(NEXT) | instid1(VALU_DEP_1)
	v_add_f64 v[33:34], v[33:34], v[35:36]
	v_add_f64 v[31:32], v[37:38], v[33:34]
	s_delay_alu instid0(VALU_DEP_1) | instskip(SKIP_1) | instid1(VALU_DEP_2)
	v_ldexp_f64 v[35:36], v[31:32], v5
	v_add_f64 v[31:32], v[31:32], -v[37:38]
	v_rcp_f64_e32 v[39:40], v[35:36]
	s_delay_alu instid0(VALU_DEP_1) | instskip(NEXT) | instid1(VALU_DEP_1)
	v_add_f64 v[31:32], v[33:34], -v[31:32]
	v_ldexp_f64 v[31:32], v[31:32], v5
	s_waitcnt_depctr 0xfff
	v_fma_f64 v[41:42], -v[35:36], v[39:40], 1.0
	s_delay_alu instid0(VALU_DEP_1) | instskip(NEXT) | instid1(VALU_DEP_1)
	v_fma_f64 v[39:40], v[41:42], v[39:40], v[39:40]
	v_fma_f64 v[41:42], -v[35:36], v[39:40], 1.0
	s_delay_alu instid0(VALU_DEP_1) | instskip(NEXT) | instid1(VALU_DEP_1)
	v_fma_f64 v[37:38], v[41:42], v[39:40], v[39:40]
	v_mul_f64 v[33:34], v[35:36], v[37:38]
	s_delay_alu instid0(VALU_DEP_1) | instskip(NEXT) | instid1(VALU_DEP_1)
	v_fma_f64 v[39:40], v[37:38], v[35:36], -v[33:34]
	v_fma_f64 v[39:40], v[37:38], v[31:32], v[39:40]
	s_delay_alu instid0(VALU_DEP_1) | instskip(NEXT) | instid1(VALU_DEP_1)
	v_add_f64 v[41:42], v[33:34], v[39:40]
	v_add_f64 v[43:44], -v[41:42], 1.0
	v_add_f64 v[33:34], v[41:42], -v[33:34]
	s_delay_alu instid0(VALU_DEP_2) | instskip(NEXT) | instid1(VALU_DEP_2)
	v_add_f64 v[45:46], -v[43:44], 1.0
	v_add_f64 v[33:34], v[33:34], -v[39:40]
	s_delay_alu instid0(VALU_DEP_2) | instskip(NEXT) | instid1(VALU_DEP_1)
	v_add_f64 v[39:40], v[45:46], -v[41:42]
	v_add_f64 v[33:34], v[33:34], v[39:40]
	s_delay_alu instid0(VALU_DEP_1) | instskip(NEXT) | instid1(VALU_DEP_1)
	v_add_f64 v[39:40], v[43:44], v[33:34]
	v_mul_f64 v[41:42], v[37:38], v[39:40]
	v_add_f64 v[43:44], v[43:44], -v[39:40]
	s_delay_alu instid0(VALU_DEP_2) | instskip(NEXT) | instid1(VALU_DEP_2)
	v_mul_f64 v[45:46], v[35:36], v[41:42]
	v_add_f64 v[33:34], v[33:34], v[43:44]
	s_delay_alu instid0(VALU_DEP_2) | instskip(NEXT) | instid1(VALU_DEP_1)
	v_fma_f64 v[47:48], v[41:42], v[35:36], -v[45:46]
	v_fma_f64 v[47:48], v[41:42], v[31:32], v[47:48]
	s_delay_alu instid0(VALU_DEP_1) | instskip(NEXT) | instid1(VALU_DEP_1)
	v_add_f64 v[49:50], v[45:46], v[47:48]
	v_add_f64 v[51:52], v[39:40], -v[49:50]
	v_add_f64 v[43:44], v[49:50], -v[45:46]
	s_delay_alu instid0(VALU_DEP_2) | instskip(NEXT) | instid1(VALU_DEP_2)
	v_add_f64 v[39:40], v[39:40], -v[51:52]
	v_add_f64 v[43:44], v[43:44], -v[47:48]
	s_delay_alu instid0(VALU_DEP_2) | instskip(NEXT) | instid1(VALU_DEP_1)
	v_add_f64 v[39:40], v[39:40], -v[49:50]
	v_add_f64 v[33:34], v[33:34], v[39:40]
	v_add_f64 v[39:40], v[37:38], v[41:42]
	s_delay_alu instid0(VALU_DEP_2) | instskip(NEXT) | instid1(VALU_DEP_2)
	v_add_f64 v[33:34], v[43:44], v[33:34]
	v_add_f64 v[43:44], v[39:40], -v[37:38]
	s_delay_alu instid0(VALU_DEP_2) | instskip(NEXT) | instid1(VALU_DEP_2)
	v_add_f64 v[33:34], v[51:52], v[33:34]
	v_add_f64 v[41:42], v[41:42], -v[43:44]
	s_delay_alu instid0(VALU_DEP_2) | instskip(NEXT) | instid1(VALU_DEP_1)
	v_mul_f64 v[33:34], v[37:38], v[33:34]
	v_add_f64 v[33:34], v[41:42], v[33:34]
	s_delay_alu instid0(VALU_DEP_1) | instskip(NEXT) | instid1(VALU_DEP_1)
	v_add_f64 v[37:38], v[39:40], v[33:34]
	v_add_f64 v[41:42], v[35:36], v[37:38]
	v_add_f64 v[39:40], v[37:38], -v[39:40]
	v_add_f64 v[45:46], v[35:36], -v[37:38]
	s_delay_alu instid0(VALU_DEP_3) | instskip(NEXT) | instid1(VALU_DEP_3)
	v_add_f64 v[43:44], v[41:42], -v[35:36]
	v_add_f64 v[33:34], v[33:34], -v[39:40]
	s_delay_alu instid0(VALU_DEP_3) | instskip(NEXT) | instid1(VALU_DEP_3)
	;; [unrolled: 3-line block ×3, first 2 shown]
	v_add_f64 v[43:44], v[31:32], v[33:34]
	v_add_f64 v[35:36], v[35:36], -v[37:38]
	s_delay_alu instid0(VALU_DEP_2) | instskip(NEXT) | instid1(VALU_DEP_2)
	v_add_f64 v[39:40], v[43:44], v[39:40]
	v_add_f64 v[31:32], v[31:32], v[35:36]
	s_delay_alu instid0(VALU_DEP_2) | instskip(NEXT) | instid1(VALU_DEP_2)
	v_add_f64 v[43:44], v[41:42], v[39:40]
	v_add_f64 v[31:32], v[31:32], -v[33:34]
	s_delay_alu instid0(VALU_DEP_2) | instskip(SKIP_1) | instid1(VALU_DEP_1)
	v_rcp_f64_e32 v[47:48], v[43:44]
	v_add_f64 v[41:42], v[43:44], -v[41:42]
	v_add_f64 v[39:40], v[39:40], -v[41:42]
	s_waitcnt_depctr 0xfff
	v_fma_f64 v[37:38], -v[43:44], v[47:48], 1.0
	s_delay_alu instid0(VALU_DEP_1) | instskip(SKIP_1) | instid1(VALU_DEP_2)
	v_fma_f64 v[35:36], v[37:38], v[47:48], v[47:48]
	v_add_f64 v[37:38], v[45:46], v[31:32]
	v_fma_f64 v[33:34], -v[43:44], v[35:36], 1.0
	s_delay_alu instid0(VALU_DEP_1) | instskip(NEXT) | instid1(VALU_DEP_1)
	v_fma_f64 v[33:34], v[33:34], v[35:36], v[35:36]
	v_mul_f64 v[35:36], v[37:38], v[33:34]
	s_delay_alu instid0(VALU_DEP_1) | instskip(NEXT) | instid1(VALU_DEP_1)
	v_mul_f64 v[47:48], v[43:44], v[35:36]
	v_fma_f64 v[41:42], v[35:36], v[43:44], -v[47:48]
	s_delay_alu instid0(VALU_DEP_1) | instskip(NEXT) | instid1(VALU_DEP_1)
	v_fma_f64 v[39:40], v[35:36], v[39:40], v[41:42]
	v_add_f64 v[41:42], v[47:48], v[39:40]
	s_delay_alu instid0(VALU_DEP_1) | instskip(SKIP_1) | instid1(VALU_DEP_2)
	v_add_f64 v[43:44], v[37:38], -v[41:42]
	v_add_f64 v[47:48], v[41:42], -v[47:48]
	;; [unrolled: 1-line block ×4, first 2 shown]
	s_delay_alu instid0(VALU_DEP_3) | instskip(NEXT) | instid1(VALU_DEP_3)
	v_add_f64 v[39:40], v[39:40], -v[47:48]
	v_add_f64 v[41:42], v[49:50], -v[41:42]
	s_delay_alu instid0(VALU_DEP_3) | instskip(NEXT) | instid1(VALU_DEP_2)
	v_add_f64 v[31:32], v[31:32], -v[37:38]
	v_add_f64 v[37:38], v[41:42], -v[39:40]
	s_delay_alu instid0(VALU_DEP_1) | instskip(SKIP_1) | instid1(VALU_DEP_2)
	v_add_f64 v[31:32], v[31:32], v[37:38]
	v_add_f64 v[37:38], -v[19:20], 1.0
	v_add_f64 v[31:32], v[43:44], v[31:32]
	s_delay_alu instid0(VALU_DEP_1) | instskip(NEXT) | instid1(VALU_DEP_1)
	v_mul_f64 v[31:32], v[33:34], v[31:32]
	v_add_f64 v[31:32], v[35:36], v[31:32]
	s_delay_alu instid0(VALU_DEP_1) | instskip(NEXT) | instid1(VALU_DEP_2)
	v_cndmask_b32_e32 v5, 0x3ff00000, v32, vcc_lo
	v_cndmask_b32_e32 v7, 0, v31, vcc_lo
	v_cmp_gt_f64_e64 vcc_lo, 0x3e400000, |v[27:28]|
	v_mul_f64 v[31:32], v[19:20], v[25:26]
	s_delay_alu instid0(VALU_DEP_4) | instskip(NEXT) | instid1(VALU_DEP_4)
	v_cndmask_b32_e32 v5, v5, v9, vcc_lo
	v_cndmask_b32_e32 v27, v7, v27, vcc_lo
	v_cmp_le_i32_e32 vcc_lo, s3, v1
	v_ashrrev_i32_e32 v7, 31, v6
	s_delay_alu instid0(VALU_DEP_4) | instskip(SKIP_2) | instid1(VALU_DEP_2)
	v_bfi_b32 v28, 0x7fffffff, v5, v28
	s_or_b32 s47, vcc_lo, s47
	v_add_co_u32 v11, vcc_lo, s10, v11
	v_fma_f64 v[33:34], -v[27:28], v[27:28], 1.0
	v_mul_f64 v[25:26], v[27:28], v[25:26]
	v_add_co_ci_u32_e32 v12, vcc_lo, s11, v12, vcc_lo
	s_delay_alu instid0(VALU_DEP_3) | instskip(SKIP_3) | instid1(VALU_DEP_4)
	v_fma_f64 v[29:30], v[33:34], v[31:32], v[29:30]
	v_add_f64 v[31:32], -v[17:18], 1.0
	v_add_f64 v[33:34], -v[15:16], 1.0
	v_mul_f64 v[25:26], v[37:38], v[25:26]
	v_mul_f64 v[35:36], v[21:22], v[29:30]
	;; [unrolled: 1-line block ×3, first 2 shown]
	v_fma_f64 v[21:22], -v[21:22], v[21:22], 1.0
	s_delay_alu instid0(VALU_DEP_4)
	v_mul_f64 v[19:20], v[19:20], v[25:26]
	v_lshlrev_b64 v[25:26], 3, v[6:7]
	v_add_nc_u32_e32 v6, s56, v6
	v_mul_f64 v[27:28], v[31:32], v[35:36]
	v_mul_f64 v[23:24], v[33:34], v[23:24]
	;; [unrolled: 1-line block ×3, first 2 shown]
	v_mul_lo_u32 v33, v3, s46
	v_mul_lo_u32 v35, v14, s46
	v_ashrrev_i32_e32 v14, 31, v13
	s_delay_alu instid0(VALU_DEP_1) | instskip(NEXT) | instid1(VALU_DEP_4)
	v_lshlrev_b64 v[13:14], 3, v[13:14]
	v_ashrrev_i32_e32 v34, 31, v33
	s_delay_alu instid0(VALU_DEP_4)
	v_ashrrev_i32_e32 v36, 31, v35
	v_mul_f64 v[17:18], v[17:18], v[27:28]
	v_mul_f64 v[23:24], v[15:16], v[23:24]
	;; [unrolled: 1-line block ×4, first 2 shown]
	v_lshlrev_b64 v[27:28], 3, v[33:34]
	v_lshlrev_b64 v[29:30], 3, v[35:36]
	s_delay_alu instid0(VALU_DEP_2) | instskip(NEXT) | instid1(VALU_DEP_3)
	v_add_co_u32 v27, vcc_lo, s10, v27
	v_add_co_ci_u32_e32 v28, vcc_lo, s11, v28, vcc_lo
	v_add_co_u32 v13, vcc_lo, s10, v13
	v_add_co_ci_u32_e32 v14, vcc_lo, s11, v14, vcc_lo
	;; [unrolled: 2-line block ×4, first 2 shown]
	s_clause 0x3
	global_store_b64 v[11:12], v[17:18], off
	global_store_b64 v[27:28], v[23:24], off
	;; [unrolled: 1-line block ×5, first 2 shown]
	s_and_not1_b32 exec_lo, exec_lo, s47
	s_cbranch_execz .LBB16_7
.LBB16_3:                               ; =>This Inner Loop Header: Depth=1
	v_sub_nc_u32_e32 v3, 0, v1
	s_delay_alu instid0(VALU_DEP_1) | instskip(NEXT) | instid1(VALU_DEP_1)
	v_max_i32_e32 v3, v1, v3
	v_mul_hi_u32 v5, v3, v0
	s_delay_alu instid0(VALU_DEP_1) | instskip(NEXT) | instid1(VALU_DEP_1)
	v_mul_lo_u32 v7, v5, s51
	v_sub_nc_u32_e32 v3, v3, v7
	v_add_nc_u32_e32 v7, 1, v5
	s_delay_alu instid0(VALU_DEP_2) | instskip(SKIP_1) | instid1(VALU_DEP_3)
	v_subrev_nc_u32_e32 v9, s51, v3
	v_cmp_le_u32_e32 vcc_lo, s51, v3
	v_cndmask_b32_e32 v5, v5, v7, vcc_lo
	s_delay_alu instid0(VALU_DEP_3) | instskip(SKIP_1) | instid1(VALU_DEP_3)
	v_cndmask_b32_e32 v3, v3, v9, vcc_lo
	v_ashrrev_i32_e32 v7, 31, v1
	v_add_nc_u32_e32 v9, 1, v5
	s_delay_alu instid0(VALU_DEP_3) | instskip(NEXT) | instid1(VALU_DEP_3)
	v_cmp_le_u32_e32 vcc_lo, s51, v3
	v_xor_b32_e32 v7, s55, v7
	s_delay_alu instid0(VALU_DEP_3) | instskip(NEXT) | instid1(VALU_DEP_2)
	v_cndmask_b32_e32 v3, v5, v9, vcc_lo
	v_mul_i32_i24_e32 v5, 3, v7
	s_delay_alu instid0(VALU_DEP_2) | instskip(NEXT) | instid1(VALU_DEP_1)
	v_xor_b32_e32 v3, v3, v7
	v_lshl_add_u32 v9, v3, 1, v3
	v_sub_nc_u32_e32 v3, v3, v7
	s_delay_alu instid0(VALU_DEP_2) | instskip(SKIP_1) | instid1(VALU_DEP_3)
	v_sub_nc_u32_e32 v7, v9, v5
	v_ashrrev_i32_e32 v5, 31, v4
	v_mad_u64_u32 v[12:13], null, s49, v3, v[1:2]
	v_ashrrev_i32_e32 v3, 31, v2
	s_delay_alu instid0(VALU_DEP_4)
	v_mul_lo_u32 v9, s2, v7
	v_add_nc_u32_e32 v11, 2, v7
	v_lshlrev_b64 v[20:21], 3, v[4:5]
	v_add_nc_u32_e32 v5, 3, v7
	v_lshlrev_b64 v[16:17], 3, v[2:3]
	v_mul_lo_u32 v18, v12, s33
	v_mad_u64_u32 v[13:14], null, s2, v11, v[1:2]
	v_add3_u32 v3, v9, s2, v1
	v_mad_u64_u32 v[14:15], null, s2, v5, v[1:2]
	v_add_co_u32 v22, vcc_lo, s12, v16
	s_delay_alu instid0(VALU_DEP_3)
	v_mul_lo_u32 v15, v3, s33
	v_add_co_ci_u32_e32 v23, vcc_lo, s13, v17, vcc_lo
	v_mul_lo_u32 v17, v13, s33
	v_ashrrev_i32_e32 v19, 31, v18
	v_mul_lo_u32 v24, v14, s33
	v_add_co_u32 v28, vcc_lo, s14, v20
	v_ashrrev_i32_e32 v16, 31, v15
	s_delay_alu instid0(VALU_DEP_4) | instskip(SKIP_2) | instid1(VALU_DEP_4)
	v_lshlrev_b64 v[26:27], 3, v[18:19]
	v_add_co_ci_u32_e32 v29, vcc_lo, s15, v21, vcc_lo
	v_ashrrev_i32_e32 v18, 31, v17
	v_lshlrev_b64 v[15:16], 3, v[15:16]
	v_ashrrev_i32_e32 v25, 31, v24
	v_add_co_u32 v19, vcc_lo, s8, v26
	s_delay_alu instid0(VALU_DEP_4) | instskip(SKIP_1) | instid1(VALU_DEP_4)
	v_lshlrev_b64 v[17:18], 3, v[17:18]
	v_add_co_ci_u32_e32 v20, vcc_lo, s9, v27, vcc_lo
	v_lshlrev_b64 v[24:25], 3, v[24:25]
	v_add_co_u32 v15, vcc_lo, s8, v15
	v_add_co_ci_u32_e32 v16, vcc_lo, s9, v16, vcc_lo
	v_add_co_u32 v26, vcc_lo, s8, v17
	v_add_co_ci_u32_e32 v27, vcc_lo, s9, v18, vcc_lo
	;; [unrolled: 2-line block ×3, first 2 shown]
	global_load_b64 v[23:24], v[22:23], off
	s_clause 0x3
	global_load_b64 v[17:18], v[19:20], off
	global_load_b64 v[15:16], v[15:16], off
	;; [unrolled: 1-line block ×5, first 2 shown]
	v_mov_b32_e32 v29, 0
	v_mov_b32_e32 v30, 0
	s_delay_alu instid0(VALU_DEP_2) | instskip(SKIP_1) | instid1(VALU_DEP_2)
	v_mov_b32_e32 v25, v29
	s_and_not1_b32 vcc_lo, exec_lo, s48
	v_mov_b32_e32 v26, v30
	s_cbranch_vccnz .LBB16_5
; %bb.4:                                ;   in Loop: Header=BB16_3 Depth=1
	v_ashrrev_i32_e32 v9, 31, v8
	s_delay_alu instid0(VALU_DEP_1) | instskip(NEXT) | instid1(VALU_DEP_1)
	v_lshlrev_b64 v[25:26], 3, v[8:9]
	v_add_co_u32 v25, vcc_lo, s4, v25
	s_delay_alu instid0(VALU_DEP_2)
	v_add_co_ci_u32_e32 v26, vcc_lo, s5, v26, vcc_lo
	global_load_b64 v[25:26], v[25:26], off
.LBB16_5:                               ;   in Loop: Header=BB16_3 Depth=1
	s_and_not1_b32 vcc_lo, exec_lo, s50
	s_cbranch_vccnz .LBB16_2
; %bb.6:                                ;   in Loop: Header=BB16_3 Depth=1
	v_ashrrev_i32_e32 v11, 31, v10
	s_delay_alu instid0(VALU_DEP_1) | instskip(NEXT) | instid1(VALU_DEP_1)
	v_lshlrev_b64 v[29:30], 3, v[10:11]
	v_add_co_u32 v29, vcc_lo, s6, v29
	s_delay_alu instid0(VALU_DEP_2)
	v_add_co_ci_u32_e32 v30, vcc_lo, s7, v30, vcc_lo
	global_load_b64 v[29:30], v[29:30], off
	s_branch .LBB16_2
.LBB16_7:
	s_nop 0
	s_sendmsg sendmsg(MSG_DEALLOC_VGPRS)
	s_endpgm
	.section	.rodata,"a",@progbits
	.p2align	6, 0x0
	.amdhsa_kernel _ZN2at6native12_GLOBAL__N_16kernel18lstm_cell_backwardIddiLi1EEEvNS_4cuda6detail10TensorInfoIT_T1_EES9_S9_S9_S9_S9_S9_S8_S8_
		.amdhsa_group_segment_fixed_size 0
		.amdhsa_private_segment_fixed_size 0
		.amdhsa_kernarg_size 1776
		.amdhsa_user_sgpr_count 15
		.amdhsa_user_sgpr_dispatch_ptr 0
		.amdhsa_user_sgpr_queue_ptr 0
		.amdhsa_user_sgpr_kernarg_segment_ptr 1
		.amdhsa_user_sgpr_dispatch_id 0
		.amdhsa_user_sgpr_private_segment_size 0
		.amdhsa_wavefront_size32 1
		.amdhsa_uses_dynamic_stack 0
		.amdhsa_enable_private_segment 0
		.amdhsa_system_sgpr_workgroup_id_x 1
		.amdhsa_system_sgpr_workgroup_id_y 0
		.amdhsa_system_sgpr_workgroup_id_z 0
		.amdhsa_system_sgpr_workgroup_info 0
		.amdhsa_system_vgpr_workitem_id 0
		.amdhsa_next_free_vgpr 53
		.amdhsa_next_free_sgpr 59
		.amdhsa_reserve_vcc 1
		.amdhsa_float_round_mode_32 0
		.amdhsa_float_round_mode_16_64 0
		.amdhsa_float_denorm_mode_32 3
		.amdhsa_float_denorm_mode_16_64 3
		.amdhsa_dx10_clamp 1
		.amdhsa_ieee_mode 1
		.amdhsa_fp16_overflow 0
		.amdhsa_workgroup_processor_mode 1
		.amdhsa_memory_ordered 1
		.amdhsa_forward_progress 0
		.amdhsa_shared_vgpr_count 0
		.amdhsa_exception_fp_ieee_invalid_op 0
		.amdhsa_exception_fp_denorm_src 0
		.amdhsa_exception_fp_ieee_div_zero 0
		.amdhsa_exception_fp_ieee_overflow 0
		.amdhsa_exception_fp_ieee_underflow 0
		.amdhsa_exception_fp_ieee_inexact 0
		.amdhsa_exception_int_div_zero 0
	.end_amdhsa_kernel
	.section	.text._ZN2at6native12_GLOBAL__N_16kernel18lstm_cell_backwardIddiLi1EEEvNS_4cuda6detail10TensorInfoIT_T1_EES9_S9_S9_S9_S9_S9_S8_S8_,"axG",@progbits,_ZN2at6native12_GLOBAL__N_16kernel18lstm_cell_backwardIddiLi1EEEvNS_4cuda6detail10TensorInfoIT_T1_EES9_S9_S9_S9_S9_S9_S8_S8_,comdat
.Lfunc_end16:
	.size	_ZN2at6native12_GLOBAL__N_16kernel18lstm_cell_backwardIddiLi1EEEvNS_4cuda6detail10TensorInfoIT_T1_EES9_S9_S9_S9_S9_S9_S8_S8_, .Lfunc_end16-_ZN2at6native12_GLOBAL__N_16kernel18lstm_cell_backwardIddiLi1EEEvNS_4cuda6detail10TensorInfoIT_T1_EES9_S9_S9_S9_S9_S9_S8_S8_
                                        ; -- End function
	.section	.AMDGPU.csdata,"",@progbits
; Kernel info:
; codeLenInByte = 2920
; NumSgprs: 61
; NumVgprs: 53
; ScratchSize: 0
; MemoryBound: 0
; FloatMode: 240
; IeeeMode: 1
; LDSByteSize: 0 bytes/workgroup (compile time only)
; SGPRBlocks: 7
; VGPRBlocks: 6
; NumSGPRsForWavesPerEU: 61
; NumVGPRsForWavesPerEU: 53
; Occupancy: 16
; WaveLimiterHint : 1
; COMPUTE_PGM_RSRC2:SCRATCH_EN: 0
; COMPUTE_PGM_RSRC2:USER_SGPR: 15
; COMPUTE_PGM_RSRC2:TRAP_HANDLER: 0
; COMPUTE_PGM_RSRC2:TGID_X_EN: 1
; COMPUTE_PGM_RSRC2:TGID_Y_EN: 0
; COMPUTE_PGM_RSRC2:TGID_Z_EN: 0
; COMPUTE_PGM_RSRC2:TIDIG_COMP_CNT: 0
	.section	.text._ZN2at6native12_GLOBAL__N_16kernel18lstm_cell_backwardIddiLi2EEEvNS_4cuda6detail10TensorInfoIT_T1_EES9_S9_S9_S9_S9_S9_S8_S8_,"axG",@progbits,_ZN2at6native12_GLOBAL__N_16kernel18lstm_cell_backwardIddiLi2EEEvNS_4cuda6detail10TensorInfoIT_T1_EES9_S9_S9_S9_S9_S9_S8_S8_,comdat
	.globl	_ZN2at6native12_GLOBAL__N_16kernel18lstm_cell_backwardIddiLi2EEEvNS_4cuda6detail10TensorInfoIT_T1_EES9_S9_S9_S9_S9_S9_S8_S8_ ; -- Begin function _ZN2at6native12_GLOBAL__N_16kernel18lstm_cell_backwardIddiLi2EEEvNS_4cuda6detail10TensorInfoIT_T1_EES9_S9_S9_S9_S9_S9_S8_S8_
	.p2align	8
	.type	_ZN2at6native12_GLOBAL__N_16kernel18lstm_cell_backwardIddiLi2EEEvNS_4cuda6detail10TensorInfoIT_T1_EES9_S9_S9_S9_S9_S9_S8_S8_,@function
_ZN2at6native12_GLOBAL__N_16kernel18lstm_cell_backwardIddiLi2EEEvNS_4cuda6detail10TensorInfoIT_T1_EES9_S9_S9_S9_S9_S9_S8_S8_: ; @_ZN2at6native12_GLOBAL__N_16kernel18lstm_cell_backwardIddiLi2EEEvNS_4cuda6detail10TensorInfoIT_T1_EES9_S9_S9_S9_S9_S9_S8_S8_
; %bb.0:
	s_clause 0x1
	s_load_b32 s6, s[0:1], 0x5fc
	s_load_b64 s[4:5], s[0:1], 0x5e8
	s_add_u32 s2, s0, 0x5f0
	s_addc_u32 s3, s1, 0
	s_waitcnt lgkmcnt(0)
	s_and_b32 s36, s6, 0xffff
	s_mov_b32 s6, exec_lo
	v_mad_u64_u32 v[1:2], null, s15, s36, v[0:1]
	s_delay_alu instid0(VALU_DEP_1)
	v_cmpx_gt_i32_e64 s5, v1
	s_cbranch_execz .LBB17_7
; %bb.1:
	s_clause 0x9
	s_load_b64 s[6:7], s[0:1], 0x360
	s_load_b64 s[8:9], s[0:1], 0x438
	s_load_b32 s89, s[0:1], 0x36c
	s_load_b64 s[10:11], s[0:1], 0x3cc
	s_load_b64 s[12:13], s[0:1], 0x0
	s_load_b32 s33, s[0:1], 0xc
	s_load_b32 s64, s[0:1], 0xe4
	s_load_b64 s[14:15], s[0:1], 0x144
	s_load_b64 s[16:17], s[0:1], 0x1b0
	s_load_b32 s37, s[0:1], 0x1bc
	s_load_b32 s70, s[2:3], 0x0
	s_clause 0xa
	s_load_b64 s[18:19], s[0:1], 0x21c
	s_load_b64 s[20:21], s[0:1], 0x288
	s_load_b32 s2, s[0:1], 0x294
	s_load_b32 s3, s[0:1], 0x444
	s_load_b64 s[22:23], s[0:1], 0x4a4
	s_load_b64 s[24:25], s[0:1], 0x510
	s_load_b32 s88, s[0:1], 0x51c
	s_load_b64 s[26:27], s[0:1], 0x6c
	s_load_b64 s[28:29], s[0:1], 0xd8
	;; [unrolled: 1-line block ×4, first 2 shown]
	s_mov_b32 s38, 0xfefa3000
	s_mov_b32 s40, 0xf278e000
	s_waitcnt lgkmcnt(0)
	s_cmp_lg_u64 s[6:7], 0
	s_mov_b32 s42, 0xf97b57a0
	s_cselect_b32 s65, -1, 0
	s_cmp_lg_u64 s[8:9], 0
	s_mov_b32 s44, 0xfca7ab0c
	s_cselect_b32 s66, -1, 0
	s_abs_i32 s67, s4
	s_abs_i32 s72, s64
	v_cvt_f32_u32_e32 v0, s67
	v_cvt_f32_u32_e32 v3, s72
	s_sub_i32 s0, 0, s67
	s_abs_i32 s68, s33
	s_abs_i32 s77, s89
	v_rcp_iflag_f32_e32 v0, v0
	v_rcp_iflag_f32_e32 v3, v3
	v_cvt_f32_u32_e32 v2, s68
	v_cvt_f32_u32_e32 v9, s77
	s_abs_i32 s74, s37
	s_sub_i32 s1, 0, s68
	v_cvt_f32_u32_e32 v4, s74
	v_rcp_iflag_f32_e32 v2, v2
	s_abs_i32 s76, s88
	s_abs_i32 s75, s2
	s_waitcnt_depctr 0xfff
	v_dual_mul_f32 v0, 0x4f7ffffe, v0 :: v_dual_mul_f32 v3, 0x4f7ffffe, v3
	v_rcp_iflag_f32_e32 v4, v4
	v_cvt_f32_u32_e32 v8, s76
	v_cvt_f32_u32_e32 v7, s75
	s_delay_alu instid0(VALU_DEP_3)
	v_cvt_u32_f32_e32 v0, v0
	v_cvt_u32_f32_e32 v3, v3
	s_abs_i32 s78, s3
	v_rcp_iflag_f32_e32 v8, v8
	v_rcp_iflag_f32_e32 v7, v7
	v_mul_lo_u32 v5, s0, v0
	s_sub_i32 s0, 0, s72
	v_cvt_f32_u32_e32 v10, s78
	v_mul_lo_u32 v11, s0, v3
	s_sub_i32 s0, 0, s74
	s_mul_i32 s70, s70, s36
	s_ashr_i32 s80, s37, 31
	s_sub_i32 s86, 0, s37
	v_mul_hi_u32 v5, v0, v5
	s_waitcnt_depctr 0xfff
	v_mul_f32_e32 v8, 0x4f7ffffe, v8
	s_mov_b32 s36, 0x652b82fe
	s_mov_b32 s46, 0x6a5dcb37
	;; [unrolled: 1-line block ×4, first 2 shown]
	v_cvt_u32_f32_e32 v8, v8
	s_mov_b32 s52, 0x14761f6e
	v_add_nc_u32_e32 v0, v0, v5
	v_rcp_iflag_f32_e32 v5, v9
	v_mul_f32_e32 v2, 0x4f7ffffe, v2
	s_mov_b32 s54, 0x1852b7b0
	s_mov_b32 s56, 0x11122322
	;; [unrolled: 1-line block ×6, first 2 shown]
	s_ashr_i32 s71, s4, 31
	s_ashr_i32 s73, s33, 31
	s_waitcnt_depctr 0xfff
	v_mul_f32_e32 v5, 0x4f7ffffe, v5
	v_cvt_u32_f32_e32 v2, v2
	s_ashr_i32 s79, s64, 31
	s_ashr_i32 s81, s2, 31
	;; [unrolled: 1-line block ×3, first 2 shown]
	v_cvt_u32_f32_e32 v5, v5
	v_mul_lo_u32 v6, s1, v2
	s_sub_i32 s1, 0, s75
	s_ashr_i32 s83, s89, 31
	s_ashr_i32 s84, s3, 31
	s_mul_i32 s85, s4, 3
	s_sub_i32 s87, 0, s2
	s_mov_b32 s37, 0x3ff71547
	s_mov_b32 s39, 0xbfe62e42
	v_mul_hi_u32 v6, v2, v6
	v_mul_f32_e32 v4, 0x4f7ffffe, v4
	s_mov_b32 s41, 0xbd53de6a
	s_mov_b32 s43, 0xbac9cc01
	;; [unrolled: 1-line block ×6, first 2 shown]
	v_add_nc_u32_e32 v19, v2, v6
	v_cvt_u32_f32_e32 v4, v4
	v_rcp_iflag_f32_e32 v6, v10
	s_mov_b32 s53, 0x3f2a01a0
	s_mov_b32 s55, 0x3f56c16c
	;; [unrolled: 1-line block ×3, first 2 shown]
	v_mul_lo_u32 v9, s0, v4
	s_sub_i32 s0, 0, s76
	s_mov_b32 s59, 0x3fa55555
	s_mov_b32 s61, 0x3fc55555
	;; [unrolled: 1-line block ×3, first 2 shown]
	s_sub_i32 s88, 0, s88
	s_sub_i32 s89, 0, s89
	;; [unrolled: 1-line block ×3, first 2 shown]
	v_mul_hi_u32 v9, v4, v9
	v_mul_f32_e32 v2, 0x4f7ffffe, v7
	v_mul_hi_u32 v7, v3, v11
	v_mul_lo_u32 v11, s0, v8
	s_sub_i32 s0, 0, s78
	s_delay_alu instid0(VALU_DEP_4) | instskip(SKIP_1) | instid1(VALU_DEP_4)
	v_add_nc_u32_e32 v21, v4, v9
	v_cvt_u32_f32_e32 v2, v2
	v_add_nc_u32_e32 v20, v3, v7
	s_delay_alu instid0(VALU_DEP_4) | instskip(SKIP_1) | instid1(VALU_DEP_4)
	v_mul_hi_u32 v3, v8, v11
	v_mul_f32_e32 v6, 0x4f7ffffe, v6
	v_mul_lo_u32 v10, s1, v2
	s_sub_i32 s1, 0, s77
	s_delay_alu instid0(SALU_CYCLE_1) | instskip(NEXT) | instid1(VALU_DEP_4)
	v_mul_lo_u32 v12, s1, v5
	v_add_nc_u32_e32 v23, v8, v3
	v_cvt_u32_f32_e32 v6, v6
	s_delay_alu instid0(VALU_DEP_4) | instskip(NEXT) | instid1(VALU_DEP_2)
	v_mul_hi_u32 v10, v2, v10
	v_mul_lo_u32 v13, s0, v6
	v_mul_hi_u32 v7, v5, v12
	s_delay_alu instid0(VALU_DEP_3) | instskip(NEXT) | instid1(VALU_DEP_3)
	v_add_nc_u32_e32 v22, v2, v10
	v_mul_hi_u32 v4, v6, v13
	s_delay_alu instid0(VALU_DEP_3) | instskip(NEXT) | instid1(VALU_DEP_2)
	v_add_nc_u32_e32 v24, v5, v7
	v_add_nc_u32_e32 v25, v6, v4
	s_branch .LBB17_3
.LBB17_2:                               ;   in Loop: Header=BB17_3 Depth=1
	s_waitcnt vmcnt(0)
	v_mul_f64 v[39:40], |v[15:16]|, s[36:37]
	v_cmp_nlt_f64_e64 vcc_lo, 0x40331000, |v[15:16]|
	v_xor_b32_e32 v30, s82, v30
	s_delay_alu instid0(VALU_DEP_3) | instskip(NEXT) | instid1(VALU_DEP_1)
	v_rndne_f64_e32 v[39:40], v[39:40]
	v_fma_f64 v[41:42], v[39:40], s[38:39], |v[15:16]|
	v_mul_f64 v[43:44], v[39:40], s[40:41]
	s_delay_alu instid0(VALU_DEP_2) | instskip(NEXT) | instid1(VALU_DEP_1)
	v_add_f64 v[45:46], v[41:42], 0
	v_add_f64 v[47:48], v[45:46], v[43:44]
	v_add_f64 v[41:42], v[41:42], -v[45:46]
	s_delay_alu instid0(VALU_DEP_2) | instskip(NEXT) | instid1(VALU_DEP_2)
	v_add_f64 v[45:46], v[45:46], -v[47:48]
	v_add_f64 v[41:42], v[41:42], 0
	s_delay_alu instid0(VALU_DEP_2) | instskip(NEXT) | instid1(VALU_DEP_1)
	v_add_f64 v[43:44], v[45:46], v[43:44]
	v_add_f64 v[41:42], v[41:42], v[43:44]
	v_mul_f64 v[43:44], v[39:40], s[42:43]
	s_delay_alu instid0(VALU_DEP_2) | instskip(NEXT) | instid1(VALU_DEP_1)
	v_add_f64 v[45:46], v[47:48], v[41:42]
	v_add_f64 v[49:50], v[45:46], v[43:44]
	v_add_f64 v[47:48], v[47:48], -v[45:46]
	s_delay_alu instid0(VALU_DEP_2) | instskip(NEXT) | instid1(VALU_DEP_2)
	v_add_f64 v[45:46], v[45:46], -v[49:50]
	v_add_f64 v[41:42], v[41:42], v[47:48]
	s_delay_alu instid0(VALU_DEP_2) | instskip(NEXT) | instid1(VALU_DEP_1)
	v_add_f64 v[43:44], v[45:46], v[43:44]
	v_add_f64 v[41:42], v[41:42], v[43:44]
	s_delay_alu instid0(VALU_DEP_1) | instskip(NEXT) | instid1(VALU_DEP_1)
	v_add_f64 v[43:44], v[49:50], v[41:42]
	v_fma_f64 v[45:46], v[43:44], s[46:47], s[44:45]
	v_add_f64 v[47:48], v[49:50], -v[43:44]
	v_mul_f64 v[49:50], v[43:44], v[43:44]
	s_delay_alu instid0(VALU_DEP_3) | instskip(NEXT) | instid1(VALU_DEP_3)
	v_fma_f64 v[45:46], v[43:44], v[45:46], s[48:49]
	v_add_f64 v[41:42], v[41:42], v[47:48]
	s_delay_alu instid0(VALU_DEP_3) | instskip(NEXT) | instid1(VALU_DEP_3)
	v_fma_f64 v[47:48], v[43:44], v[43:44], -v[49:50]
	v_fma_f64 v[45:46], v[43:44], v[45:46], s[50:51]
	s_delay_alu instid0(VALU_DEP_3) | instskip(NEXT) | instid1(VALU_DEP_2)
	v_add_f64 v[51:52], v[41:42], v[41:42]
	v_fma_f64 v[45:46], v[43:44], v[45:46], s[52:53]
	s_delay_alu instid0(VALU_DEP_2) | instskip(NEXT) | instid1(VALU_DEP_2)
	v_fma_f64 v[47:48], v[43:44], v[51:52], v[47:48]
	v_fma_f64 v[45:46], v[43:44], v[45:46], s[54:55]
	s_delay_alu instid0(VALU_DEP_2) | instskip(NEXT) | instid1(VALU_DEP_2)
	v_add_f64 v[51:52], v[49:50], v[47:48]
	v_fma_f64 v[45:46], v[43:44], v[45:46], s[56:57]
	s_delay_alu instid0(VALU_DEP_2) | instskip(NEXT) | instid1(VALU_DEP_2)
	v_add_f64 v[49:50], v[51:52], -v[49:50]
	v_fma_f64 v[45:46], v[43:44], v[45:46], s[58:59]
	s_delay_alu instid0(VALU_DEP_2) | instskip(NEXT) | instid1(VALU_DEP_2)
	v_add_f64 v[47:48], v[47:48], -v[49:50]
	v_fma_f64 v[45:46], v[43:44], v[45:46], s[60:61]
	s_delay_alu instid0(VALU_DEP_1) | instskip(NEXT) | instid1(VALU_DEP_1)
	v_fma_f64 v[45:46], v[43:44], v[45:46], s[62:63]
	v_mul_f64 v[53:54], v[51:52], v[45:46]
	s_delay_alu instid0(VALU_DEP_1) | instskip(NEXT) | instid1(VALU_DEP_1)
	v_fma_f64 v[49:50], v[51:52], v[45:46], -v[53:54]
	v_fma_f64 v[45:46], v[47:48], v[45:46], v[49:50]
	s_delay_alu instid0(VALU_DEP_1) | instskip(NEXT) | instid1(VALU_DEP_1)
	v_add_f64 v[47:48], v[53:54], v[45:46]
	v_add_f64 v[49:50], v[43:44], v[47:48]
	v_add_f64 v[51:52], v[47:48], -v[53:54]
	s_delay_alu instid0(VALU_DEP_2) | instskip(NEXT) | instid1(VALU_DEP_2)
	v_add_f64 v[43:44], v[49:50], -v[43:44]
	v_add_f64 v[45:46], v[45:46], -v[51:52]
	v_cvt_i32_f64_e32 v51, v[39:40]
	s_delay_alu instid0(VALU_DEP_3) | instskip(NEXT) | instid1(VALU_DEP_3)
	v_add_f64 v[43:44], v[47:48], -v[43:44]
	v_add_f64 v[41:42], v[41:42], v[45:46]
	s_delay_alu instid0(VALU_DEP_1) | instskip(NEXT) | instid1(VALU_DEP_1)
	v_add_f64 v[41:42], v[41:42], v[43:44]
	v_add_f64 v[43:44], v[49:50], v[41:42]
	s_delay_alu instid0(VALU_DEP_1) | instskip(SKIP_1) | instid1(VALU_DEP_2)
	v_add_f64 v[45:46], v[43:44], 1.0
	v_add_f64 v[47:48], v[43:44], -v[49:50]
	v_add_f64 v[49:50], v[45:46], -1.0
	s_delay_alu instid0(VALU_DEP_2) | instskip(NEXT) | instid1(VALU_DEP_2)
	v_add_f64 v[41:42], v[41:42], -v[47:48]
	v_add_f64 v[43:44], v[43:44], -v[49:50]
	s_delay_alu instid0(VALU_DEP_1) | instskip(NEXT) | instid1(VALU_DEP_1)
	v_add_f64 v[41:42], v[41:42], v[43:44]
	v_add_f64 v[39:40], v[45:46], v[41:42]
	s_delay_alu instid0(VALU_DEP_1) | instskip(SKIP_1) | instid1(VALU_DEP_2)
	v_ldexp_f64 v[43:44], v[39:40], v51
	v_add_f64 v[39:40], v[39:40], -v[45:46]
	v_rcp_f64_e32 v[47:48], v[43:44]
	s_delay_alu instid0(VALU_DEP_1) | instskip(NEXT) | instid1(VALU_DEP_1)
	v_add_f64 v[39:40], v[41:42], -v[39:40]
	v_ldexp_f64 v[39:40], v[39:40], v51
	s_waitcnt_depctr 0xfff
	v_fma_f64 v[49:50], -v[43:44], v[47:48], 1.0
	s_delay_alu instid0(VALU_DEP_1) | instskip(NEXT) | instid1(VALU_DEP_1)
	v_fma_f64 v[47:48], v[49:50], v[47:48], v[47:48]
	v_fma_f64 v[49:50], -v[43:44], v[47:48], 1.0
	s_delay_alu instid0(VALU_DEP_1) | instskip(NEXT) | instid1(VALU_DEP_1)
	v_fma_f64 v[45:46], v[49:50], v[47:48], v[47:48]
	v_mul_f64 v[41:42], v[43:44], v[45:46]
	s_delay_alu instid0(VALU_DEP_1) | instskip(NEXT) | instid1(VALU_DEP_1)
	v_fma_f64 v[47:48], v[45:46], v[43:44], -v[41:42]
	v_fma_f64 v[47:48], v[45:46], v[39:40], v[47:48]
	s_delay_alu instid0(VALU_DEP_1) | instskip(NEXT) | instid1(VALU_DEP_1)
	v_add_f64 v[49:50], v[41:42], v[47:48]
	v_add_f64 v[51:52], -v[49:50], 1.0
	v_add_f64 v[41:42], v[49:50], -v[41:42]
	s_delay_alu instid0(VALU_DEP_2) | instskip(NEXT) | instid1(VALU_DEP_2)
	v_add_f64 v[53:54], -v[51:52], 1.0
	v_add_f64 v[41:42], v[41:42], -v[47:48]
	s_delay_alu instid0(VALU_DEP_2) | instskip(NEXT) | instid1(VALU_DEP_1)
	v_add_f64 v[47:48], v[53:54], -v[49:50]
	v_add_f64 v[41:42], v[41:42], v[47:48]
	s_delay_alu instid0(VALU_DEP_1) | instskip(NEXT) | instid1(VALU_DEP_1)
	v_add_f64 v[47:48], v[51:52], v[41:42]
	v_mul_f64 v[49:50], v[45:46], v[47:48]
	v_add_f64 v[51:52], v[51:52], -v[47:48]
	s_delay_alu instid0(VALU_DEP_2) | instskip(NEXT) | instid1(VALU_DEP_2)
	v_mul_f64 v[53:54], v[43:44], v[49:50]
	v_add_f64 v[41:42], v[41:42], v[51:52]
	s_delay_alu instid0(VALU_DEP_2) | instskip(NEXT) | instid1(VALU_DEP_1)
	v_fma_f64 v[55:56], v[49:50], v[43:44], -v[53:54]
	v_fma_f64 v[55:56], v[49:50], v[39:40], v[55:56]
	s_delay_alu instid0(VALU_DEP_1) | instskip(NEXT) | instid1(VALU_DEP_1)
	v_add_f64 v[57:58], v[53:54], v[55:56]
	v_add_f64 v[59:60], v[47:48], -v[57:58]
	v_add_f64 v[51:52], v[57:58], -v[53:54]
	s_delay_alu instid0(VALU_DEP_2) | instskip(NEXT) | instid1(VALU_DEP_2)
	v_add_f64 v[47:48], v[47:48], -v[59:60]
	v_add_f64 v[51:52], v[51:52], -v[55:56]
	s_delay_alu instid0(VALU_DEP_2) | instskip(NEXT) | instid1(VALU_DEP_1)
	v_add_f64 v[47:48], v[47:48], -v[57:58]
	v_add_f64 v[41:42], v[41:42], v[47:48]
	v_add_f64 v[47:48], v[45:46], v[49:50]
	s_delay_alu instid0(VALU_DEP_2) | instskip(NEXT) | instid1(VALU_DEP_2)
	v_add_f64 v[41:42], v[51:52], v[41:42]
	v_add_f64 v[51:52], v[47:48], -v[45:46]
	s_delay_alu instid0(VALU_DEP_2) | instskip(NEXT) | instid1(VALU_DEP_2)
	v_add_f64 v[41:42], v[59:60], v[41:42]
	v_add_f64 v[49:50], v[49:50], -v[51:52]
	s_delay_alu instid0(VALU_DEP_2) | instskip(NEXT) | instid1(VALU_DEP_1)
	v_mul_f64 v[41:42], v[45:46], v[41:42]
	v_add_f64 v[41:42], v[49:50], v[41:42]
	s_delay_alu instid0(VALU_DEP_1) | instskip(NEXT) | instid1(VALU_DEP_1)
	v_add_f64 v[45:46], v[47:48], v[41:42]
	v_add_f64 v[49:50], v[43:44], v[45:46]
	v_add_f64 v[47:48], v[45:46], -v[47:48]
	v_add_f64 v[53:54], v[43:44], -v[45:46]
	s_delay_alu instid0(VALU_DEP_3) | instskip(NEXT) | instid1(VALU_DEP_3)
	v_add_f64 v[51:52], v[49:50], -v[43:44]
	v_add_f64 v[41:42], v[41:42], -v[47:48]
	s_delay_alu instid0(VALU_DEP_3) | instskip(NEXT) | instid1(VALU_DEP_3)
	;; [unrolled: 3-line block ×3, first 2 shown]
	v_add_f64 v[51:52], v[39:40], v[41:42]
	v_add_f64 v[43:44], v[43:44], -v[45:46]
	s_delay_alu instid0(VALU_DEP_2) | instskip(NEXT) | instid1(VALU_DEP_2)
	v_add_f64 v[47:48], v[51:52], v[47:48]
	v_add_f64 v[39:40], v[39:40], v[43:44]
	s_delay_alu instid0(VALU_DEP_2) | instskip(NEXT) | instid1(VALU_DEP_2)
	v_add_f64 v[51:52], v[49:50], v[47:48]
	v_add_f64 v[39:40], v[39:40], -v[41:42]
	s_delay_alu instid0(VALU_DEP_2) | instskip(SKIP_1) | instid1(VALU_DEP_1)
	v_rcp_f64_e32 v[55:56], v[51:52]
	v_add_f64 v[49:50], v[51:52], -v[49:50]
	v_add_f64 v[47:48], v[47:48], -v[49:50]
	s_waitcnt_depctr 0xfff
	v_fma_f64 v[45:46], -v[51:52], v[55:56], 1.0
	s_delay_alu instid0(VALU_DEP_1) | instskip(SKIP_1) | instid1(VALU_DEP_2)
	v_fma_f64 v[43:44], v[45:46], v[55:56], v[55:56]
	v_add_f64 v[45:46], v[53:54], v[39:40]
	v_fma_f64 v[41:42], -v[51:52], v[43:44], 1.0
	s_delay_alu instid0(VALU_DEP_1) | instskip(NEXT) | instid1(VALU_DEP_1)
	v_fma_f64 v[41:42], v[41:42], v[43:44], v[43:44]
	v_mul_f64 v[43:44], v[45:46], v[41:42]
	s_delay_alu instid0(VALU_DEP_1) | instskip(NEXT) | instid1(VALU_DEP_1)
	v_mul_f64 v[55:56], v[51:52], v[43:44]
	v_fma_f64 v[49:50], v[43:44], v[51:52], -v[55:56]
	s_delay_alu instid0(VALU_DEP_1) | instskip(NEXT) | instid1(VALU_DEP_1)
	v_fma_f64 v[47:48], v[43:44], v[47:48], v[49:50]
	v_add_f64 v[49:50], v[55:56], v[47:48]
	s_delay_alu instid0(VALU_DEP_1) | instskip(SKIP_1) | instid1(VALU_DEP_2)
	v_add_f64 v[51:52], v[45:46], -v[49:50]
	v_add_f64 v[55:56], v[49:50], -v[55:56]
	;; [unrolled: 1-line block ×4, first 2 shown]
	s_delay_alu instid0(VALU_DEP_3) | instskip(NEXT) | instid1(VALU_DEP_3)
	v_add_f64 v[47:48], v[47:48], -v[55:56]
	v_add_f64 v[49:50], v[57:58], -v[49:50]
	s_delay_alu instid0(VALU_DEP_3) | instskip(NEXT) | instid1(VALU_DEP_2)
	v_add_f64 v[39:40], v[39:40], -v[45:46]
	v_add_f64 v[45:46], v[49:50], -v[47:48]
	v_mul_hi_u32 v50, v34, v20
	v_mul_hi_u32 v48, v33, v20
	v_xor_b32_e32 v47, s79, v37
	v_xor_b32_e32 v49, s79, v38
	v_add_f64 v[37:38], -v[5:6], 1.0
	v_mul_lo_u32 v57, v50, s72
	v_mul_lo_u32 v56, v48, s72
	v_add_nc_u32_e32 v60, 1, v50
	s_delay_alu instid0(VALU_DEP_3) | instskip(NEXT) | instid1(VALU_DEP_3)
	v_sub_nc_u32_e32 v34, v34, v57
	v_sub_nc_u32_e32 v33, v33, v56
	s_delay_alu instid0(VALU_DEP_2) | instskip(NEXT) | instid1(VALU_DEP_2)
	v_cmp_le_u32_e64 s2, s72, v34
	v_cmp_le_u32_e64 s1, s72, v33
	v_add_f64 v[39:40], v[39:40], v[45:46]
	v_mul_hi_u32 v46, v32, v20
	v_xor_b32_e32 v45, s79, v36
	s_delay_alu instid0(VALU_DEP_2) | instskip(SKIP_1) | instid1(VALU_DEP_2)
	v_mul_lo_u32 v54, v46, s72
	v_add_nc_u32_e32 v55, 1, v46
	v_sub_nc_u32_e32 v32, v32, v54
	v_subrev_nc_u32_e32 v54, s72, v33
	s_delay_alu instid0(VALU_DEP_2) | instskip(NEXT) | instid1(VALU_DEP_2)
	v_cmp_le_u32_e64 s0, s72, v32
	v_cndmask_b32_e64 v33, v33, v54, s1
	s_delay_alu instid0(VALU_DEP_2) | instskip(SKIP_1) | instid1(VALU_DEP_1)
	v_cndmask_b32_e64 v46, v46, v55, s0
	v_add_nc_u32_e32 v59, 1, v48
	v_cndmask_b32_e64 v48, v48, v59, s1
	v_add_f64 v[39:40], v[51:52], v[39:40]
	v_mul_hi_u32 v51, v26, v23
	s_delay_alu instid0(VALU_DEP_3) | instskip(NEXT) | instid1(VALU_DEP_2)
	v_add_nc_u32_e32 v54, 1, v48
	v_mul_lo_u32 v58, v51, s76
	v_add_nc_u32_e32 v61, 1, v51
	s_delay_alu instid0(VALU_DEP_2) | instskip(NEXT) | instid1(VALU_DEP_1)
	v_sub_nc_u32_e32 v26, v26, v58
	v_cmp_le_u32_e64 s3, s76, v26
	v_mul_f64 v[39:40], v[41:42], v[39:40]
	s_delay_alu instid0(VALU_DEP_1) | instskip(SKIP_3) | instid1(VALU_DEP_3)
	v_add_f64 v[39:40], v[43:44], v[39:40]
	v_mul_hi_u32 v44, v31, v20
	v_xor_b32_e32 v43, s79, v35
	v_add_f64 v[35:36], -v[3:4], 1.0
	v_mul_lo_u32 v52, v44, s72
	v_add_nc_u32_e32 v53, 1, v44
	v_and_b32_e32 v41, 0x7fffffff, v16
	s_delay_alu instid0(VALU_DEP_3) | instskip(NEXT) | instid1(VALU_DEP_1)
	v_sub_nc_u32_e32 v31, v31, v52
	v_subrev_nc_u32_e32 v52, s72, v31
	v_cndmask_b32_e32 v40, 0x3ff00000, v40, vcc_lo
	v_cndmask_b32_e32 v39, 0, v39, vcc_lo
	v_cmp_gt_f64_e64 vcc_lo, 0x3e400000, |v[15:16]|
	s_delay_alu instid0(VALU_DEP_2) | instskip(NEXT) | instid1(VALU_DEP_4)
	v_cndmask_b32_e32 v15, v39, v15, vcc_lo
	v_cndmask_b32_e32 v39, v40, v41, vcc_lo
	v_cmp_le_u32_e32 vcc_lo, s72, v31
	s_delay_alu instid0(VALU_DEP_2) | instskip(SKIP_4) | instid1(VALU_DEP_4)
	v_bfi_b32 v16, 0x7fffffff, v39, v16
	v_cndmask_b32_e32 v44, v44, v53, vcc_lo
	v_mul_f64 v[39:40], v[7:8], v[13:14]
	v_cndmask_b32_e32 v31, v31, v52, vcc_lo
	v_subrev_nc_u32_e32 v53, s72, v32
	v_add_nc_u32_e32 v52, 1, v44
	v_fma_f64 v[41:42], -v[15:16], v[15:16], 1.0
	v_mul_f64 v[13:14], v[15:16], v[13:14]
	v_cndmask_b32_e64 v15, v50, v60, s2
	v_subrev_nc_u32_e32 v16, s72, v34
	v_cndmask_b32_e64 v32, v32, v53, s0
	v_add_nc_u32_e32 v53, 1, v46
	v_cndmask_b32_e64 v50, v51, v61, s3
	v_subrev_nc_u32_e32 v51, s76, v26
	v_cndmask_b32_e64 v16, v34, v16, s2
	v_add_nc_u32_e32 v34, 1, v15
	v_cmp_le_u32_e32 vcc_lo, s72, v31
	s_delay_alu instid0(VALU_DEP_4)
	v_cndmask_b32_e64 v26, v26, v51, s3
	v_add_nc_u32_e32 v51, 1, v50
	v_cndmask_b32_e32 v31, v44, v52, vcc_lo
	v_cmp_le_u32_e32 vcc_lo, s72, v32
	v_cndmask_b32_e32 v32, v46, v53, vcc_lo
	v_cmp_le_u32_e32 vcc_lo, s72, v33
	;; [unrolled: 2-line block ×4, first 2 shown]
	v_xor_b32_e32 v26, v31, v43
	v_xor_b32_e32 v31, v32, v45
	v_xor_b32_e32 v32, v33, v47
	v_fma_f64 v[17:18], v[41:42], v[39:40], v[17:18]
	v_fma_f64 v[39:40], -v[9:10], v[9:10], 1.0
	v_add_f64 v[41:42], -v[7:8], 1.0
	v_cndmask_b32_e32 v16, v50, v51, vcc_lo
	v_xor_b32_e32 v15, v15, v49
	v_sub_nc_u32_e32 v34, v26, v43
	v_sub_nc_u32_e32 v43, v31, v45
	;; [unrolled: 1-line block ×3, first 2 shown]
	v_xor_b32_e32 v33, v16, v30
	v_sub_nc_u32_e32 v45, v15, v49
	v_mul_lo_u32 v26, v34, s64
	s_delay_alu instid0(VALU_DEP_3) | instskip(SKIP_1) | instid1(VALU_DEP_2)
	v_sub_nc_u32_e32 v32, v33, v30
	v_mul_lo_u32 v33, v43, s64
	v_mad_u64_u32 v[30:31], null, s88, v32, v[1:2]
	s_delay_alu instid0(VALU_DEP_4) | instskip(NEXT) | instid1(VALU_DEP_3)
	v_sub_nc_u32_e32 v26, v27, v26
	v_sub_nc_u32_e32 v27, v2, v33
	s_delay_alu instid0(VALU_DEP_2) | instskip(NEXT) | instid1(VALU_DEP_4)
	v_add_nc_u32_e32 v26, v1, v26
	v_mul_lo_u32 v2, v30, s35
	s_delay_alu instid0(VALU_DEP_3) | instskip(NEXT) | instid1(VALU_DEP_3)
	v_add_nc_u32_e32 v27, v1, v27
	v_mul_lo_u32 v26, v26, s15
	s_delay_alu instid0(VALU_DEP_2)
	v_mul_lo_u32 v27, v27, s15
	v_mul_f64 v[9:10], v[9:10], v[17:18]
	v_mul_f64 v[11:12], v[11:12], v[17:18]
	;; [unrolled: 1-line block ×7, first 2 shown]
	v_mul_lo_u32 v35, v44, s64
	v_mul_lo_u32 v36, v45, s64
	v_mul_f64 v[7:8], v[7:8], v[13:14]
	s_delay_alu instid0(VALU_DEP_3) | instskip(NEXT) | instid1(VALU_DEP_3)
	v_sub_nc_u32_e32 v28, v28, v35
	v_sub_nc_u32_e32 v29, v29, v36
	s_delay_alu instid0(VALU_DEP_2) | instskip(NEXT) | instid1(VALU_DEP_2)
	v_add_nc_u32_e32 v30, v1, v28
	v_add_nc_u32_e32 v31, v1, v29
	v_mad_u64_u32 v[28:29], null, v32, s34, v[2:3]
	v_add_nc_u32_e32 v1, s70, v1
	s_delay_alu instid0(VALU_DEP_4) | instskip(NEXT) | instid1(VALU_DEP_4)
	v_mul_lo_u32 v2, v30, s15
	v_mul_lo_u32 v29, v31, s15
	v_mad_u64_u32 v[30:31], null, v34, s14, v[26:27]
	s_delay_alu instid0(VALU_DEP_4) | instskip(SKIP_2) | instid1(VALU_DEP_4)
	v_cmp_le_i32_e32 vcc_lo, s5, v1
	v_mad_u64_u32 v[32:33], null, v43, s14, v[27:28]
	v_mad_u64_u32 v[26:27], null, v44, s14, v[2:3]
	v_ashrrev_i32_e32 v31, 31, v30
	s_or_b32 s69, vcc_lo, s69
	s_delay_alu instid0(VALU_DEP_3) | instskip(NEXT) | instid1(VALU_DEP_2)
	v_ashrrev_i32_e32 v33, 31, v32
	v_lshlrev_b64 v[13:14], 3, v[30:31]
	s_delay_alu instid0(VALU_DEP_4)
	v_ashrrev_i32_e32 v27, 31, v26
	v_mul_f64 v[2:3], v[3:4], v[9:10]
	v_mul_f64 v[4:5], v[5:6], v[11:12]
	;; [unrolled: 1-line block ×3, first 2 shown]
	v_mad_u64_u32 v[11:12], null, v45, s14, v[29:30]
	v_ashrrev_i32_e32 v29, 31, v28
	v_lshlrev_b64 v[26:27], 3, v[26:27]
	v_add_co_u32 v13, vcc_lo, s28, v13
	v_add_co_ci_u32_e32 v14, vcc_lo, s29, v14, vcc_lo
	s_delay_alu instid0(VALU_DEP_4) | instskip(SKIP_2) | instid1(VALU_DEP_1)
	v_lshlrev_b64 v[15:16], 3, v[28:29]
	v_lshlrev_b64 v[28:29], 3, v[32:33]
	v_ashrrev_i32_e32 v12, 31, v11
	v_lshlrev_b64 v[11:12], 3, v[11:12]
	s_delay_alu instid0(VALU_DEP_3) | instskip(NEXT) | instid1(VALU_DEP_4)
	v_add_co_u32 v28, vcc_lo, s28, v28
	v_add_co_ci_u32_e32 v29, vcc_lo, s29, v29, vcc_lo
	v_add_co_u32 v26, vcc_lo, s28, v26
	v_add_co_ci_u32_e32 v27, vcc_lo, s29, v27, vcc_lo
	;; [unrolled: 2-line block ×4, first 2 shown]
	s_clause 0x3
	global_store_b64 v[13:14], v[2:3], off
	global_store_b64 v[28:29], v[4:5], off
	;; [unrolled: 1-line block ×5, first 2 shown]
	s_and_not1_b32 exec_lo, exec_lo, s69
	s_cbranch_execz .LBB17_7
.LBB17_3:                               ; =>This Inner Loop Header: Depth=1
	v_sub_nc_u32_e32 v2, 0, v1
	v_ashrrev_i32_e32 v30, 31, v1
	s_delay_alu instid0(VALU_DEP_2) | instskip(NEXT) | instid1(VALU_DEP_2)
	v_max_i32_e32 v26, v1, v2
	v_xor_b32_e32 v7, s71, v30
	v_xor_b32_e32 v9, s81, v30
	s_delay_alu instid0(VALU_DEP_3) | instskip(SKIP_1) | instid1(VALU_DEP_4)
	v_mul_hi_u32 v2, v26, v0
	v_mul_hi_u32 v5, v26, v21
	v_mul_i32_i24_e32 v10, 3, v7
	s_delay_alu instid0(VALU_DEP_3) | instskip(NEXT) | instid1(VALU_DEP_3)
	v_mul_lo_u32 v3, v2, s67
	v_add_nc_u32_e32 v11, 1, v5
	v_add_nc_u32_e32 v4, 1, v2
	v_mul_lo_u32 v8, v5, s74
	s_delay_alu instid0(VALU_DEP_4) | instskip(NEXT) | instid1(VALU_DEP_2)
	v_sub_nc_u32_e32 v3, v26, v3
	v_sub_nc_u32_e32 v8, v26, v8
	s_delay_alu instid0(VALU_DEP_2) | instskip(SKIP_1) | instid1(VALU_DEP_1)
	v_cmp_le_u32_e32 vcc_lo, s67, v3
	v_subrev_nc_u32_e32 v6, s67, v3
	v_dual_cndmask_b32 v2, v2, v4 :: v_dual_cndmask_b32 v3, v3, v6
	v_mul_hi_u32 v4, v26, v22
	s_delay_alu instid0(VALU_DEP_2) | instskip(NEXT) | instid1(VALU_DEP_3)
	v_add_nc_u32_e32 v6, 1, v2
	v_cmp_le_u32_e32 vcc_lo, s67, v3
	s_delay_alu instid0(VALU_DEP_3) | instskip(SKIP_1) | instid1(VALU_DEP_2)
	v_mul_lo_u32 v3, v4, s75
	v_add_nc_u32_e32 v12, 1, v4
	v_sub_nc_u32_e32 v13, v26, v3
	s_delay_alu instid0(VALU_DEP_1) | instskip(NEXT) | instid1(VALU_DEP_1)
	v_cmp_le_u32_e64 s0, s75, v13
	v_cndmask_b32_e64 v4, v4, v12, s0
	v_cndmask_b32_e32 v2, v2, v6, vcc_lo
	v_cmp_le_u32_e32 vcc_lo, s74, v8
	v_xor_b32_e32 v6, s80, v30
	s_delay_alu instid0(VALU_DEP_3) | instskip(SKIP_2) | instid1(VALU_DEP_3)
	v_xor_b32_e32 v2, v2, v7
	v_cndmask_b32_e32 v5, v5, v11, vcc_lo
	v_subrev_nc_u32_e32 v11, s75, v13
	v_sub_nc_u32_e32 v3, v2, v7
	v_lshl_add_u32 v2, v2, 1, v2
	v_subrev_nc_u32_e32 v7, s74, v8
	s_delay_alu instid0(VALU_DEP_3) | instskip(NEXT) | instid1(VALU_DEP_3)
	v_mul_lo_u32 v27, s85, v3
	v_sub_nc_u32_e32 v10, v2, v10
	s_delay_alu instid0(VALU_DEP_3) | instskip(NEXT) | instid1(VALU_DEP_2)
	v_cndmask_b32_e32 v7, v8, v7, vcc_lo
	v_mad_u64_u32 v[2:3], null, s4, v10, s[4:5]
	s_delay_alu instid0(VALU_DEP_4)
	v_add_nc_u32_e32 v12, v1, v27
	v_add_nc_u32_e32 v3, 2, v10
	;; [unrolled: 1-line block ×4, first 2 shown]
	v_cmp_le_u32_e32 vcc_lo, s74, v7
	v_ashrrev_i32_e32 v35, 31, v12
	v_mul_lo_u32 v28, s4, v3
	v_add_nc_u32_e32 v3, v1, v2
	v_mul_lo_u32 v29, s4, v8
	v_cndmask_b32_e64 v8, v13, v11, s0
	v_add3_u32 v12, v35, v27, v1
	v_add_nc_u32_e32 v11, 1, v4
	v_ashrrev_i32_e32 v36, 31, v3
	v_cndmask_b32_e32 v5, v5, v10, vcc_lo
	v_add_nc_u32_e32 v3, v1, v28
	v_xor_b32_e32 v31, v12, v35
	v_cmp_le_u32_e32 vcc_lo, s75, v8
	v_add_nc_u32_e32 v7, v1, v29
	v_add3_u32 v10, v36, v2, v1
	v_ashrrev_i32_e32 v37, 31, v3
	v_xor_b32_e32 v8, s73, v35
	v_cndmask_b32_e32 v3, v4, v11, vcc_lo
	v_mul_hi_u32 v4, v31, v19
	v_ashrrev_i32_e32 v38, 31, v7
	v_add3_u32 v7, v37, v28, v1
	v_xor_b32_e32 v32, v10, v36
	v_xor_b32_e32 v12, s73, v36
	;; [unrolled: 1-line block ×3, first 2 shown]
	v_add3_u32 v10, v38, v29, v1
	v_xor_b32_e32 v33, v7, v37
	v_mul_lo_u32 v11, v4, s68
	v_mul_hi_u32 v7, v32, v19
	v_add_nc_u32_e32 v15, 1, v4
	v_xor_b32_e32 v34, v10, v38
	v_mul_hi_u32 v14, v33, v19
	v_xor_b32_e32 v10, s73, v38
	v_xor_b32_e32 v5, v5, v6
	;; [unrolled: 1-line block ×3, first 2 shown]
	v_sub_nc_u32_e32 v11, v31, v11
	v_mul_lo_u32 v16, v7, s68
	v_mul_hi_u32 v17, v34, v19
	v_add_nc_u32_e32 v18, 1, v7
	v_mul_lo_u32 v39, v14, s68
	v_cmp_le_u32_e32 vcc_lo, s68, v11
	v_subrev_nc_u32_e32 v41, s68, v11
	v_add_nc_u32_e32 v40, 1, v14
	v_cndmask_b32_e32 v4, v4, v15, vcc_lo
	v_sub_nc_u32_e32 v15, v32, v16
	v_mul_lo_u32 v16, v17, s68
	v_cndmask_b32_e32 v11, v11, v41, vcc_lo
	v_sub_nc_u32_e32 v39, v33, v39
	v_add_nc_u32_e32 v41, 1, v4
	v_cmp_le_u32_e32 vcc_lo, s68, v15
	s_delay_alu instid0(VALU_DEP_4)
	v_cmp_le_u32_e64 s0, s68, v11
	v_sub_nc_u32_e32 v16, v34, v16
	v_cndmask_b32_e32 v7, v7, v18, vcc_lo
	v_subrev_nc_u32_e32 v18, s68, v15
	v_add_nc_u32_e32 v42, 1, v17
	v_cndmask_b32_e64 v4, v4, v41, s0
	v_cmp_le_u32_e64 s0, s68, v16
	s_delay_alu instid0(VALU_DEP_4)
	v_cndmask_b32_e32 v11, v15, v18, vcc_lo
	v_cmp_le_u32_e32 vcc_lo, s68, v39
	v_subrev_nc_u32_e32 v18, s68, v39
	v_add_nc_u32_e32 v15, 1, v7
	v_cndmask_b32_e64 v17, v17, v42, s0
	v_cmp_le_u32_e64 s1, s68, v11
	v_cndmask_b32_e32 v14, v14, v40, vcc_lo
	v_subrev_nc_u32_e32 v40, s68, v16
	s_delay_alu instid0(VALU_DEP_4)
	v_dual_cndmask_b32 v11, v39, v18 :: v_dual_add_nc_u32 v18, 1, v17
	v_xor_b32_e32 v4, v4, v8
	v_cndmask_b32_e64 v7, v7, v15, s1
	v_add_nc_u32_e32 v15, 1, v14
	v_cndmask_b32_e64 v16, v16, v40, s0
	v_cmp_le_u32_e32 vcc_lo, s68, v11
	v_sub_nc_u32_e32 v39, v4, v8
	v_xor_b32_e32 v4, v7, v12
	v_cndmask_b32_e32 v7, v14, v15, vcc_lo
	v_cmp_le_u32_e32 vcc_lo, s68, v16
	s_delay_alu instid0(VALU_DEP_3)
	v_sub_nc_u32_e32 v14, v4, v12
	v_sub_nc_u32_e32 v12, v5, v6
	v_mul_lo_u32 v11, v39, s33
	v_xor_b32_e32 v4, v7, v13
	v_cndmask_b32_e32 v8, v17, v18, vcc_lo
	v_mul_lo_u32 v5, v14, s33
	v_sub_nc_u32_e32 v15, v3, v9
	s_delay_alu instid0(VALU_DEP_4) | instskip(NEXT) | instid1(VALU_DEP_4)
	v_sub_nc_u32_e32 v17, v4, v13
	v_xor_b32_e32 v7, v8, v10
	v_mad_u64_u32 v[3:4], null, s86, v12, v[1:2]
	v_sub_nc_u32_e32 v6, v27, v11
	v_sub_nc_u32_e32 v9, v2, v5
	s_delay_alu instid0(VALU_DEP_4) | instskip(SKIP_3) | instid1(VALU_DEP_4)
	v_sub_nc_u32_e32 v18, v7, v10
	v_mad_u64_u32 v[4:5], null, s87, v15, v[1:2]
	v_mul_lo_u32 v7, v17, s33
	v_add_nc_u32_e32 v5, v1, v6
	v_mul_lo_u32 v8, v18, s33
	v_add_nc_u32_e32 v6, v1, v9
	v_mul_lo_u32 v3, v3, s19
	v_mul_lo_u32 v4, v4, s31
	;; [unrolled: 1-line block ×3, first 2 shown]
	v_sub_nc_u32_e32 v7, v28, v7
	v_mul_lo_u32 v6, v6, s27
	v_sub_nc_u32_e32 v8, v29, v8
	s_delay_alu instid0(VALU_DEP_3) | instskip(NEXT) | instid1(VALU_DEP_2)
	v_add_nc_u32_e32 v11, v1, v7
	v_add_nc_u32_e32 v13, v1, v8
	v_mad_u64_u32 v[7:8], null, v12, s18, v[3:4]
	v_mad_u64_u32 v[9:10], null, v39, s26, v[5:6]
	s_delay_alu instid0(VALU_DEP_4) | instskip(NEXT) | instid1(VALU_DEP_4)
	v_mul_lo_u32 v3, v11, s27
	v_mul_lo_u32 v5, v13, s27
	s_delay_alu instid0(VALU_DEP_4) | instskip(NEXT) | instid1(VALU_DEP_4)
	v_mad_u64_u32 v[11:12], null, v14, s26, v[6:7]
	v_ashrrev_i32_e32 v10, 31, v9
	v_ashrrev_i32_e32 v8, 31, v7
	s_delay_alu instid0(VALU_DEP_4)
	v_mad_u64_u32 v[13:14], null, v15, s30, v[4:5]
	v_mad_u64_u32 v[15:16], null, v17, s26, v[3:4]
	;; [unrolled: 1-line block ×3, first 2 shown]
	v_ashrrev_i32_e32 v12, 31, v11
	v_lshlrev_b64 v[5:6], 3, v[9:10]
	v_ashrrev_i32_e32 v14, 31, v13
	v_lshlrev_b64 v[7:8], 3, v[7:8]
	;; [unrolled: 2-line block ×3, first 2 shown]
	v_ashrrev_i32_e32 v4, 31, v3
	v_add_co_u32 v5, vcc_lo, s12, v5
	s_delay_alu instid0(VALU_DEP_4) | instskip(SKIP_1) | instid1(VALU_DEP_4)
	v_lshlrev_b64 v[11:12], 3, v[15:16]
	v_add_co_ci_u32_e32 v6, vcc_lo, s13, v6, vcc_lo
	v_lshlrev_b64 v[3:4], 3, v[3:4]
	v_add_co_u32 v9, vcc_lo, s12, v9
	v_add_co_ci_u32_e32 v10, vcc_lo, s13, v10, vcc_lo
	v_add_co_u32 v11, vcc_lo, s12, v11
	v_add_co_ci_u32_e32 v12, vcc_lo, s13, v12, vcc_lo
	;; [unrolled: 2-line block ×3, first 2 shown]
	v_lshlrev_b64 v[3:4], 3, v[13:14]
	v_add_co_u32 v13, vcc_lo, s16, v7
	v_add_co_ci_u32_e32 v14, vcc_lo, s17, v8, vcc_lo
	s_delay_alu instid0(VALU_DEP_3) | instskip(NEXT) | instid1(VALU_DEP_4)
	v_add_co_u32 v17, vcc_lo, s20, v3
	v_add_co_ci_u32_e32 v18, vcc_lo, s21, v4, vcc_lo
	s_clause 0x3
	global_load_b64 v[3:4], v[5:6], off
	global_load_b64 v[5:6], v[9:10], off
	;; [unrolled: 1-line block ×6, first 2 shown]
	v_mov_b32_e32 v17, 0
	v_mov_b32_e32 v18, 0
	s_delay_alu instid0(VALU_DEP_2) | instskip(SKIP_1) | instid1(VALU_DEP_2)
	v_mov_b32_e32 v13, v17
	s_and_not1_b32 vcc_lo, exec_lo, s65
	v_mov_b32_e32 v14, v18
	s_cbranch_vccnz .LBB17_5
; %bb.4:                                ;   in Loop: Header=BB17_3 Depth=1
	v_mul_hi_u32 v13, v26, v24
	s_delay_alu instid0(VALU_DEP_1) | instskip(NEXT) | instid1(VALU_DEP_1)
	v_mul_lo_u32 v14, v13, s77
	v_sub_nc_u32_e32 v14, v26, v14
	s_delay_alu instid0(VALU_DEP_1) | instskip(SKIP_1) | instid1(VALU_DEP_2)
	v_subrev_nc_u32_e32 v40, s77, v14
	v_cmp_le_u32_e32 vcc_lo, s77, v14
	v_dual_cndmask_b32 v14, v14, v40 :: v_dual_add_nc_u32 v39, 1, v13
	s_delay_alu instid0(VALU_DEP_1) | instskip(SKIP_1) | instid1(VALU_DEP_3)
	v_cndmask_b32_e32 v13, v13, v39, vcc_lo
	v_xor_b32_e32 v40, s83, v30
	v_cmp_le_u32_e32 vcc_lo, s77, v14
	s_delay_alu instid0(VALU_DEP_3) | instskip(NEXT) | instid1(VALU_DEP_1)
	v_add_nc_u32_e32 v39, 1, v13
	v_cndmask_b32_e32 v13, v13, v39, vcc_lo
	s_delay_alu instid0(VALU_DEP_1) | instskip(NEXT) | instid1(VALU_DEP_1)
	v_xor_b32_e32 v13, v13, v40
	v_sub_nc_u32_e32 v41, v13, v40
	s_delay_alu instid0(VALU_DEP_1) | instskip(NEXT) | instid1(VALU_DEP_1)
	v_mad_u64_u32 v[13:14], null, s89, v41, v[1:2]
	v_mul_lo_u32 v13, v13, s11
	s_delay_alu instid0(VALU_DEP_1) | instskip(NEXT) | instid1(VALU_DEP_1)
	v_mad_u64_u32 v[39:40], null, v41, s10, v[13:14]
	v_ashrrev_i32_e32 v40, 31, v39
	s_delay_alu instid0(VALU_DEP_1) | instskip(NEXT) | instid1(VALU_DEP_1)
	v_lshlrev_b64 v[13:14], 3, v[39:40]
	v_add_co_u32 v13, vcc_lo, s6, v13
	s_delay_alu instid0(VALU_DEP_2)
	v_add_co_ci_u32_e32 v14, vcc_lo, s7, v14, vcc_lo
	global_load_b64 v[13:14], v[13:14], off
.LBB17_5:                               ;   in Loop: Header=BB17_3 Depth=1
	s_and_not1_b32 vcc_lo, exec_lo, s66
	s_cbranch_vccnz .LBB17_2
; %bb.6:                                ;   in Loop: Header=BB17_3 Depth=1
	v_mul_hi_u32 v17, v26, v25
	s_delay_alu instid0(VALU_DEP_1) | instskip(NEXT) | instid1(VALU_DEP_1)
	v_mul_lo_u32 v18, v17, s78
	v_sub_nc_u32_e32 v18, v26, v18
	s_delay_alu instid0(VALU_DEP_1) | instskip(SKIP_1) | instid1(VALU_DEP_2)
	v_subrev_nc_u32_e32 v40, s78, v18
	v_cmp_le_u32_e32 vcc_lo, s78, v18
	v_dual_cndmask_b32 v18, v18, v40 :: v_dual_add_nc_u32 v39, 1, v17
	s_delay_alu instid0(VALU_DEP_1) | instskip(SKIP_1) | instid1(VALU_DEP_3)
	v_cndmask_b32_e32 v17, v17, v39, vcc_lo
	v_xor_b32_e32 v40, s84, v30
	v_cmp_le_u32_e32 vcc_lo, s78, v18
	s_delay_alu instid0(VALU_DEP_3) | instskip(NEXT) | instid1(VALU_DEP_1)
	v_add_nc_u32_e32 v39, 1, v17
	v_cndmask_b32_e32 v17, v17, v39, vcc_lo
	s_delay_alu instid0(VALU_DEP_1) | instskip(NEXT) | instid1(VALU_DEP_1)
	v_xor_b32_e32 v17, v17, v40
	v_sub_nc_u32_e32 v41, v17, v40
	s_delay_alu instid0(VALU_DEP_1) | instskip(NEXT) | instid1(VALU_DEP_1)
	v_mad_u64_u32 v[17:18], null, s90, v41, v[1:2]
	v_mul_lo_u32 v17, v17, s23
	s_delay_alu instid0(VALU_DEP_1) | instskip(NEXT) | instid1(VALU_DEP_1)
	v_mad_u64_u32 v[39:40], null, v41, s22, v[17:18]
	v_ashrrev_i32_e32 v40, 31, v39
	s_delay_alu instid0(VALU_DEP_1) | instskip(NEXT) | instid1(VALU_DEP_1)
	v_lshlrev_b64 v[17:18], 3, v[39:40]
	v_add_co_u32 v17, vcc_lo, s8, v17
	s_delay_alu instid0(VALU_DEP_2)
	v_add_co_ci_u32_e32 v18, vcc_lo, s9, v18, vcc_lo
	global_load_b64 v[17:18], v[17:18], off
	s_branch .LBB17_2
.LBB17_7:
	s_nop 0
	s_sendmsg sendmsg(MSG_DEALLOC_VGPRS)
	s_endpgm
	.section	.rodata,"a",@progbits
	.p2align	6, 0x0
	.amdhsa_kernel _ZN2at6native12_GLOBAL__N_16kernel18lstm_cell_backwardIddiLi2EEEvNS_4cuda6detail10TensorInfoIT_T1_EES9_S9_S9_S9_S9_S9_S8_S8_
		.amdhsa_group_segment_fixed_size 0
		.amdhsa_private_segment_fixed_size 0
		.amdhsa_kernarg_size 1776
		.amdhsa_user_sgpr_count 15
		.amdhsa_user_sgpr_dispatch_ptr 0
		.amdhsa_user_sgpr_queue_ptr 0
		.amdhsa_user_sgpr_kernarg_segment_ptr 1
		.amdhsa_user_sgpr_dispatch_id 0
		.amdhsa_user_sgpr_private_segment_size 0
		.amdhsa_wavefront_size32 1
		.amdhsa_uses_dynamic_stack 0
		.amdhsa_enable_private_segment 0
		.amdhsa_system_sgpr_workgroup_id_x 1
		.amdhsa_system_sgpr_workgroup_id_y 0
		.amdhsa_system_sgpr_workgroup_id_z 0
		.amdhsa_system_sgpr_workgroup_info 0
		.amdhsa_system_vgpr_workitem_id 0
		.amdhsa_next_free_vgpr 62
		.amdhsa_next_free_sgpr 91
		.amdhsa_reserve_vcc 1
		.amdhsa_float_round_mode_32 0
		.amdhsa_float_round_mode_16_64 0
		.amdhsa_float_denorm_mode_32 3
		.amdhsa_float_denorm_mode_16_64 3
		.amdhsa_dx10_clamp 1
		.amdhsa_ieee_mode 1
		.amdhsa_fp16_overflow 0
		.amdhsa_workgroup_processor_mode 1
		.amdhsa_memory_ordered 1
		.amdhsa_forward_progress 0
		.amdhsa_shared_vgpr_count 0
		.amdhsa_exception_fp_ieee_invalid_op 0
		.amdhsa_exception_fp_denorm_src 0
		.amdhsa_exception_fp_ieee_div_zero 0
		.amdhsa_exception_fp_ieee_overflow 0
		.amdhsa_exception_fp_ieee_underflow 0
		.amdhsa_exception_fp_ieee_inexact 0
		.amdhsa_exception_int_div_zero 0
	.end_amdhsa_kernel
	.section	.text._ZN2at6native12_GLOBAL__N_16kernel18lstm_cell_backwardIddiLi2EEEvNS_4cuda6detail10TensorInfoIT_T1_EES9_S9_S9_S9_S9_S9_S8_S8_,"axG",@progbits,_ZN2at6native12_GLOBAL__N_16kernel18lstm_cell_backwardIddiLi2EEEvNS_4cuda6detail10TensorInfoIT_T1_EES9_S9_S9_S9_S9_S9_S8_S8_,comdat
.Lfunc_end17:
	.size	_ZN2at6native12_GLOBAL__N_16kernel18lstm_cell_backwardIddiLi2EEEvNS_4cuda6detail10TensorInfoIT_T1_EES9_S9_S9_S9_S9_S9_S8_S8_, .Lfunc_end17-_ZN2at6native12_GLOBAL__N_16kernel18lstm_cell_backwardIddiLi2EEEvNS_4cuda6detail10TensorInfoIT_T1_EES9_S9_S9_S9_S9_S9_S8_S8_
                                        ; -- End function
	.section	.AMDGPU.csdata,"",@progbits
; Kernel info:
; codeLenInByte = 4784
; NumSgprs: 93
; NumVgprs: 62
; ScratchSize: 0
; MemoryBound: 0
; FloatMode: 240
; IeeeMode: 1
; LDSByteSize: 0 bytes/workgroup (compile time only)
; SGPRBlocks: 11
; VGPRBlocks: 7
; NumSGPRsForWavesPerEU: 93
; NumVGPRsForWavesPerEU: 62
; Occupancy: 16
; WaveLimiterHint : 1
; COMPUTE_PGM_RSRC2:SCRATCH_EN: 0
; COMPUTE_PGM_RSRC2:USER_SGPR: 15
; COMPUTE_PGM_RSRC2:TRAP_HANDLER: 0
; COMPUTE_PGM_RSRC2:TGID_X_EN: 1
; COMPUTE_PGM_RSRC2:TGID_Y_EN: 0
; COMPUTE_PGM_RSRC2:TGID_Z_EN: 0
; COMPUTE_PGM_RSRC2:TIDIG_COMP_CNT: 0
	.section	.text._ZN2at6native12_GLOBAL__N_16kernel18lstm_cell_backwardIddlLi1EEEvNS_4cuda6detail10TensorInfoIT_T1_EES9_S9_S9_S9_S9_S9_S8_S8_,"axG",@progbits,_ZN2at6native12_GLOBAL__N_16kernel18lstm_cell_backwardIddlLi1EEEvNS_4cuda6detail10TensorInfoIT_T1_EES9_S9_S9_S9_S9_S9_S8_S8_,comdat
	.globl	_ZN2at6native12_GLOBAL__N_16kernel18lstm_cell_backwardIddlLi1EEEvNS_4cuda6detail10TensorInfoIT_T1_EES9_S9_S9_S9_S9_S9_S8_S8_ ; -- Begin function _ZN2at6native12_GLOBAL__N_16kernel18lstm_cell_backwardIddlLi1EEEvNS_4cuda6detail10TensorInfoIT_T1_EES9_S9_S9_S9_S9_S9_S8_S8_
	.p2align	8
	.type	_ZN2at6native12_GLOBAL__N_16kernel18lstm_cell_backwardIddlLi1EEEvNS_4cuda6detail10TensorInfoIT_T1_EES9_S9_S9_S9_S9_S9_S8_S8_,@function
_ZN2at6native12_GLOBAL__N_16kernel18lstm_cell_backwardIddlLi1EEEvNS_4cuda6detail10TensorInfoIT_T1_EES9_S9_S9_S9_S9_S9_S8_S8_: ; @_ZN2at6native12_GLOBAL__N_16kernel18lstm_cell_backwardIddlLi1EEEvNS_4cuda6detail10TensorInfoIT_T1_EES9_S9_S9_S9_S9_S9_S8_S8_
; %bb.0:
	s_clause 0x1
	s_load_b32 s8, s[0:1], 0xb7c
	s_load_b128 s[4:7], s[0:1], 0xb60
	v_mov_b32_e32 v1, 0
	s_add_u32 s2, s0, 0xb70
	s_addc_u32 s3, s1, 0
	s_waitcnt lgkmcnt(0)
	s_and_b32 s14, s8, 0xffff
	s_mov_b32 s8, exec_lo
	v_mad_u64_u32 v[3:4], null, s15, s14, v[0:1]
	v_mov_b32_e32 v4, v1
	s_delay_alu instid0(VALU_DEP_1)
	v_cmpx_gt_i64_e64 s[6:7], v[3:4]
	s_cbranch_execz .LBB18_11
; %bb.1:
	s_clause 0x2
	s_load_b64 s[16:17], s[0:1], 0x410
	s_load_b64 s[26:27], s[0:1], 0x340
	;; [unrolled: 1-line block ×3, first 2 shown]
	s_load_b32 s15, s[2:3], 0x0
	s_clause 0xa
	s_load_b64 s[20:21], s[0:1], 0x820
	s_load_b64 s[28:29], s[0:1], 0x4e0
	s_load_b64 s[30:31], s[0:1], 0x5b0
	s_load_b64 s[24:25], s[0:1], 0x750
	s_load_b64 s[2:3], s[0:1], 0x0
	s_load_b64 s[8:9], s[0:1], 0xd0
	s_load_b64 s[10:11], s[0:1], 0x1a0
	s_load_b64 s[12:13], s[0:1], 0x270
	s_load_b64 s[50:51], s[0:1], 0x8f0
	s_load_b64 s[18:19], s[0:1], 0x9c0
	s_load_b64 s[0:1], s[0:1], 0xa90
	s_mul_i32 s34, s5, 3
	s_mul_hi_u32 s35, s4, 3
	s_mov_b32 s36, 0x7c89e6b0
	s_mov_b32 s38, 0x14761f6e
	;; [unrolled: 1-line block ×3, first 2 shown]
	s_waitcnt lgkmcnt(0)
	v_mul_lo_u32 v0, 0, s16
	v_mul_lo_u32 v2, v3, s17
	v_mad_u64_u32 v[5:6], null, v3, s16, 0
	s_cmp_lg_u64 s[22:23], 0
	s_mul_i32 s58, s15, s14
	v_mul_lo_u32 v9, 0, s30
	v_mad_u64_u32 v[7:8], null, v3, s30, 0
	v_mad_u64_u32 v[11:12], null, v3, s24, 0
	s_delay_alu instid0(VALU_DEP_4) | instskip(SKIP_3) | instid1(VALU_DEP_4)
	v_add3_u32 v6, v6, v2, v0
	v_mul_lo_u32 v0, v3, s31
	v_mad_u64_u32 v[13:14], null, v3, s50, 0
	v_mul_lo_u32 v2, v3, s1
	v_lshlrev_b64 v[5:6], 3, v[5:6]
	s_cselect_b32 s59, -1, 0
	s_cmp_lg_u64 s[20:21], 0
	s_mul_i32 s1, s58, s1
	s_delay_alu instid0(VALU_DEP_4) | instskip(SKIP_3) | instid1(VALU_DEP_4)
	v_add3_u32 v8, v8, v0, v9
	v_mul_lo_u32 v0, 0, s0
	v_mad_u64_u32 v[9:10], null, v3, s0, 0
	v_add_co_u32 v5, vcc_lo, s26, v5
	v_lshlrev_b64 v[7:8], 3, v[7:8]
	v_add_co_ci_u32_e32 v6, vcc_lo, s27, v6, vcc_lo
	s_mul_hi_u32 s26, s58, s0
	s_delay_alu instid0(VALU_DEP_4) | instskip(SKIP_3) | instid1(VALU_DEP_4)
	v_add3_u32 v10, v10, v2, v0
	v_mul_lo_u32 v0, 0, s24
	v_mul_lo_u32 v2, v3, s25
	v_add_co_u32 v7, vcc_lo, s28, v7
	v_lshlrev_b64 v[9:10], 3, v[9:10]
	v_add_co_ci_u32_e32 v8, vcc_lo, s29, v8, vcc_lo
	s_cselect_b32 s60, -1, 0
	s_mul_i32 s14, s58, s17
	s_delay_alu instid0(VALU_DEP_4) | instskip(SKIP_3) | instid1(VALU_DEP_4)
	v_add3_u32 v12, v12, v2, v0
	v_mul_lo_u32 v0, 0, s50
	v_mul_lo_u32 v2, v3, s51
	v_add_co_u32 v9, vcc_lo, s18, v9
	v_lshlrev_b64 v[11:12], 3, v[11:12]
	v_add_co_ci_u32_e32 v10, vcc_lo, s19, v10, vcc_lo
	s_mul_hi_u32 s15, s58, s16
	s_add_i32 s1, s26, s1
	s_delay_alu instid0(VALU_DEP_4) | instskip(NEXT) | instid1(VALU_DEP_3)
	v_add3_u32 v14, v14, v2, v0
	v_add_co_u32 v11, vcc_lo, s22, v11
	s_mul_i32 s0, s58, s0
	v_add_co_ci_u32_e32 v12, vcc_lo, s23, v12, vcc_lo
	s_delay_alu instid0(VALU_DEP_3)
	v_lshlrev_b64 v[13:14], 3, v[13:14]
	s_add_i32 s15, s15, s14
	s_mul_i32 s14, s58, s16
	s_mul_i32 s16, s58, s31
	s_mul_hi_u32 s17, s58, s30
	s_lshl_b64 s[18:19], s[0:1], 3
	v_add_co_u32 v13, vcc_lo, s20, v13
	s_mul_i32 s0, s58, s25
	s_mul_hi_u32 s1, s58, s24
	s_mul_i32 s22, s58, s51
	s_mul_hi_u32 s23, s58, s50
	v_add_co_ci_u32_e32 v14, vcc_lo, s21, v14, vcc_lo
	s_add_i32 s17, s17, s16
	s_mul_i32 s16, s58, s30
	s_add_i32 s1, s1, s0
	s_mul_i32 s0, s58, s24
	;; [unrolled: 2-line block ×3, first 2 shown]
	s_add_i32 s61, s35, s34
	s_mov_b32 s20, 0x652b82fe
	s_mov_b32 s22, 0xfefa3000
	;; [unrolled: 1-line block ×12, first 2 shown]
	s_mul_i32 s62, s4, 3
	s_lshl_b64 s[14:15], s[14:15], 3
	s_lshl_b64 s[16:17], s[16:17], 3
	s_mov_b32 s21, 0x3ff71547
	s_mov_b32 s23, 0xbfe62e42
	;; [unrolled: 1-line block ×14, first 2 shown]
	s_lshl_b64 s[50:51], s[0:1], 3
	s_lshl_b64 s[52:53], s[52:53], 3
	s_ashr_i32 s54, s5, 31
	s_branch .LBB18_3
.LBB18_2:                               ;   in Loop: Header=BB18_3 Depth=1
	s_waitcnt vmcnt(0)
	v_mul_f64 v[37:38], |v[35:36]|, s[20:21]
	v_cmp_nlt_f64_e64 vcc_lo, 0x40331000, |v[35:36]|
	v_mul_lo_u32 v0, v0, s12
	v_mul_lo_u32 v2, v2, s12
	s_delay_alu instid0(VALU_DEP_4) | instskip(NEXT) | instid1(VALU_DEP_1)
	v_rndne_f64_e32 v[37:38], v[37:38]
	v_fma_f64 v[39:40], v[37:38], s[22:23], |v[35:36]|
	v_mul_f64 v[41:42], v[37:38], s[24:25]
	s_delay_alu instid0(VALU_DEP_2) | instskip(NEXT) | instid1(VALU_DEP_1)
	v_add_f64 v[43:44], v[39:40], 0
	v_add_f64 v[45:46], v[43:44], v[41:42]
	v_add_f64 v[39:40], v[39:40], -v[43:44]
	s_delay_alu instid0(VALU_DEP_2) | instskip(NEXT) | instid1(VALU_DEP_2)
	v_add_f64 v[43:44], v[43:44], -v[45:46]
	v_add_f64 v[39:40], v[39:40], 0
	s_delay_alu instid0(VALU_DEP_2) | instskip(NEXT) | instid1(VALU_DEP_1)
	v_add_f64 v[41:42], v[43:44], v[41:42]
	v_add_f64 v[39:40], v[39:40], v[41:42]
	v_mul_f64 v[41:42], v[37:38], s[26:27]
	s_delay_alu instid0(VALU_DEP_2) | instskip(NEXT) | instid1(VALU_DEP_1)
	v_add_f64 v[43:44], v[45:46], v[39:40]
	v_add_f64 v[47:48], v[43:44], v[41:42]
	v_add_f64 v[45:46], v[45:46], -v[43:44]
	s_delay_alu instid0(VALU_DEP_2) | instskip(NEXT) | instid1(VALU_DEP_2)
	v_add_f64 v[43:44], v[43:44], -v[47:48]
	v_add_f64 v[39:40], v[39:40], v[45:46]
	s_delay_alu instid0(VALU_DEP_2) | instskip(NEXT) | instid1(VALU_DEP_1)
	v_add_f64 v[41:42], v[43:44], v[41:42]
	v_add_f64 v[39:40], v[39:40], v[41:42]
	s_delay_alu instid0(VALU_DEP_1) | instskip(NEXT) | instid1(VALU_DEP_1)
	v_add_f64 v[41:42], v[47:48], v[39:40]
	v_fma_f64 v[43:44], v[41:42], s[30:31], s[28:29]
	v_add_f64 v[45:46], v[47:48], -v[41:42]
	v_mul_f64 v[47:48], v[41:42], v[41:42]
	s_delay_alu instid0(VALU_DEP_3) | instskip(NEXT) | instid1(VALU_DEP_3)
	v_fma_f64 v[43:44], v[41:42], v[43:44], s[34:35]
	v_add_f64 v[39:40], v[39:40], v[45:46]
	s_delay_alu instid0(VALU_DEP_3) | instskip(NEXT) | instid1(VALU_DEP_3)
	v_fma_f64 v[45:46], v[41:42], v[41:42], -v[47:48]
	v_fma_f64 v[43:44], v[41:42], v[43:44], s[36:37]
	s_delay_alu instid0(VALU_DEP_3) | instskip(NEXT) | instid1(VALU_DEP_2)
	v_add_f64 v[49:50], v[39:40], v[39:40]
	v_fma_f64 v[43:44], v[41:42], v[43:44], s[38:39]
	s_delay_alu instid0(VALU_DEP_2) | instskip(NEXT) | instid1(VALU_DEP_2)
	v_fma_f64 v[45:46], v[41:42], v[49:50], v[45:46]
	v_fma_f64 v[43:44], v[41:42], v[43:44], s[40:41]
	s_delay_alu instid0(VALU_DEP_2) | instskip(NEXT) | instid1(VALU_DEP_2)
	v_add_f64 v[49:50], v[47:48], v[45:46]
	v_fma_f64 v[43:44], v[41:42], v[43:44], s[42:43]
	s_delay_alu instid0(VALU_DEP_2) | instskip(NEXT) | instid1(VALU_DEP_2)
	v_add_f64 v[47:48], v[49:50], -v[47:48]
	v_fma_f64 v[43:44], v[41:42], v[43:44], s[44:45]
	s_delay_alu instid0(VALU_DEP_2) | instskip(NEXT) | instid1(VALU_DEP_2)
	v_add_f64 v[45:46], v[45:46], -v[47:48]
	v_fma_f64 v[43:44], v[41:42], v[43:44], s[46:47]
	s_delay_alu instid0(VALU_DEP_1) | instskip(NEXT) | instid1(VALU_DEP_1)
	v_fma_f64 v[43:44], v[41:42], v[43:44], s[48:49]
	v_mul_f64 v[51:52], v[49:50], v[43:44]
	s_delay_alu instid0(VALU_DEP_1) | instskip(NEXT) | instid1(VALU_DEP_1)
	v_fma_f64 v[47:48], v[49:50], v[43:44], -v[51:52]
	v_fma_f64 v[43:44], v[45:46], v[43:44], v[47:48]
	s_delay_alu instid0(VALU_DEP_1) | instskip(NEXT) | instid1(VALU_DEP_1)
	v_add_f64 v[45:46], v[51:52], v[43:44]
	v_add_f64 v[47:48], v[41:42], v[45:46]
	v_add_f64 v[49:50], v[45:46], -v[51:52]
	s_delay_alu instid0(VALU_DEP_2) | instskip(NEXT) | instid1(VALU_DEP_2)
	v_add_f64 v[41:42], v[47:48], -v[41:42]
	v_add_f64 v[43:44], v[43:44], -v[49:50]
	v_cvt_i32_f64_e32 v49, v[37:38]
	s_delay_alu instid0(VALU_DEP_3) | instskip(NEXT) | instid1(VALU_DEP_3)
	v_add_f64 v[41:42], v[45:46], -v[41:42]
	v_add_f64 v[39:40], v[39:40], v[43:44]
	s_delay_alu instid0(VALU_DEP_1) | instskip(NEXT) | instid1(VALU_DEP_1)
	v_add_f64 v[39:40], v[39:40], v[41:42]
	v_add_f64 v[41:42], v[47:48], v[39:40]
	s_delay_alu instid0(VALU_DEP_1) | instskip(SKIP_1) | instid1(VALU_DEP_2)
	v_add_f64 v[43:44], v[41:42], 1.0
	v_add_f64 v[45:46], v[41:42], -v[47:48]
	v_add_f64 v[47:48], v[43:44], -1.0
	s_delay_alu instid0(VALU_DEP_2) | instskip(NEXT) | instid1(VALU_DEP_2)
	v_add_f64 v[39:40], v[39:40], -v[45:46]
	v_add_f64 v[41:42], v[41:42], -v[47:48]
	s_delay_alu instid0(VALU_DEP_1) | instskip(NEXT) | instid1(VALU_DEP_1)
	v_add_f64 v[39:40], v[39:40], v[41:42]
	v_add_f64 v[37:38], v[43:44], v[39:40]
	s_delay_alu instid0(VALU_DEP_1) | instskip(SKIP_1) | instid1(VALU_DEP_2)
	v_ldexp_f64 v[41:42], v[37:38], v49
	v_add_f64 v[37:38], v[37:38], -v[43:44]
	v_rcp_f64_e32 v[45:46], v[41:42]
	s_delay_alu instid0(VALU_DEP_1) | instskip(NEXT) | instid1(VALU_DEP_1)
	v_add_f64 v[37:38], v[39:40], -v[37:38]
	v_ldexp_f64 v[37:38], v[37:38], v49
	s_waitcnt_depctr 0xfff
	v_fma_f64 v[47:48], -v[41:42], v[45:46], 1.0
	s_delay_alu instid0(VALU_DEP_1) | instskip(NEXT) | instid1(VALU_DEP_1)
	v_fma_f64 v[45:46], v[47:48], v[45:46], v[45:46]
	v_fma_f64 v[47:48], -v[41:42], v[45:46], 1.0
	s_delay_alu instid0(VALU_DEP_1) | instskip(NEXT) | instid1(VALU_DEP_1)
	v_fma_f64 v[43:44], v[47:48], v[45:46], v[45:46]
	v_mul_f64 v[39:40], v[41:42], v[43:44]
	s_delay_alu instid0(VALU_DEP_1) | instskip(NEXT) | instid1(VALU_DEP_1)
	v_fma_f64 v[45:46], v[43:44], v[41:42], -v[39:40]
	v_fma_f64 v[45:46], v[43:44], v[37:38], v[45:46]
	s_delay_alu instid0(VALU_DEP_1) | instskip(NEXT) | instid1(VALU_DEP_1)
	v_add_f64 v[47:48], v[39:40], v[45:46]
	v_add_f64 v[49:50], -v[47:48], 1.0
	v_add_f64 v[39:40], v[47:48], -v[39:40]
	s_delay_alu instid0(VALU_DEP_2) | instskip(NEXT) | instid1(VALU_DEP_2)
	v_add_f64 v[51:52], -v[49:50], 1.0
	v_add_f64 v[39:40], v[39:40], -v[45:46]
	s_delay_alu instid0(VALU_DEP_2) | instskip(NEXT) | instid1(VALU_DEP_1)
	v_add_f64 v[45:46], v[51:52], -v[47:48]
	v_add_f64 v[39:40], v[39:40], v[45:46]
	s_delay_alu instid0(VALU_DEP_1) | instskip(NEXT) | instid1(VALU_DEP_1)
	v_add_f64 v[45:46], v[49:50], v[39:40]
	v_mul_f64 v[47:48], v[43:44], v[45:46]
	v_add_f64 v[49:50], v[49:50], -v[45:46]
	s_delay_alu instid0(VALU_DEP_2) | instskip(NEXT) | instid1(VALU_DEP_2)
	v_mul_f64 v[51:52], v[41:42], v[47:48]
	v_add_f64 v[39:40], v[39:40], v[49:50]
	s_delay_alu instid0(VALU_DEP_2) | instskip(NEXT) | instid1(VALU_DEP_1)
	v_fma_f64 v[53:54], v[47:48], v[41:42], -v[51:52]
	v_fma_f64 v[53:54], v[47:48], v[37:38], v[53:54]
	s_delay_alu instid0(VALU_DEP_1) | instskip(NEXT) | instid1(VALU_DEP_1)
	v_add_f64 v[55:56], v[51:52], v[53:54]
	v_add_f64 v[57:58], v[45:46], -v[55:56]
	v_add_f64 v[49:50], v[55:56], -v[51:52]
	s_delay_alu instid0(VALU_DEP_2) | instskip(NEXT) | instid1(VALU_DEP_2)
	v_add_f64 v[45:46], v[45:46], -v[57:58]
	v_add_f64 v[49:50], v[49:50], -v[53:54]
	s_delay_alu instid0(VALU_DEP_2) | instskip(NEXT) | instid1(VALU_DEP_1)
	v_add_f64 v[45:46], v[45:46], -v[55:56]
	v_add_f64 v[39:40], v[39:40], v[45:46]
	v_add_f64 v[45:46], v[43:44], v[47:48]
	s_delay_alu instid0(VALU_DEP_2) | instskip(NEXT) | instid1(VALU_DEP_2)
	v_add_f64 v[39:40], v[49:50], v[39:40]
	v_add_f64 v[49:50], v[45:46], -v[43:44]
	s_delay_alu instid0(VALU_DEP_2) | instskip(NEXT) | instid1(VALU_DEP_2)
	v_add_f64 v[39:40], v[57:58], v[39:40]
	v_add_f64 v[47:48], v[47:48], -v[49:50]
	s_delay_alu instid0(VALU_DEP_2) | instskip(NEXT) | instid1(VALU_DEP_1)
	v_mul_f64 v[39:40], v[43:44], v[39:40]
	v_add_f64 v[39:40], v[47:48], v[39:40]
	s_delay_alu instid0(VALU_DEP_1) | instskip(NEXT) | instid1(VALU_DEP_1)
	v_add_f64 v[43:44], v[45:46], v[39:40]
	v_add_f64 v[47:48], v[41:42], v[43:44]
	v_add_f64 v[45:46], v[43:44], -v[45:46]
	v_add_f64 v[51:52], v[41:42], -v[43:44]
	s_delay_alu instid0(VALU_DEP_3) | instskip(NEXT) | instid1(VALU_DEP_3)
	v_add_f64 v[49:50], v[47:48], -v[41:42]
	v_add_f64 v[39:40], v[39:40], -v[45:46]
	s_delay_alu instid0(VALU_DEP_3) | instskip(NEXT) | instid1(VALU_DEP_3)
	;; [unrolled: 3-line block ×3, first 2 shown]
	v_add_f64 v[49:50], v[37:38], v[39:40]
	v_add_f64 v[41:42], v[41:42], -v[43:44]
	s_delay_alu instid0(VALU_DEP_2) | instskip(NEXT) | instid1(VALU_DEP_2)
	v_add_f64 v[45:46], v[49:50], v[45:46]
	v_add_f64 v[37:38], v[37:38], v[41:42]
	s_delay_alu instid0(VALU_DEP_2) | instskip(NEXT) | instid1(VALU_DEP_2)
	v_add_f64 v[49:50], v[47:48], v[45:46]
	v_add_f64 v[37:38], v[37:38], -v[39:40]
	s_delay_alu instid0(VALU_DEP_2) | instskip(SKIP_1) | instid1(VALU_DEP_1)
	v_rcp_f64_e32 v[53:54], v[49:50]
	v_add_f64 v[47:48], v[49:50], -v[47:48]
	v_add_f64 v[45:46], v[45:46], -v[47:48]
	s_waitcnt_depctr 0xfff
	v_fma_f64 v[43:44], -v[49:50], v[53:54], 1.0
	s_delay_alu instid0(VALU_DEP_1) | instskip(SKIP_1) | instid1(VALU_DEP_2)
	v_fma_f64 v[41:42], v[43:44], v[53:54], v[53:54]
	v_add_f64 v[43:44], v[51:52], v[37:38]
	v_fma_f64 v[39:40], -v[49:50], v[41:42], 1.0
	s_delay_alu instid0(VALU_DEP_1) | instskip(NEXT) | instid1(VALU_DEP_1)
	v_fma_f64 v[39:40], v[39:40], v[41:42], v[41:42]
	v_mul_f64 v[41:42], v[43:44], v[39:40]
	s_delay_alu instid0(VALU_DEP_1) | instskip(NEXT) | instid1(VALU_DEP_1)
	v_mul_f64 v[53:54], v[49:50], v[41:42]
	v_fma_f64 v[47:48], v[41:42], v[49:50], -v[53:54]
	s_delay_alu instid0(VALU_DEP_1) | instskip(NEXT) | instid1(VALU_DEP_1)
	v_fma_f64 v[45:46], v[41:42], v[45:46], v[47:48]
	v_add_f64 v[47:48], v[53:54], v[45:46]
	s_delay_alu instid0(VALU_DEP_1) | instskip(SKIP_1) | instid1(VALU_DEP_2)
	v_add_f64 v[49:50], v[43:44], -v[47:48]
	v_add_f64 v[53:54], v[47:48], -v[53:54]
	;; [unrolled: 1-line block ×4, first 2 shown]
	s_delay_alu instid0(VALU_DEP_3) | instskip(NEXT) | instid1(VALU_DEP_3)
	v_add_f64 v[45:46], v[45:46], -v[53:54]
	v_add_f64 v[47:48], v[55:56], -v[47:48]
	s_delay_alu instid0(VALU_DEP_3) | instskip(NEXT) | instid1(VALU_DEP_2)
	v_add_f64 v[37:38], v[37:38], -v[43:44]
	v_add_f64 v[43:44], v[47:48], -v[45:46]
	v_mul_lo_u32 v45, v17, s12
	v_mul_lo_u32 v46, v18, s13
	;; [unrolled: 1-line block ×4, first 2 shown]
	v_add_f64 v[37:38], v[37:38], v[43:44]
	v_add_f64 v[43:44], -v[25:26], 1.0
	s_delay_alu instid0(VALU_DEP_2) | instskip(NEXT) | instid1(VALU_DEP_1)
	v_add_f64 v[37:38], v[49:50], v[37:38]
	v_mul_f64 v[37:38], v[39:40], v[37:38]
	v_and_b32_e32 v39, 0x7fffffff, v36
	s_delay_alu instid0(VALU_DEP_2) | instskip(NEXT) | instid1(VALU_DEP_1)
	v_add_f64 v[37:38], v[41:42], v[37:38]
	v_cndmask_b32_e32 v38, 0x3ff00000, v38, vcc_lo
	s_delay_alu instid0(VALU_DEP_2) | instskip(SKIP_1) | instid1(VALU_DEP_2)
	v_cndmask_b32_e32 v37, 0, v37, vcc_lo
	v_cmp_gt_f64_e64 vcc_lo, 0x3e400000, |v[35:36]|
	v_cndmask_b32_e32 v35, v37, v35, vcc_lo
	s_delay_alu instid0(VALU_DEP_4) | instskip(SKIP_2) | instid1(VALU_DEP_3)
	v_cndmask_b32_e32 v37, v38, v39, vcc_lo
	v_add_co_u32 v3, vcc_lo, v3, s58
	v_add_co_ci_u32_e32 v4, vcc_lo, 0, v4, vcc_lo
	v_bfi_b32 v36, 0x7fffffff, v37, v36
	v_mul_f64 v[37:38], v[25:26], v[31:32]
	v_add_co_u32 v5, vcc_lo, v5, s14
	v_add_co_ci_u32_e32 v6, vcc_lo, s15, v6, vcc_lo
	s_delay_alu instid0(VALU_DEP_4)
	v_fma_f64 v[39:40], -v[35:36], v[35:36], 1.0
	v_mul_f64 v[31:32], v[35:36], v[31:32]
	v_add_co_u32 v7, vcc_lo, v7, s16
	v_add_co_ci_u32_e32 v8, vcc_lo, s17, v8, vcc_lo
	v_add_co_u32 v11, vcc_lo, v11, s50
	v_add_co_ci_u32_e32 v12, vcc_lo, s51, v12, vcc_lo
	v_fma_f64 v[33:34], v[39:40], v[37:38], v[33:34]
	v_add_f64 v[37:38], -v[23:24], 1.0
	v_add_f64 v[39:40], -v[21:22], 1.0
	v_mul_f64 v[31:32], v[43:44], v[31:32]
	v_mul_lo_u32 v43, v15, s13
	v_mul_lo_u32 v44, v16, s13
	v_mul_f64 v[41:42], v[27:28], v[33:34]
	v_mul_f64 v[29:30], v[29:30], v[33:34]
	v_fma_f64 v[27:28], -v[27:28], v[27:28], 1.0
	v_mul_f64 v[25:26], v[25:26], v[31:32]
	s_delay_alu instid0(VALU_DEP_4) | instskip(NEXT) | instid1(VALU_DEP_4)
	v_mul_f64 v[35:36], v[37:38], v[41:42]
	v_mul_f64 v[29:30], v[39:40], v[29:30]
	;; [unrolled: 1-line block ×3, first 2 shown]
	v_mad_u64_u32 v[39:40], null, v15, s12, 0
	v_mad_u64_u32 v[41:42], null, v16, s12, 0
	;; [unrolled: 1-line block ×4, first 2 shown]
	s_delay_alu instid0(VALU_DEP_4) | instskip(NEXT) | instid1(VALU_DEP_4)
	v_add3_u32 v40, v40, v43, v0
	v_add3_u32 v42, v42, v44, v2
	s_delay_alu instid0(VALU_DEP_4) | instskip(NEXT) | instid1(VALU_DEP_4)
	v_add3_u32 v16, v16, v46, v45
	v_add3_u32 v18, v18, v48, v47
	s_delay_alu instid0(VALU_DEP_3) | instskip(NEXT) | instid1(VALU_DEP_3)
	v_lshlrev_b64 v[31:32], 3, v[41:42]
	v_lshlrev_b64 v[15:16], 3, v[15:16]
	s_delay_alu instid0(VALU_DEP_3)
	v_lshlrev_b64 v[17:18], 3, v[17:18]
	v_mul_f64 v[19:20], v[23:24], v[35:36]
	v_mul_f64 v[23:24], v[21:22], v[29:30]
	;; [unrolled: 1-line block ×4, first 2 shown]
	v_lshlrev_b64 v[29:30], 3, v[39:40]
	s_delay_alu instid0(VALU_DEP_1) | instskip(NEXT) | instid1(VALU_DEP_2)
	v_add_co_u32 v29, vcc_lo, s10, v29
	v_add_co_ci_u32_e32 v30, vcc_lo, s11, v30, vcc_lo
	v_add_co_u32 v31, vcc_lo, s10, v31
	v_add_co_ci_u32_e32 v32, vcc_lo, s11, v32, vcc_lo
	;; [unrolled: 2-line block ×4, first 2 shown]
	v_cmp_le_i64_e32 vcc_lo, s[6:7], v[3:4]
	s_clause 0x3
	global_store_b64 v[29:30], v[19:20], off
	global_store_b64 v[31:32], v[23:24], off
	;; [unrolled: 1-line block ×5, first 2 shown]
	v_add_co_u32 v9, s0, v9, s18
	s_delay_alu instid0(VALU_DEP_1) | instskip(SKIP_1) | instid1(VALU_DEP_1)
	v_add_co_ci_u32_e64 v10, s0, s19, v10, s0
	v_add_co_u32 v13, s0, v13, s52
	v_add_co_ci_u32_e64 v14, s0, s53, v14, s0
	s_or_b32 s33, vcc_lo, s33
	s_delay_alu instid0(SALU_CYCLE_1)
	s_and_not1_b32 exec_lo, exec_lo, s33
	s_cbranch_execz .LBB18_11
.LBB18_3:                               ; =>This Inner Loop Header: Depth=1
	v_or_b32_e32 v2, s5, v4
                                        ; implicit-def: $vgpr17_vgpr18
	s_mov_b32 s0, exec_lo
	s_delay_alu instid0(VALU_DEP_1)
	v_cmpx_ne_u64_e32 0, v[1:2]
	s_xor_b32 s1, exec_lo, s0
	s_cbranch_execz .LBB18_5
; %bb.4:                                ;   in Loop: Header=BB18_3 Depth=1
	s_add_u32 s56, s4, s54
	s_mov_b32 s55, s54
	s_addc_u32 s57, s5, s54
	s_delay_alu instid0(SALU_CYCLE_1) | instskip(NEXT) | instid1(SALU_CYCLE_1)
	s_xor_b64 s[56:57], s[56:57], s[54:55]
	v_cvt_f32_u32_e32 v0, s56
	v_cvt_f32_u32_e32 v2, s57
	s_sub_u32 s0, 0, s56
	s_subb_u32 s55, 0, s57
	s_delay_alu instid0(VALU_DEP_1) | instskip(NEXT) | instid1(VALU_DEP_1)
	v_fmac_f32_e32 v0, 0x4f800000, v2
	v_rcp_f32_e32 v0, v0
	s_waitcnt_depctr 0xfff
	v_mul_f32_e32 v0, 0x5f7ffffc, v0
	s_delay_alu instid0(VALU_DEP_1) | instskip(NEXT) | instid1(VALU_DEP_1)
	v_mul_f32_e32 v2, 0x2f800000, v0
	v_trunc_f32_e32 v2, v2
	s_delay_alu instid0(VALU_DEP_1) | instskip(SKIP_1) | instid1(VALU_DEP_2)
	v_fmac_f32_e32 v0, 0xcf800000, v2
	v_cvt_u32_f32_e32 v2, v2
	v_cvt_u32_f32_e32 v0, v0
	s_delay_alu instid0(VALU_DEP_2) | instskip(NEXT) | instid1(VALU_DEP_2)
	v_mul_lo_u32 v15, s0, v2
	v_mul_hi_u32 v16, s0, v0
	v_mul_lo_u32 v17, s55, v0
	s_delay_alu instid0(VALU_DEP_2) | instskip(SKIP_1) | instid1(VALU_DEP_2)
	v_add_nc_u32_e32 v15, v16, v15
	v_mul_lo_u32 v16, s0, v0
	v_add_nc_u32_e32 v15, v15, v17
	s_delay_alu instid0(VALU_DEP_2) | instskip(NEXT) | instid1(VALU_DEP_2)
	v_mul_hi_u32 v17, v0, v16
	v_mul_lo_u32 v18, v0, v15
	v_mul_hi_u32 v19, v0, v15
	v_mul_hi_u32 v20, v2, v16
	v_mul_lo_u32 v16, v2, v16
	v_mul_hi_u32 v21, v2, v15
	v_mul_lo_u32 v15, v2, v15
	v_add_co_u32 v17, vcc_lo, v17, v18
	v_add_co_ci_u32_e32 v18, vcc_lo, 0, v19, vcc_lo
	s_delay_alu instid0(VALU_DEP_2) | instskip(NEXT) | instid1(VALU_DEP_2)
	v_add_co_u32 v16, vcc_lo, v17, v16
	v_add_co_ci_u32_e32 v16, vcc_lo, v18, v20, vcc_lo
	v_add_co_ci_u32_e32 v17, vcc_lo, 0, v21, vcc_lo
	v_ashrrev_i32_e32 v21, 31, v4
	s_delay_alu instid0(VALU_DEP_3) | instskip(NEXT) | instid1(VALU_DEP_3)
	v_add_co_u32 v15, vcc_lo, v16, v15
	v_add_co_ci_u32_e32 v16, vcc_lo, 0, v17, vcc_lo
	s_delay_alu instid0(VALU_DEP_2) | instskip(NEXT) | instid1(VALU_DEP_2)
	v_add_co_u32 v0, vcc_lo, v0, v15
	v_add_co_ci_u32_e32 v2, vcc_lo, v2, v16, vcc_lo
	s_delay_alu instid0(VALU_DEP_2) | instskip(SKIP_1) | instid1(VALU_DEP_3)
	v_mul_hi_u32 v15, s0, v0
	v_mul_lo_u32 v17, s55, v0
	v_mul_lo_u32 v16, s0, v2
	s_delay_alu instid0(VALU_DEP_1) | instskip(SKIP_1) | instid1(VALU_DEP_2)
	v_add_nc_u32_e32 v15, v15, v16
	v_mul_lo_u32 v16, s0, v0
	v_add_nc_u32_e32 v15, v15, v17
	s_delay_alu instid0(VALU_DEP_2) | instskip(NEXT) | instid1(VALU_DEP_2)
	v_mul_hi_u32 v17, v0, v16
	v_mul_lo_u32 v18, v0, v15
	v_mul_hi_u32 v19, v0, v15
	v_mul_hi_u32 v20, v2, v16
	v_mul_lo_u32 v16, v2, v16
	v_mul_hi_u32 v22, v2, v15
	v_mul_lo_u32 v15, v2, v15
	v_add_co_u32 v17, vcc_lo, v17, v18
	v_add_co_ci_u32_e32 v18, vcc_lo, 0, v19, vcc_lo
	s_delay_alu instid0(VALU_DEP_2) | instskip(NEXT) | instid1(VALU_DEP_2)
	v_add_co_u32 v16, vcc_lo, v17, v16
	v_add_co_ci_u32_e32 v16, vcc_lo, v18, v20, vcc_lo
	v_add_co_ci_u32_e32 v17, vcc_lo, 0, v22, vcc_lo
	v_add_co_u32 v18, vcc_lo, v3, v21
	v_add_co_ci_u32_e32 v19, vcc_lo, v4, v21, vcc_lo
	s_delay_alu instid0(VALU_DEP_4) | instskip(NEXT) | instid1(VALU_DEP_4)
	v_add_co_u32 v15, vcc_lo, v16, v15
	v_add_co_ci_u32_e32 v16, vcc_lo, 0, v17, vcc_lo
	s_delay_alu instid0(VALU_DEP_4) | instskip(NEXT) | instid1(VALU_DEP_3)
	v_xor_b32_e32 v22, v18, v21
	v_add_co_u32 v0, vcc_lo, v0, v15
	s_delay_alu instid0(VALU_DEP_3) | instskip(SKIP_1) | instid1(VALU_DEP_3)
	v_add_co_ci_u32_e32 v2, vcc_lo, v2, v16, vcc_lo
	v_xor_b32_e32 v23, v19, v21
	v_mul_hi_u32 v24, v22, v0
	s_delay_alu instid0(VALU_DEP_3) | instskip(NEXT) | instid1(VALU_DEP_3)
	v_mad_u64_u32 v[15:16], null, v22, v2, 0
	v_mad_u64_u32 v[17:18], null, v23, v0, 0
	;; [unrolled: 1-line block ×3, first 2 shown]
	s_delay_alu instid0(VALU_DEP_3) | instskip(NEXT) | instid1(VALU_DEP_4)
	v_add_co_u32 v0, vcc_lo, v24, v15
	v_add_co_ci_u32_e32 v2, vcc_lo, 0, v16, vcc_lo
	s_delay_alu instid0(VALU_DEP_2) | instskip(NEXT) | instid1(VALU_DEP_2)
	v_add_co_u32 v0, vcc_lo, v0, v17
	v_add_co_ci_u32_e32 v0, vcc_lo, v2, v18, vcc_lo
	v_add_co_ci_u32_e32 v2, vcc_lo, 0, v20, vcc_lo
	s_delay_alu instid0(VALU_DEP_2) | instskip(NEXT) | instid1(VALU_DEP_2)
	v_add_co_u32 v0, vcc_lo, v0, v19
	v_add_co_ci_u32_e32 v2, vcc_lo, 0, v2, vcc_lo
	s_delay_alu instid0(VALU_DEP_2) | instskip(SKIP_1) | instid1(VALU_DEP_3)
	v_mul_lo_u32 v17, s57, v0
	v_mad_u64_u32 v[15:16], null, s56, v0, 0
	v_mul_lo_u32 v18, s56, v2
	s_delay_alu instid0(VALU_DEP_2) | instskip(NEXT) | instid1(VALU_DEP_2)
	v_sub_co_u32 v15, vcc_lo, v22, v15
	v_add3_u32 v16, v16, v18, v17
	s_delay_alu instid0(VALU_DEP_1) | instskip(NEXT) | instid1(VALU_DEP_1)
	v_sub_nc_u32_e32 v17, v23, v16
	v_subrev_co_ci_u32_e64 v17, s0, s57, v17, vcc_lo
	v_add_co_u32 v18, s0, v0, 2
	s_delay_alu instid0(VALU_DEP_1) | instskip(SKIP_3) | instid1(VALU_DEP_3)
	v_add_co_ci_u32_e64 v19, s0, 0, v2, s0
	v_sub_co_u32 v20, s0, v15, s56
	v_sub_co_ci_u32_e32 v16, vcc_lo, v23, v16, vcc_lo
	v_subrev_co_ci_u32_e64 v17, s0, 0, v17, s0
	v_cmp_le_u32_e32 vcc_lo, s56, v20
	s_delay_alu instid0(VALU_DEP_3) | instskip(SKIP_1) | instid1(VALU_DEP_4)
	v_cmp_eq_u32_e64 s0, s57, v16
	v_cndmask_b32_e64 v20, 0, -1, vcc_lo
	v_cmp_le_u32_e32 vcc_lo, s57, v17
	v_cndmask_b32_e64 v22, 0, -1, vcc_lo
	v_cmp_le_u32_e32 vcc_lo, s56, v15
	;; [unrolled: 2-line block ×3, first 2 shown]
	v_cndmask_b32_e64 v23, 0, -1, vcc_lo
	v_cmp_eq_u32_e32 vcc_lo, s57, v17
	s_delay_alu instid0(VALU_DEP_2) | instskip(SKIP_3) | instid1(VALU_DEP_3)
	v_cndmask_b32_e64 v15, v23, v15, s0
	v_cndmask_b32_e32 v17, v22, v20, vcc_lo
	v_add_co_u32 v20, vcc_lo, v0, 1
	v_add_co_ci_u32_e32 v22, vcc_lo, 0, v2, vcc_lo
	v_cmp_ne_u32_e32 vcc_lo, 0, v17
	s_delay_alu instid0(VALU_DEP_2) | instskip(SKIP_2) | instid1(VALU_DEP_3)
	v_dual_cndmask_b32 v16, v22, v19 :: v_dual_cndmask_b32 v17, v20, v18
	v_cmp_ne_u32_e32 vcc_lo, 0, v15
	v_xor_b32_e32 v15, s54, v21
	v_cndmask_b32_e32 v0, v0, v17, vcc_lo
	s_delay_alu instid0(VALU_DEP_4) | instskip(NEXT) | instid1(VALU_DEP_2)
	v_cndmask_b32_e32 v2, v2, v16, vcc_lo
	v_xor_b32_e32 v0, v0, v15
	s_delay_alu instid0(VALU_DEP_2) | instskip(NEXT) | instid1(VALU_DEP_2)
	v_xor_b32_e32 v2, v2, v15
	v_sub_co_u32 v17, vcc_lo, v0, v15
	s_delay_alu instid0(VALU_DEP_2)
	v_sub_co_ci_u32_e32 v18, vcc_lo, v2, v15, vcc_lo
.LBB18_5:                               ;   in Loop: Header=BB18_3 Depth=1
	s_and_not1_saveexec_b32 s0, s1
	s_cbranch_execz .LBB18_7
; %bb.6:                                ;   in Loop: Header=BB18_3 Depth=1
	v_cvt_f32_u32_e32 v0, s4
	s_sub_i32 s1, 0, s4
	v_mov_b32_e32 v18, v1
	s_delay_alu instid0(VALU_DEP_2) | instskip(SKIP_2) | instid1(VALU_DEP_1)
	v_rcp_iflag_f32_e32 v0, v0
	s_waitcnt_depctr 0xfff
	v_mul_f32_e32 v0, 0x4f7ffffe, v0
	v_cvt_u32_f32_e32 v0, v0
	s_delay_alu instid0(VALU_DEP_1) | instskip(NEXT) | instid1(VALU_DEP_1)
	v_mul_lo_u32 v2, s1, v0
	v_mul_hi_u32 v2, v0, v2
	s_delay_alu instid0(VALU_DEP_1) | instskip(NEXT) | instid1(VALU_DEP_1)
	v_add_nc_u32_e32 v0, v0, v2
	v_mul_hi_u32 v0, v3, v0
	s_delay_alu instid0(VALU_DEP_1) | instskip(SKIP_1) | instid1(VALU_DEP_2)
	v_mul_lo_u32 v2, v0, s4
	v_add_nc_u32_e32 v15, 1, v0
	v_sub_nc_u32_e32 v2, v3, v2
	s_delay_alu instid0(VALU_DEP_1) | instskip(SKIP_1) | instid1(VALU_DEP_4)
	v_cmp_le_u32_e32 vcc_lo, s4, v2
	v_subrev_nc_u32_e32 v16, s4, v2
	v_cndmask_b32_e32 v0, v0, v15, vcc_lo
	s_delay_alu instid0(VALU_DEP_1) | instskip(NEXT) | instid1(VALU_DEP_3)
	v_add_nc_u32_e32 v15, 1, v0
	v_cndmask_b32_e32 v2, v2, v16, vcc_lo
	s_delay_alu instid0(VALU_DEP_1) | instskip(NEXT) | instid1(VALU_DEP_3)
	v_cmp_le_u32_e32 vcc_lo, s4, v2
	v_cndmask_b32_e32 v17, v0, v15, vcc_lo
.LBB18_7:                               ;   in Loop: Header=BB18_3 Depth=1
	s_or_b32 exec_lo, exec_lo, s0
	s_delay_alu instid0(VALU_DEP_1) | instskip(SKIP_3) | instid1(VALU_DEP_4)
	v_mad_u64_u32 v[19:20], null, v17, 3, 0
	v_mad_u64_u32 v[15:16], null, s62, v17, v[3:4]
	v_mul_lo_u32 v0, s62, v18
	v_mul_lo_u32 v17, s61, v17
	v_mov_b32_e32 v2, v20
	s_delay_alu instid0(VALU_DEP_4) | instskip(NEXT) | instid1(VALU_DEP_3)
	v_mad_u64_u32 v[22:23], null, v15, s8, 0
	v_add3_u32 v0, v17, v16, v0
	s_delay_alu instid0(VALU_DEP_3) | instskip(SKIP_2) | instid1(VALU_DEP_4)
	v_mad_u64_u32 v[16:17], null, v18, 3, v[2:3]
	v_mul_lo_u32 v2, v15, s9
	v_add_co_u32 v18, vcc_lo, v19, 1
	v_mul_lo_u32 v17, v0, s8
	s_delay_alu instid0(VALU_DEP_2) | instskip(SKIP_1) | instid1(VALU_DEP_3)
	v_mul_lo_u32 v24, s5, v18
	v_mov_b32_e32 v20, v16
	v_add3_u32 v23, v23, v2, v17
	s_delay_alu instid0(VALU_DEP_2) | instskip(SKIP_3) | instid1(VALU_DEP_4)
	v_add_co_ci_u32_e32 v2, vcc_lo, 0, v20, vcc_lo
	v_add_co_u32 v21, vcc_lo, v19, 2
	v_mad_u64_u32 v[16:17], null, s4, v18, v[3:4]
	v_add_co_ci_u32_e32 v25, vcc_lo, 0, v20, vcc_lo
	v_mul_lo_u32 v2, s4, v2
	v_add_co_u32 v27, vcc_lo, v19, 3
	v_add_co_ci_u32_e32 v28, vcc_lo, 0, v20, vcc_lo
	v_mul_lo_u32 v26, s5, v21
	v_mad_u64_u32 v[18:19], null, s4, v21, v[3:4]
	v_mul_lo_u32 v30, s4, v25
	v_mul_lo_u32 v29, s5, v27
	v_mad_u64_u32 v[20:21], null, s4, v27, v[3:4]
	v_add3_u32 v2, v24, v17, v2
	v_mul_lo_u32 v28, s4, v28
	v_mul_lo_u32 v31, v16, s9
	v_mad_u64_u32 v[24:25], null, v16, s8, 0
	s_delay_alu instid0(VALU_DEP_4) | instskip(SKIP_4) | instid1(VALU_DEP_4)
	v_mul_lo_u32 v32, v2, s8
	v_add3_u32 v17, v26, v19, v30
	v_mul_lo_u32 v30, v18, s9
	v_mad_u64_u32 v[26:27], null, v18, s8, 0
	v_add3_u32 v19, v29, v21, v28
	v_mul_lo_u32 v33, v17, s8
	v_mad_u64_u32 v[28:29], null, v20, s8, 0
	v_add3_u32 v25, v25, v31, v32
	v_mul_lo_u32 v31, v20, s9
	v_mul_lo_u32 v32, v19, s8
	v_lshlrev_b64 v[22:23], 3, v[22:23]
	v_add3_u32 v27, v27, v30, v33
	v_lshlrev_b64 v[24:25], 3, v[24:25]
	s_delay_alu instid0(VALU_DEP_3) | instskip(SKIP_1) | instid1(VALU_DEP_4)
	v_add_co_u32 v21, vcc_lo, s2, v22
	v_add3_u32 v29, v29, v31, v32
	v_lshlrev_b64 v[26:27], 3, v[26:27]
	v_add_co_ci_u32_e32 v22, vcc_lo, s3, v23, vcc_lo
	v_add_co_u32 v30, vcc_lo, s2, v24
	s_delay_alu instid0(VALU_DEP_4) | instskip(SKIP_3) | instid1(VALU_DEP_4)
	v_lshlrev_b64 v[23:24], 3, v[28:29]
	v_add_co_ci_u32_e32 v31, vcc_lo, s3, v25, vcc_lo
	v_add_co_u32 v25, vcc_lo, s2, v26
	v_add_co_ci_u32_e32 v26, vcc_lo, s3, v27, vcc_lo
	v_add_co_u32 v32, vcc_lo, s2, v23
	v_add_co_ci_u32_e32 v33, vcc_lo, s3, v24, vcc_lo
	s_clause 0x3
	global_load_b64 v[23:24], v[21:22], off
	global_load_b64 v[21:22], v[30:31], off
	;; [unrolled: 1-line block ×6, first 2 shown]
	v_mov_b32_e32 v33, 0
	v_mov_b32_e32 v34, 0
	s_delay_alu instid0(VALU_DEP_2) | instskip(SKIP_1) | instid1(VALU_DEP_2)
	v_mov_b32_e32 v31, v33
	s_and_not1_b32 vcc_lo, exec_lo, s59
	v_mov_b32_e32 v32, v34
	s_cbranch_vccnz .LBB18_9
; %bb.8:                                ;   in Loop: Header=BB18_3 Depth=1
	global_load_b64 v[31:32], v[11:12], off
.LBB18_9:                               ;   in Loop: Header=BB18_3 Depth=1
	s_and_not1_b32 vcc_lo, exec_lo, s60
	s_cbranch_vccnz .LBB18_2
; %bb.10:                               ;   in Loop: Header=BB18_3 Depth=1
	global_load_b64 v[33:34], v[13:14], off
	s_branch .LBB18_2
.LBB18_11:
	s_nop 0
	s_sendmsg sendmsg(MSG_DEALLOC_VGPRS)
	s_endpgm
	.section	.rodata,"a",@progbits
	.p2align	6, 0x0
	.amdhsa_kernel _ZN2at6native12_GLOBAL__N_16kernel18lstm_cell_backwardIddlLi1EEEvNS_4cuda6detail10TensorInfoIT_T1_EES9_S9_S9_S9_S9_S9_S8_S8_
		.amdhsa_group_segment_fixed_size 0
		.amdhsa_private_segment_fixed_size 0
		.amdhsa_kernarg_size 3184
		.amdhsa_user_sgpr_count 15
		.amdhsa_user_sgpr_dispatch_ptr 0
		.amdhsa_user_sgpr_queue_ptr 0
		.amdhsa_user_sgpr_kernarg_segment_ptr 1
		.amdhsa_user_sgpr_dispatch_id 0
		.amdhsa_user_sgpr_private_segment_size 0
		.amdhsa_wavefront_size32 1
		.amdhsa_uses_dynamic_stack 0
		.amdhsa_enable_private_segment 0
		.amdhsa_system_sgpr_workgroup_id_x 1
		.amdhsa_system_sgpr_workgroup_id_y 0
		.amdhsa_system_sgpr_workgroup_id_z 0
		.amdhsa_system_sgpr_workgroup_info 0
		.amdhsa_system_vgpr_workitem_id 0
		.amdhsa_next_free_vgpr 59
		.amdhsa_next_free_sgpr 63
		.amdhsa_reserve_vcc 1
		.amdhsa_float_round_mode_32 0
		.amdhsa_float_round_mode_16_64 0
		.amdhsa_float_denorm_mode_32 3
		.amdhsa_float_denorm_mode_16_64 3
		.amdhsa_dx10_clamp 1
		.amdhsa_ieee_mode 1
		.amdhsa_fp16_overflow 0
		.amdhsa_workgroup_processor_mode 1
		.amdhsa_memory_ordered 1
		.amdhsa_forward_progress 0
		.amdhsa_shared_vgpr_count 0
		.amdhsa_exception_fp_ieee_invalid_op 0
		.amdhsa_exception_fp_denorm_src 0
		.amdhsa_exception_fp_ieee_div_zero 0
		.amdhsa_exception_fp_ieee_overflow 0
		.amdhsa_exception_fp_ieee_underflow 0
		.amdhsa_exception_fp_ieee_inexact 0
		.amdhsa_exception_int_div_zero 0
	.end_amdhsa_kernel
	.section	.text._ZN2at6native12_GLOBAL__N_16kernel18lstm_cell_backwardIddlLi1EEEvNS_4cuda6detail10TensorInfoIT_T1_EES9_S9_S9_S9_S9_S9_S8_S8_,"axG",@progbits,_ZN2at6native12_GLOBAL__N_16kernel18lstm_cell_backwardIddlLi1EEEvNS_4cuda6detail10TensorInfoIT_T1_EES9_S9_S9_S9_S9_S9_S8_S8_,comdat
.Lfunc_end18:
	.size	_ZN2at6native12_GLOBAL__N_16kernel18lstm_cell_backwardIddlLi1EEEvNS_4cuda6detail10TensorInfoIT_T1_EES9_S9_S9_S9_S9_S9_S8_S8_, .Lfunc_end18-_ZN2at6native12_GLOBAL__N_16kernel18lstm_cell_backwardIddlLi1EEEvNS_4cuda6detail10TensorInfoIT_T1_EES9_S9_S9_S9_S9_S9_S8_S8_
                                        ; -- End function
	.section	.AMDGPU.csdata,"",@progbits
; Kernel info:
; codeLenInByte = 4328
; NumSgprs: 65
; NumVgprs: 59
; ScratchSize: 0
; MemoryBound: 0
; FloatMode: 240
; IeeeMode: 1
; LDSByteSize: 0 bytes/workgroup (compile time only)
; SGPRBlocks: 8
; VGPRBlocks: 7
; NumSGPRsForWavesPerEU: 65
; NumVGPRsForWavesPerEU: 59
; Occupancy: 16
; WaveLimiterHint : 1
; COMPUTE_PGM_RSRC2:SCRATCH_EN: 0
; COMPUTE_PGM_RSRC2:USER_SGPR: 15
; COMPUTE_PGM_RSRC2:TRAP_HANDLER: 0
; COMPUTE_PGM_RSRC2:TGID_X_EN: 1
; COMPUTE_PGM_RSRC2:TGID_Y_EN: 0
; COMPUTE_PGM_RSRC2:TGID_Z_EN: 0
; COMPUTE_PGM_RSRC2:TIDIG_COMP_CNT: 0
	.section	.text._ZN2at6native12_GLOBAL__N_16kernel18lstm_cell_backwardIddlLi2EEEvNS_4cuda6detail10TensorInfoIT_T1_EES9_S9_S9_S9_S9_S9_S8_S8_,"axG",@progbits,_ZN2at6native12_GLOBAL__N_16kernel18lstm_cell_backwardIddlLi2EEEvNS_4cuda6detail10TensorInfoIT_T1_EES9_S9_S9_S9_S9_S9_S8_S8_,comdat
	.globl	_ZN2at6native12_GLOBAL__N_16kernel18lstm_cell_backwardIddlLi2EEEvNS_4cuda6detail10TensorInfoIT_T1_EES9_S9_S9_S9_S9_S9_S8_S8_ ; -- Begin function _ZN2at6native12_GLOBAL__N_16kernel18lstm_cell_backwardIddlLi2EEEvNS_4cuda6detail10TensorInfoIT_T1_EES9_S9_S9_S9_S9_S9_S8_S8_
	.p2align	8
	.type	_ZN2at6native12_GLOBAL__N_16kernel18lstm_cell_backwardIddlLi2EEEvNS_4cuda6detail10TensorInfoIT_T1_EES9_S9_S9_S9_S9_S9_S8_S8_,@function
_ZN2at6native12_GLOBAL__N_16kernel18lstm_cell_backwardIddlLi2EEEvNS_4cuda6detail10TensorInfoIT_T1_EES9_S9_S9_S9_S9_S9_S8_S8_: ; @_ZN2at6native12_GLOBAL__N_16kernel18lstm_cell_backwardIddlLi2EEEvNS_4cuda6detail10TensorInfoIT_T1_EES9_S9_S9_S9_S9_S9_S8_S8_
; %bb.0:
	s_clause 0x1
	s_load_b32 s8, s[0:1], 0xb7c
	s_load_b128 s[4:7], s[0:1], 0xb60
	v_mov_b32_e32 v1, 0
	s_add_u32 s2, s0, 0xb70
	s_addc_u32 s3, s1, 0
	s_waitcnt lgkmcnt(0)
	s_and_b32 s66, s8, 0xffff
	s_mov_b32 s8, exec_lo
	v_mad_u64_u32 v[3:4], null, s15, s66, v[0:1]
	v_mov_b32_e32 v4, v1
	s_delay_alu instid0(VALU_DEP_1)
	v_cmpx_gt_i64_e64 s[6:7], v[3:4]
	s_cbranch_execz .LBB19_64
; %bb.1:
	s_clause 0x4
	s_load_b64 s[34:35], s[0:1], 0x680
	s_load_b128 s[8:11], s[0:1], 0x750
	s_load_b64 s[40:41], s[0:1], 0x820
	s_load_b64 s[42:43], s[0:1], 0x0
	;; [unrolled: 1-line block ×3, first 2 shown]
	s_load_b32 s2, s[2:3], 0x0
	s_clause 0xc
	s_load_b128 s[12:15], s[0:1], 0xd0
	s_load_b64 s[46:47], s[0:1], 0x1a0
	s_load_b64 s[48:49], s[0:1], 0x1b0
	s_load_b128 s[16:19], s[0:1], 0x270
	s_load_b64 s[50:51], s[0:1], 0x340
	s_load_b64 s[52:53], s[0:1], 0x350
	;; [unrolled: 3-line block ×3, first 2 shown]
	s_load_b64 s[58:59], s[0:1], 0x9c0
	s_load_b64 s[60:61], s[0:1], 0x9d0
	s_load_b128 s[24:27], s[0:1], 0x5b0
	s_load_b64 s[62:63], s[0:1], 0x690
	v_cvt_f32_u32_e32 v0, s4
	s_clause 0x2
	s_load_b64 s[64:65], s[0:1], 0x830
	s_load_b128 s[28:31], s[0:1], 0x8f0
	s_load_b128 s[36:39], s[0:1], 0xa90
	s_waitcnt lgkmcnt(0)
	s_cmp_lg_u64 s[34:35], 0
	s_mul_i32 s0, s5, 3
	v_rcp_iflag_f32_e32 v0, v0
	s_cselect_b32 s33, -1, 0
	s_cmp_lg_u64 s[40:41], 0
	s_mul_hi_u32 s1, s4, 3
	s_cselect_b32 s96, -1, 0
	s_add_i32 s99, s1, s0
	s_mul_i32 s71, s2, s66
	s_sub_u32 s101, 0, s52
	s_subb_u32 s102, 0, s53
	s_mov_b32 s72, 0xf97b57a0
	s_waitcnt_depctr 0xfff
	v_mul_f32_e32 v0, 0x4f7ffffe, v0
	s_sub_u32 s103, 0, s56
	s_subb_u32 s104, 0, s57
	s_sub_u32 vcc_hi, 0, s60
	s_subb_u32 s97, 0, s61
	s_sub_u32 s66, 0, s62
	v_cvt_u32_f32_e32 v0, v0
	s_subb_u32 s67, 0, s63
	s_sub_u32 s68, 0, s64
	s_mov_b32 s74, 0xfca7ab0c
	s_mov_b32 s76, 0x6a5dcb37
	;; [unrolled: 1-line block ×11, first 2 shown]
	s_mul_i32 s100, s4, 3
	s_subb_u32 s69, 0, s65
	s_mov_b32 s73, 0xbac9cc01
	s_mov_b32 s75, 0x3e928af3
	;; [unrolled: 1-line block ×11, first 2 shown]
	s_branch .LBB19_4
.LBB19_2:                               ;   in Loop: Header=BB19_4 Depth=1
	s_or_b32 exec_lo, exec_lo, s0
	s_delay_alu instid0(VALU_DEP_1) | instskip(NEXT) | instid1(VALU_DEP_2)
	v_mad_u64_u32 v[39:40], null, s68, v37, v[3:4]
	v_mul_lo_u32 v2, s68, v38
	v_mul_lo_u32 v41, s69, v37
	;; [unrolled: 1-line block ×5, first 2 shown]
	s_delay_alu instid0(VALU_DEP_4) | instskip(SKIP_2) | instid1(VALU_DEP_3)
	v_add3_u32 v2, v41, v40, v2
	v_mad_u64_u32 v[40:41], null, v37, s28, 0
	v_mad_u64_u32 v[37:38], null, v39, s30, 0
	v_mul_lo_u32 v2, v2, s30
	s_delay_alu instid0(VALU_DEP_3) | instskip(NEXT) | instid1(VALU_DEP_2)
	v_add3_u32 v41, v41, v43, v42
	v_add3_u32 v38, v38, v44, v2
	s_delay_alu instid0(VALU_DEP_2) | instskip(NEXT) | instid1(VALU_DEP_2)
	v_lshlrev_b64 v[39:40], 3, v[40:41]
	v_lshlrev_b64 v[37:38], 3, v[37:38]
	s_delay_alu instid0(VALU_DEP_2) | instskip(NEXT) | instid1(VALU_DEP_3)
	v_add_co_u32 v2, vcc_lo, s40, v39
	v_add_co_ci_u32_e32 v39, vcc_lo, s41, v40, vcc_lo
	s_delay_alu instid0(VALU_DEP_2) | instskip(NEXT) | instid1(VALU_DEP_2)
	v_add_co_u32 v37, vcc_lo, v2, v37
	v_add_co_ci_u32_e32 v38, vcc_lo, v39, v38, vcc_lo
	global_load_b64 v[37:38], v[37:38], off
.LBB19_3:                               ;   in Loop: Header=BB19_4 Depth=1
	s_mov_b32 s0, 0x652b82fe
	s_mov_b32 s1, 0x3ff71547
	s_waitcnt vmcnt(0)
	v_cmp_nlt_f64_e64 vcc_lo, 0x40331000, |v[33:34]|
	v_mul_f64 v[39:40], |v[33:34]|, s[0:1]
	s_mov_b32 s0, 0xfefa3000
	s_mov_b32 s1, 0xbfe62e42
	s_delay_alu instid0(VALU_DEP_1) | instskip(NEXT) | instid1(VALU_DEP_1)
	v_rndne_f64_e32 v[39:40], v[39:40]
	v_fma_f64 v[41:42], v[39:40], s[0:1], |v[33:34]|
	s_mov_b32 s0, 0xf278e000
	s_mov_b32 s1, 0xbd53de6a
	v_cvt_i32_f64_e32 v2, v[39:40]
	v_mul_f64 v[45:46], v[39:40], s[0:1]
	s_delay_alu instid0(VALU_DEP_3) | instskip(NEXT) | instid1(VALU_DEP_1)
	v_add_f64 v[43:44], v[41:42], 0
	v_add_f64 v[47:48], v[43:44], v[45:46]
	v_add_f64 v[41:42], v[41:42], -v[43:44]
	s_delay_alu instid0(VALU_DEP_2) | instskip(NEXT) | instid1(VALU_DEP_2)
	v_add_f64 v[43:44], v[43:44], -v[47:48]
	v_add_f64 v[41:42], v[41:42], 0
	s_delay_alu instid0(VALU_DEP_2) | instskip(NEXT) | instid1(VALU_DEP_1)
	v_add_f64 v[43:44], v[43:44], v[45:46]
	v_add_f64 v[41:42], v[41:42], v[43:44]
	s_delay_alu instid0(VALU_DEP_1) | instskip(NEXT) | instid1(VALU_DEP_1)
	v_add_f64 v[43:44], v[47:48], v[41:42]
	v_add_f64 v[45:46], v[47:48], -v[43:44]
	s_delay_alu instid0(VALU_DEP_1) | instskip(SKIP_1) | instid1(VALU_DEP_1)
	v_add_f64 v[41:42], v[41:42], v[45:46]
	v_mul_f64 v[45:46], v[39:40], s[72:73]
	v_add_f64 v[47:48], v[43:44], v[45:46]
	s_delay_alu instid0(VALU_DEP_1) | instskip(NEXT) | instid1(VALU_DEP_1)
	v_add_f64 v[43:44], v[43:44], -v[47:48]
	v_add_f64 v[43:44], v[43:44], v[45:46]
	s_delay_alu instid0(VALU_DEP_1) | instskip(NEXT) | instid1(VALU_DEP_1)
	v_add_f64 v[41:42], v[41:42], v[43:44]
	v_add_f64 v[43:44], v[47:48], v[41:42]
	s_delay_alu instid0(VALU_DEP_1) | instskip(NEXT) | instid1(VALU_DEP_1)
	v_add_f64 v[45:46], v[47:48], -v[43:44]
	v_add_f64 v[41:42], v[41:42], v[45:46]
	v_mul_f64 v[45:46], v[43:44], v[43:44]
	s_delay_alu instid0(VALU_DEP_2) | instskip(NEXT) | instid1(VALU_DEP_2)
	v_add_f64 v[49:50], v[41:42], v[41:42]
	v_fma_f64 v[47:48], v[43:44], v[43:44], -v[45:46]
	s_delay_alu instid0(VALU_DEP_1) | instskip(NEXT) | instid1(VALU_DEP_1)
	v_fma_f64 v[47:48], v[43:44], v[49:50], v[47:48]
	v_add_f64 v[49:50], v[45:46], v[47:48]
	s_delay_alu instid0(VALU_DEP_1) | instskip(NEXT) | instid1(VALU_DEP_1)
	v_add_f64 v[45:46], v[49:50], -v[45:46]
	v_add_f64 v[45:46], v[47:48], -v[45:46]
	v_fma_f64 v[47:48], v[43:44], s[76:77], s[74:75]
	s_delay_alu instid0(VALU_DEP_1) | instskip(NEXT) | instid1(VALU_DEP_1)
	v_fma_f64 v[47:48], v[43:44], v[47:48], s[78:79]
	v_fma_f64 v[47:48], v[43:44], v[47:48], s[80:81]
	s_delay_alu instid0(VALU_DEP_1) | instskip(NEXT) | instid1(VALU_DEP_1)
	v_fma_f64 v[47:48], v[43:44], v[47:48], s[82:83]
	;; [unrolled: 3-line block ×4, first 2 shown]
	v_fma_f64 v[47:48], v[43:44], v[47:48], s[92:93]
	s_delay_alu instid0(VALU_DEP_1) | instskip(NEXT) | instid1(VALU_DEP_1)
	v_mul_f64 v[51:52], v[49:50], v[47:48]
	v_fma_f64 v[49:50], v[49:50], v[47:48], -v[51:52]
	s_delay_alu instid0(VALU_DEP_1) | instskip(NEXT) | instid1(VALU_DEP_1)
	v_fma_f64 v[45:46], v[45:46], v[47:48], v[49:50]
	v_add_f64 v[47:48], v[51:52], v[45:46]
	s_delay_alu instid0(VALU_DEP_1) | instskip(NEXT) | instid1(VALU_DEP_1)
	v_add_f64 v[49:50], v[47:48], -v[51:52]
	v_add_f64 v[45:46], v[45:46], -v[49:50]
	v_add_f64 v[49:50], v[43:44], v[47:48]
	s_delay_alu instid0(VALU_DEP_2) | instskip(NEXT) | instid1(VALU_DEP_2)
	v_add_f64 v[41:42], v[41:42], v[45:46]
	v_add_f64 v[43:44], v[49:50], -v[43:44]
	s_delay_alu instid0(VALU_DEP_1) | instskip(NEXT) | instid1(VALU_DEP_1)
	v_add_f64 v[43:44], v[47:48], -v[43:44]
	v_add_f64 v[41:42], v[41:42], v[43:44]
	s_delay_alu instid0(VALU_DEP_1) | instskip(NEXT) | instid1(VALU_DEP_1)
	v_add_f64 v[43:44], v[49:50], v[41:42]
	v_add_f64 v[45:46], v[43:44], -v[49:50]
	s_delay_alu instid0(VALU_DEP_1) | instskip(SKIP_1) | instid1(VALU_DEP_1)
	v_add_f64 v[41:42], v[41:42], -v[45:46]
	v_add_f64 v[45:46], v[43:44], 1.0
	v_add_f64 v[47:48], v[45:46], -1.0
	s_delay_alu instid0(VALU_DEP_1) | instskip(NEXT) | instid1(VALU_DEP_1)
	v_add_f64 v[43:44], v[43:44], -v[47:48]
	v_add_f64 v[41:42], v[41:42], v[43:44]
	s_delay_alu instid0(VALU_DEP_1) | instskip(NEXT) | instid1(VALU_DEP_1)
	v_add_f64 v[39:40], v[45:46], v[41:42]
	v_add_f64 v[43:44], v[39:40], -v[45:46]
	v_ldexp_f64 v[39:40], v[39:40], v2
	s_delay_alu instid0(VALU_DEP_2) | instskip(NEXT) | instid1(VALU_DEP_2)
	v_add_f64 v[41:42], v[41:42], -v[43:44]
	v_rcp_f64_e32 v[45:46], v[39:40]
	s_delay_alu instid0(VALU_DEP_1) | instskip(SKIP_2) | instid1(VALU_DEP_1)
	v_ldexp_f64 v[41:42], v[41:42], v2
	s_waitcnt_depctr 0xfff
	v_fma_f64 v[47:48], -v[39:40], v[45:46], 1.0
	v_fma_f64 v[45:46], v[47:48], v[45:46], v[45:46]
	s_delay_alu instid0(VALU_DEP_1) | instskip(NEXT) | instid1(VALU_DEP_1)
	v_fma_f64 v[43:44], -v[39:40], v[45:46], 1.0
	v_fma_f64 v[43:44], v[43:44], v[45:46], v[45:46]
	s_delay_alu instid0(VALU_DEP_1) | instskip(NEXT) | instid1(VALU_DEP_1)
	v_mul_f64 v[45:46], v[39:40], v[43:44]
	v_fma_f64 v[47:48], v[43:44], v[39:40], -v[45:46]
	s_delay_alu instid0(VALU_DEP_1) | instskip(NEXT) | instid1(VALU_DEP_1)
	v_fma_f64 v[47:48], v[43:44], v[41:42], v[47:48]
	v_add_f64 v[49:50], v[45:46], v[47:48]
	s_delay_alu instid0(VALU_DEP_1) | instskip(NEXT) | instid1(VALU_DEP_1)
	v_add_f64 v[45:46], v[49:50], -v[45:46]
	v_add_f64 v[45:46], v[45:46], -v[47:48]
	v_add_f64 v[47:48], -v[49:50], 1.0
	s_delay_alu instid0(VALU_DEP_1) | instskip(NEXT) | instid1(VALU_DEP_1)
	v_add_f64 v[51:52], -v[47:48], 1.0
	v_add_f64 v[49:50], v[51:52], -v[49:50]
	s_delay_alu instid0(VALU_DEP_1) | instskip(NEXT) | instid1(VALU_DEP_1)
	v_add_f64 v[45:46], v[45:46], v[49:50]
	v_add_f64 v[49:50], v[47:48], v[45:46]
	s_delay_alu instid0(VALU_DEP_1) | instskip(NEXT) | instid1(VALU_DEP_1)
	v_add_f64 v[47:48], v[47:48], -v[49:50]
	v_add_f64 v[45:46], v[45:46], v[47:48]
	v_mul_f64 v[47:48], v[43:44], v[49:50]
	s_delay_alu instid0(VALU_DEP_1) | instskip(NEXT) | instid1(VALU_DEP_1)
	v_mul_f64 v[51:52], v[39:40], v[47:48]
	v_fma_f64 v[53:54], v[47:48], v[39:40], -v[51:52]
	s_delay_alu instid0(VALU_DEP_1) | instskip(NEXT) | instid1(VALU_DEP_1)
	v_fma_f64 v[53:54], v[47:48], v[41:42], v[53:54]
	v_add_f64 v[55:56], v[51:52], v[53:54]
	s_delay_alu instid0(VALU_DEP_1) | instskip(SKIP_1) | instid1(VALU_DEP_2)
	v_add_f64 v[57:58], v[49:50], -v[55:56]
	v_add_f64 v[51:52], v[55:56], -v[51:52]
	;; [unrolled: 1-line block ×3, first 2 shown]
	s_delay_alu instid0(VALU_DEP_2) | instskip(NEXT) | instid1(VALU_DEP_2)
	v_add_f64 v[51:52], v[51:52], -v[53:54]
	v_add_f64 v[49:50], v[49:50], -v[55:56]
	s_delay_alu instid0(VALU_DEP_1) | instskip(SKIP_1) | instid1(VALU_DEP_2)
	v_add_f64 v[45:46], v[45:46], v[49:50]
	v_add_f64 v[49:50], v[43:44], v[47:48]
	;; [unrolled: 1-line block ×3, first 2 shown]
	s_delay_alu instid0(VALU_DEP_2) | instskip(NEXT) | instid1(VALU_DEP_2)
	v_add_f64 v[51:52], v[49:50], -v[43:44]
	v_add_f64 v[45:46], v[57:58], v[45:46]
	s_delay_alu instid0(VALU_DEP_2) | instskip(NEXT) | instid1(VALU_DEP_2)
	v_add_f64 v[47:48], v[47:48], -v[51:52]
	v_mul_f64 v[43:44], v[43:44], v[45:46]
	s_delay_alu instid0(VALU_DEP_1) | instskip(NEXT) | instid1(VALU_DEP_1)
	v_add_f64 v[43:44], v[47:48], v[43:44]
	v_add_f64 v[45:46], v[49:50], v[43:44]
	s_delay_alu instid0(VALU_DEP_1) | instskip(SKIP_1) | instid1(VALU_DEP_2)
	v_add_f64 v[47:48], v[45:46], -v[49:50]
	v_add_f64 v[49:50], v[39:40], v[45:46]
	v_add_f64 v[43:44], v[43:44], -v[47:48]
	v_add_f64 v[47:48], v[39:40], -v[45:46]
	s_delay_alu instid0(VALU_DEP_1) | instskip(NEXT) | instid1(VALU_DEP_4)
	v_add_f64 v[51:52], v[39:40], -v[47:48]
	v_add_f64 v[39:40], v[49:50], -v[39:40]
	s_delay_alu instid0(VALU_DEP_2) | instskip(NEXT) | instid1(VALU_DEP_2)
	v_add_f64 v[51:52], v[51:52], -v[45:46]
	v_add_f64 v[39:40], v[45:46], -v[39:40]
	s_delay_alu instid0(VALU_DEP_2) | instskip(SKIP_1) | instid1(VALU_DEP_1)
	v_add_f64 v[45:46], v[41:42], v[51:52]
	v_add_f64 v[41:42], v[41:42], v[43:44]
	;; [unrolled: 1-line block ×3, first 2 shown]
	s_delay_alu instid0(VALU_DEP_3) | instskip(NEXT) | instid1(VALU_DEP_2)
	v_add_f64 v[41:42], v[45:46], -v[43:44]
	v_add_f64 v[43:44], v[49:50], v[39:40]
	s_delay_alu instid0(VALU_DEP_1) | instskip(SKIP_1) | instid1(VALU_DEP_1)
	v_rcp_f64_e32 v[45:46], v[43:44]
	v_add_f64 v[49:50], v[43:44], -v[49:50]
	v_add_f64 v[39:40], v[39:40], -v[49:50]
	s_waitcnt_depctr 0xfff
	v_fma_f64 v[51:52], -v[43:44], v[45:46], 1.0
	s_delay_alu instid0(VALU_DEP_1) | instskip(NEXT) | instid1(VALU_DEP_1)
	v_fma_f64 v[45:46], v[51:52], v[45:46], v[45:46]
	v_fma_f64 v[49:50], -v[43:44], v[45:46], 1.0
	s_delay_alu instid0(VALU_DEP_1) | instskip(SKIP_1) | instid1(VALU_DEP_1)
	v_fma_f64 v[45:46], v[49:50], v[45:46], v[45:46]
	v_add_f64 v[49:50], v[47:48], v[41:42]
	v_mul_f64 v[51:52], v[49:50], v[45:46]
	v_add_f64 v[47:48], v[49:50], -v[47:48]
	s_delay_alu instid0(VALU_DEP_2) | instskip(NEXT) | instid1(VALU_DEP_2)
	v_mul_f64 v[53:54], v[43:44], v[51:52]
	v_add_f64 v[41:42], v[41:42], -v[47:48]
	s_delay_alu instid0(VALU_DEP_2) | instskip(NEXT) | instid1(VALU_DEP_1)
	v_fma_f64 v[43:44], v[51:52], v[43:44], -v[53:54]
	v_fma_f64 v[39:40], v[51:52], v[39:40], v[43:44]
	s_delay_alu instid0(VALU_DEP_1) | instskip(NEXT) | instid1(VALU_DEP_1)
	v_add_f64 v[43:44], v[53:54], v[39:40]
	v_add_f64 v[53:54], v[43:44], -v[53:54]
	s_delay_alu instid0(VALU_DEP_1) | instskip(SKIP_1) | instid1(VALU_DEP_1)
	v_add_f64 v[39:40], v[39:40], -v[53:54]
	v_add_f64 v[53:54], v[49:50], -v[43:44]
	v_add_f64 v[49:50], v[49:50], -v[53:54]
	s_delay_alu instid0(VALU_DEP_1) | instskip(NEXT) | instid1(VALU_DEP_1)
	v_add_f64 v[43:44], v[49:50], -v[43:44]
	v_add_f64 v[39:40], v[43:44], -v[39:40]
	s_delay_alu instid0(VALU_DEP_1) | instskip(NEXT) | instid1(VALU_DEP_1)
	v_add_f64 v[39:40], v[41:42], v[39:40]
	v_add_f64 v[39:40], v[53:54], v[39:40]
	s_delay_alu instid0(VALU_DEP_1) | instskip(NEXT) | instid1(VALU_DEP_1)
	v_mul_f64 v[39:40], v[45:46], v[39:40]
	v_add_f64 v[39:40], v[51:52], v[39:40]
	s_delay_alu instid0(VALU_DEP_1) | instskip(NEXT) | instid1(VALU_DEP_2)
	v_cndmask_b32_e32 v2, 0x3ff00000, v40, vcc_lo
	v_dual_cndmask_b32 v39, 0, v39 :: v_dual_and_b32 v40, 0x7fffffff, v34
	v_cmp_gt_f64_e64 vcc_lo, 0x3e400000, |v[33:34]|
	s_delay_alu instid0(VALU_DEP_2) | instskip(SKIP_1) | instid1(VALU_DEP_2)
	v_dual_cndmask_b32 v2, v2, v40 :: v_dual_cndmask_b32 v33, v39, v33
	v_mul_f64 v[39:40], v[19:20], v[35:36]
	v_bfi_b32 v34, 0x7fffffff, v2, v34
	v_mul_lo_u32 v2, v22, s48
	v_mul_lo_u32 v22, v22, s16
	s_delay_alu instid0(VALU_DEP_3) | instskip(NEXT) | instid1(VALU_DEP_1)
	v_fma_f64 v[41:42], -v[33:34], v[33:34], 1.0
	v_fma_f64 v[37:38], v[41:42], v[39:40], v[37:38]
	v_mul_lo_u32 v41, v21, s49
	v_mad_u64_u32 v[39:40], null, v21, s48, 0
	s_delay_alu instid0(VALU_DEP_1) | instskip(NEXT) | instid1(VALU_DEP_2)
	v_add3_u32 v2, v40, v41, v2
	v_sub_co_u32 v39, vcc_lo, v5, v39
	v_mul_lo_u32 v40, v21, s17
	s_delay_alu instid0(VALU_DEP_3) | instskip(SKIP_1) | instid1(VALU_DEP_4)
	v_sub_co_ci_u32_e32 v2, vcc_lo, v6, v2, vcc_lo
	v_mad_u64_u32 v[5:6], null, v21, s16, 0
	v_add_co_u32 v39, vcc_lo, v3, v39
	s_delay_alu instid0(VALU_DEP_3) | instskip(NEXT) | instid1(VALU_DEP_3)
	v_add_co_ci_u32_e32 v2, vcc_lo, v4, v2, vcc_lo
	v_add3_u32 v6, v6, v40, v22
	s_delay_alu instid0(VALU_DEP_2) | instskip(NEXT) | instid1(VALU_DEP_4)
	v_mul_lo_u32 v2, v2, s18
	v_mul_lo_u32 v40, v39, s19
	v_mad_u64_u32 v[21:22], null, v39, s18, 0
	s_delay_alu instid0(VALU_DEP_4) | instskip(NEXT) | instid1(VALU_DEP_2)
	v_lshlrev_b64 v[5:6], 3, v[5:6]
	v_add3_u32 v22, v22, v40, v2
	s_delay_alu instid0(VALU_DEP_2) | instskip(NEXT) | instid1(VALU_DEP_3)
	v_add_co_u32 v2, vcc_lo, s46, v5
	v_add_co_ci_u32_e32 v39, vcc_lo, s47, v6, vcc_lo
	s_delay_alu instid0(VALU_DEP_3) | instskip(SKIP_1) | instid1(VALU_DEP_2)
	v_lshlrev_b64 v[5:6], 3, v[21:22]
	v_add_f64 v[21:22], -v[7:8], 1.0
	v_add_co_u32 v5, vcc_lo, v2, v5
	s_delay_alu instid0(VALU_DEP_3) | instskip(SKIP_2) | instid1(VALU_DEP_2)
	v_add_co_ci_u32_e32 v6, vcc_lo, v39, v6, vcc_lo
	v_mul_f64 v[39:40], v[17:18], v[37:38]
	v_mul_lo_u32 v2, v24, s48
	v_mul_f64 v[21:22], v[21:22], v[39:40]
	s_delay_alu instid0(VALU_DEP_1) | instskip(SKIP_4) | instid1(VALU_DEP_1)
	v_mul_f64 v[21:22], v[7:8], v[21:22]
	v_mul_f64 v[7:8], v[7:8], v[37:38]
	global_store_b64 v[5:6], v[21:22], off
	v_mul_lo_u32 v21, v23, s49
	v_mad_u64_u32 v[5:6], null, v23, s48, 0
	v_add3_u32 v2, v6, v21, v2
	s_delay_alu instid0(VALU_DEP_2) | instskip(SKIP_2) | instid1(VALU_DEP_4)
	v_sub_co_u32 v9, vcc_lo, v9, v5
	v_mul_lo_u32 v21, v23, s17
	v_mad_u64_u32 v[5:6], null, v23, s16, 0
	v_sub_co_ci_u32_e32 v2, vcc_lo, v10, v2, vcc_lo
	v_mul_lo_u32 v10, v24, s16
	s_delay_alu instid0(VALU_DEP_1) | instskip(SKIP_1) | instid1(VALU_DEP_4)
	v_add3_u32 v6, v6, v21, v10
	v_add_co_u32 v21, vcc_lo, v3, v9
	v_add_co_ci_u32_e32 v2, vcc_lo, v4, v2, vcc_lo
	s_delay_alu instid0(VALU_DEP_3) | instskip(NEXT) | instid1(VALU_DEP_3)
	v_lshlrev_b64 v[5:6], 3, v[5:6]
	v_mul_lo_u32 v22, v21, s19
	v_mad_u64_u32 v[9:10], null, v21, s18, 0
	s_delay_alu instid0(VALU_DEP_4) | instskip(NEXT) | instid1(VALU_DEP_1)
	v_mul_lo_u32 v2, v2, s18
	v_add3_u32 v10, v10, v22, v2
	v_add_co_u32 v2, vcc_lo, s46, v5
	v_add_co_ci_u32_e32 v21, vcc_lo, s47, v6, vcc_lo
	s_delay_alu instid0(VALU_DEP_3) | instskip(SKIP_1) | instid1(VALU_DEP_2)
	v_lshlrev_b64 v[5:6], 3, v[9:10]
	v_mul_f64 v[9:10], v[29:30], v[37:38]
	v_add_co_u32 v5, vcc_lo, v2, v5
	s_delay_alu instid0(VALU_DEP_3) | instskip(SKIP_2) | instid1(VALU_DEP_2)
	v_add_co_ci_u32_e32 v6, vcc_lo, v21, v6, vcc_lo
	v_add_f64 v[21:22], -v[11:12], 1.0
	v_mul_lo_u32 v2, v26, s48
	v_mul_f64 v[9:10], v[21:22], v[9:10]
	s_delay_alu instid0(VALU_DEP_1)
	v_mul_f64 v[9:10], v[11:12], v[9:10]
	v_mul_f64 v[11:12], v[11:12], v[37:38]
	global_store_b64 v[5:6], v[9:10], off
	v_mul_lo_u32 v9, v25, s49
	v_mad_u64_u32 v[5:6], null, v25, s48, 0
	v_mul_lo_u32 v10, v26, s16
	s_delay_alu instid0(VALU_DEP_2) | instskip(NEXT) | instid1(VALU_DEP_3)
	v_add3_u32 v2, v6, v9, v2
	v_sub_co_u32 v9, vcc_lo, v13, v5
	v_mul_lo_u32 v13, v25, s17
	v_mad_u64_u32 v[5:6], null, v25, s16, 0
	s_delay_alu instid0(VALU_DEP_4) | instskip(NEXT) | instid1(VALU_DEP_2)
	v_sub_co_ci_u32_e32 v2, vcc_lo, v14, v2, vcc_lo
	v_add3_u32 v6, v6, v13, v10
	v_add_co_u32 v13, vcc_lo, v3, v9
	s_delay_alu instid0(VALU_DEP_3) | instskip(NEXT) | instid1(VALU_DEP_3)
	v_add_co_ci_u32_e32 v2, vcc_lo, v4, v2, vcc_lo
	v_lshlrev_b64 v[5:6], 3, v[5:6]
	s_delay_alu instid0(VALU_DEP_3) | instskip(SKIP_1) | instid1(VALU_DEP_4)
	v_mul_lo_u32 v14, v13, s19
	v_mad_u64_u32 v[9:10], null, v13, s18, 0
	v_mul_lo_u32 v2, v2, s18
	s_delay_alu instid0(VALU_DEP_1) | instskip(SKIP_2) | instid1(VALU_DEP_3)
	v_add3_u32 v10, v10, v14, v2
	v_add_co_u32 v2, vcc_lo, s46, v5
	v_add_co_ci_u32_e32 v13, vcc_lo, s47, v6, vcc_lo
	v_lshlrev_b64 v[5:6], 3, v[9:10]
	v_fma_f64 v[9:10], -v[17:18], v[17:18], 1.0
	s_delay_alu instid0(VALU_DEP_2) | instskip(NEXT) | instid1(VALU_DEP_3)
	v_add_co_u32 v5, vcc_lo, v2, v5
	v_add_co_ci_u32_e32 v6, vcc_lo, v13, v6, vcc_lo
	v_mul_lo_u32 v2, v28, s48
	v_mul_lo_u32 v13, v31, s37
	v_mul_f64 v[7:8], v[9:10], v[7:8]
	v_mul_lo_u32 v9, v27, s17
	global_store_b64 v[5:6], v[7:8], off
	v_mul_lo_u32 v7, v27, s49
	v_mad_u64_u32 v[5:6], null, v27, s48, 0
	v_mul_lo_u32 v8, v28, s16
	s_delay_alu instid0(VALU_DEP_2) | instskip(NEXT) | instid1(VALU_DEP_3)
	v_add3_u32 v2, v6, v7, v2
	v_sub_co_u32 v7, vcc_lo, v15, v5
	v_mad_u64_u32 v[5:6], null, v27, s16, 0
	s_delay_alu instid0(VALU_DEP_3) | instskip(SKIP_1) | instid1(VALU_DEP_3)
	v_sub_co_ci_u32_e32 v2, vcc_lo, v16, v2, vcc_lo
	v_mul_lo_u32 v15, s97, v31
	v_add3_u32 v6, v6, v9, v8
	v_add_co_u32 v9, vcc_lo, v3, v7
	s_delay_alu instid0(VALU_DEP_4) | instskip(NEXT) | instid1(VALU_DEP_3)
	v_add_co_ci_u32_e32 v2, vcc_lo, v4, v2, vcc_lo
	v_lshlrev_b64 v[5:6], 3, v[5:6]
	s_delay_alu instid0(VALU_DEP_3) | instskip(SKIP_1) | instid1(VALU_DEP_4)
	v_mul_lo_u32 v10, v9, s19
	v_mad_u64_u32 v[7:8], null, v9, s18, 0
	v_mul_lo_u32 v2, v2, s18
	s_delay_alu instid0(VALU_DEP_1) | instskip(SKIP_2) | instid1(VALU_DEP_3)
	v_add3_u32 v8, v8, v10, v2
	v_add_co_u32 v2, vcc_lo, s46, v5
	v_add_co_ci_u32_e32 v9, vcc_lo, s47, v6, vcc_lo
	v_lshlrev_b64 v[5:6], 3, v[7:8]
	v_mul_f64 v[7:8], v[33:34], v[35:36]
	s_delay_alu instid0(VALU_DEP_2) | instskip(NEXT) | instid1(VALU_DEP_3)
	v_add_co_u32 v5, vcc_lo, v2, v5
	v_add_co_ci_u32_e32 v6, vcc_lo, v9, v6, vcc_lo
	v_add_f64 v[9:10], -v[19:20], 1.0
	v_mul_lo_u32 v2, v32, s36
	s_delay_alu instid0(VALU_DEP_2) | instskip(SKIP_1) | instid1(VALU_DEP_1)
	v_mul_f64 v[7:8], v[9:10], v[7:8]
	v_mad_u64_u32 v[9:10], null, v31, s36, 0
	v_add3_u32 v10, v10, v13, v2
	v_mul_lo_u32 v2, vcc_hi, v32
	v_mad_u64_u32 v[13:14], null, vcc_hi, v31, v[3:4]
	v_add_co_u32 v3, vcc_lo, v3, s71
	s_delay_alu instid0(VALU_DEP_4) | instskip(SKIP_1) | instid1(VALU_DEP_4)
	v_lshlrev_b64 v[9:10], 3, v[9:10]
	v_add_co_ci_u32_e32 v4, vcc_lo, 0, v4, vcc_lo
	v_add3_u32 v2, v15, v14, v2
	v_mul_lo_u32 v16, v13, s39
	v_mad_u64_u32 v[14:15], null, v13, s38, 0
	s_delay_alu instid0(VALU_DEP_3) | instskip(NEXT) | instid1(VALU_DEP_1)
	v_mul_lo_u32 v2, v2, s38
	v_add3_u32 v15, v15, v16, v2
	v_add_co_u32 v2, vcc_lo, s58, v9
	v_add_co_ci_u32_e32 v10, vcc_lo, s59, v10, vcc_lo
	s_delay_alu instid0(VALU_DEP_3) | instskip(SKIP_2) | instid1(VALU_DEP_3)
	v_lshlrev_b64 v[13:14], 3, v[14:15]
	v_mul_f64 v[7:8], v[19:20], v[7:8]
	v_cmp_le_i64_e32 vcc_lo, s[6:7], v[3:4]
	v_add_co_u32 v9, s0, v2, v13
	s_delay_alu instid0(VALU_DEP_1)
	v_add_co_ci_u32_e64 v10, s0, v10, v14, s0
	s_or_b32 s98, vcc_lo, s98
	global_store_b64 v[5:6], v[7:8], off
	global_store_b64 v[9:10], v[11:12], off
	s_and_not1_b32 exec_lo, exec_lo, s98
	s_cbranch_execz .LBB19_64
.LBB19_4:                               ; =>This Inner Loop Header: Depth=1
	v_or_b32_e32 v2, s5, v4
                                        ; implicit-def: $vgpr7_vgpr8
	s_mov_b32 s0, exec_lo
	s_delay_alu instid0(VALU_DEP_1)
	v_cmpx_ne_u64_e32 0, v[1:2]
	s_xor_b32 s70, exec_lo, s0
	s_cbranch_execz .LBB19_6
; %bb.5:                                ;   in Loop: Header=BB19_4 Depth=1
	s_ashr_i32 s94, s5, 31
	s_delay_alu instid0(SALU_CYCLE_1) | instskip(SKIP_2) | instid1(SALU_CYCLE_1)
	s_add_u32 s0, s4, s94
	s_mov_b32 s95, s94
	s_addc_u32 s1, s5, s94
	s_xor_b64 s[2:3], s[0:1], s[94:95]
	s_delay_alu instid0(SALU_CYCLE_1) | instskip(SKIP_3) | instid1(VALU_DEP_1)
	v_cvt_f32_u32_e32 v2, s2
	v_cvt_f32_u32_e32 v5, s3
	s_sub_u32 s0, 0, s2
	s_subb_u32 s1, 0, s3
	v_fmac_f32_e32 v2, 0x4f800000, v5
	s_delay_alu instid0(VALU_DEP_1) | instskip(SKIP_2) | instid1(VALU_DEP_1)
	v_rcp_f32_e32 v2, v2
	s_waitcnt_depctr 0xfff
	v_mul_f32_e32 v2, 0x5f7ffffc, v2
	v_mul_f32_e32 v5, 0x2f800000, v2
	s_delay_alu instid0(VALU_DEP_1) | instskip(NEXT) | instid1(VALU_DEP_1)
	v_trunc_f32_e32 v5, v5
	v_fmac_f32_e32 v2, 0xcf800000, v5
	v_cvt_u32_f32_e32 v5, v5
	s_delay_alu instid0(VALU_DEP_2) | instskip(NEXT) | instid1(VALU_DEP_2)
	v_cvt_u32_f32_e32 v2, v2
	v_mul_lo_u32 v6, s0, v5
	s_delay_alu instid0(VALU_DEP_2) | instskip(SKIP_1) | instid1(VALU_DEP_2)
	v_mul_hi_u32 v7, s0, v2
	v_mul_lo_u32 v8, s1, v2
	v_add_nc_u32_e32 v6, v7, v6
	v_mul_lo_u32 v7, s0, v2
	s_delay_alu instid0(VALU_DEP_2) | instskip(NEXT) | instid1(VALU_DEP_2)
	v_add_nc_u32_e32 v6, v6, v8
	v_mul_hi_u32 v8, v2, v7
	s_delay_alu instid0(VALU_DEP_2)
	v_mul_lo_u32 v9, v2, v6
	v_mul_hi_u32 v10, v2, v6
	v_mul_hi_u32 v11, v5, v7
	v_mul_lo_u32 v7, v5, v7
	v_mul_hi_u32 v12, v5, v6
	v_mul_lo_u32 v6, v5, v6
	v_add_co_u32 v8, vcc_lo, v8, v9
	v_add_co_ci_u32_e32 v9, vcc_lo, 0, v10, vcc_lo
	s_delay_alu instid0(VALU_DEP_2) | instskip(NEXT) | instid1(VALU_DEP_2)
	v_add_co_u32 v7, vcc_lo, v8, v7
	v_add_co_ci_u32_e32 v7, vcc_lo, v9, v11, vcc_lo
	v_add_co_ci_u32_e32 v8, vcc_lo, 0, v12, vcc_lo
	v_ashrrev_i32_e32 v11, 31, v4
	s_delay_alu instid0(VALU_DEP_3) | instskip(NEXT) | instid1(VALU_DEP_3)
	v_add_co_u32 v6, vcc_lo, v7, v6
	v_add_co_ci_u32_e32 v7, vcc_lo, 0, v8, vcc_lo
	s_delay_alu instid0(VALU_DEP_2) | instskip(NEXT) | instid1(VALU_DEP_2)
	v_add_co_u32 v2, vcc_lo, v2, v6
	v_add_co_ci_u32_e32 v5, vcc_lo, v5, v7, vcc_lo
	s_delay_alu instid0(VALU_DEP_2) | instskip(SKIP_1) | instid1(VALU_DEP_3)
	v_mul_hi_u32 v6, s0, v2
	v_mul_lo_u32 v8, s1, v2
	v_mul_lo_u32 v7, s0, v5
	s_delay_alu instid0(VALU_DEP_1) | instskip(SKIP_2) | instid1(VALU_DEP_3)
	v_add_nc_u32_e32 v6, v6, v7
	v_mul_lo_u32 v7, s0, v2
	v_add_co_u32 v12, s0, v3, v11
	v_add_nc_u32_e32 v6, v6, v8
	s_delay_alu instid0(VALU_DEP_2) | instskip(NEXT) | instid1(VALU_DEP_4)
	v_xor_b32_e32 v12, v12, v11
	v_mul_hi_u32 v8, v2, v7
	s_delay_alu instid0(VALU_DEP_3)
	v_mul_lo_u32 v9, v2, v6
	v_mul_hi_u32 v10, v2, v6
	v_mul_hi_u32 v13, v5, v7
	v_mul_lo_u32 v7, v5, v7
	v_mul_hi_u32 v14, v5, v6
	v_mul_lo_u32 v6, v5, v6
	v_add_co_u32 v8, vcc_lo, v8, v9
	v_add_co_ci_u32_e32 v9, vcc_lo, 0, v10, vcc_lo
	s_delay_alu instid0(VALU_DEP_2) | instskip(NEXT) | instid1(VALU_DEP_2)
	v_add_co_u32 v7, vcc_lo, v8, v7
	v_add_co_ci_u32_e32 v7, vcc_lo, v9, v13, vcc_lo
	v_add_co_ci_u32_e32 v8, vcc_lo, 0, v14, vcc_lo
	v_add_co_ci_u32_e64 v9, vcc_lo, v4, v11, s0
	s_delay_alu instid0(VALU_DEP_3) | instskip(NEXT) | instid1(VALU_DEP_3)
	v_add_co_u32 v6, vcc_lo, v7, v6
	v_add_co_ci_u32_e32 v7, vcc_lo, 0, v8, vcc_lo
	s_delay_alu instid0(VALU_DEP_3) | instskip(NEXT) | instid1(VALU_DEP_3)
	v_xor_b32_e32 v14, v9, v11
	v_add_co_u32 v2, vcc_lo, v2, v6
	s_delay_alu instid0(VALU_DEP_3) | instskip(NEXT) | instid1(VALU_DEP_2)
	v_add_co_ci_u32_e32 v13, vcc_lo, v5, v7, vcc_lo
	v_mul_hi_u32 v15, v12, v2
	s_delay_alu instid0(VALU_DEP_4) | instskip(NEXT) | instid1(VALU_DEP_3)
	v_mad_u64_u32 v[7:8], null, v14, v2, 0
	v_mad_u64_u32 v[5:6], null, v12, v13, 0
	;; [unrolled: 1-line block ×3, first 2 shown]
	s_delay_alu instid0(VALU_DEP_2) | instskip(NEXT) | instid1(VALU_DEP_3)
	v_add_co_u32 v2, vcc_lo, v15, v5
	v_add_co_ci_u32_e32 v5, vcc_lo, 0, v6, vcc_lo
	s_delay_alu instid0(VALU_DEP_2) | instskip(NEXT) | instid1(VALU_DEP_2)
	v_add_co_u32 v2, vcc_lo, v2, v7
	v_add_co_ci_u32_e32 v2, vcc_lo, v5, v8, vcc_lo
	v_add_co_ci_u32_e32 v5, vcc_lo, 0, v10, vcc_lo
	s_delay_alu instid0(VALU_DEP_2) | instskip(NEXT) | instid1(VALU_DEP_2)
	v_add_co_u32 v2, vcc_lo, v2, v9
	v_add_co_ci_u32_e32 v7, vcc_lo, 0, v5, vcc_lo
	s_delay_alu instid0(VALU_DEP_2) | instskip(SKIP_1) | instid1(VALU_DEP_3)
	v_mul_lo_u32 v8, s3, v2
	v_mad_u64_u32 v[5:6], null, s2, v2, 0
	v_mul_lo_u32 v9, s2, v7
	s_delay_alu instid0(VALU_DEP_2) | instskip(NEXT) | instid1(VALU_DEP_2)
	v_sub_co_u32 v5, vcc_lo, v12, v5
	v_add3_u32 v6, v6, v9, v8
	s_delay_alu instid0(VALU_DEP_2) | instskip(NEXT) | instid1(VALU_DEP_2)
	v_cmp_le_u32_e64 s1, s2, v5
	v_sub_nc_u32_e32 v8, v14, v6
	s_delay_alu instid0(VALU_DEP_2) | instskip(NEXT) | instid1(VALU_DEP_2)
	v_cndmask_b32_e64 v10, 0, -1, s1
	v_subrev_co_ci_u32_e64 v8, s0, s3, v8, vcc_lo
	v_sub_co_u32 v9, s0, v5, s2
	v_sub_co_ci_u32_e32 v6, vcc_lo, v14, v6, vcc_lo
	s_delay_alu instid0(VALU_DEP_3) | instskip(NEXT) | instid1(VALU_DEP_3)
	v_subrev_co_ci_u32_e64 v8, s0, 0, v8, s0
	v_cmp_le_u32_e32 vcc_lo, s2, v9
	s_delay_alu instid0(VALU_DEP_3) | instskip(SKIP_1) | instid1(VALU_DEP_4)
	v_cmp_le_u32_e64 s2, s3, v6
	v_cmp_eq_u32_e64 s1, s3, v6
	v_cmp_le_u32_e64 s0, s3, v8
	v_cndmask_b32_e64 v5, 0, -1, vcc_lo
	v_cmp_eq_u32_e32 vcc_lo, s3, v8
	v_cndmask_b32_e64 v6, 0, -1, s2
	s_delay_alu instid0(VALU_DEP_4) | instskip(SKIP_1) | instid1(VALU_DEP_1)
	v_cndmask_b32_e64 v8, 0, -1, s0
	v_add_co_u32 v9, s0, v2, 2
	v_add_co_ci_u32_e64 v12, s0, 0, v7, s0
	s_delay_alu instid0(VALU_DEP_3) | instskip(SKIP_1) | instid1(VALU_DEP_2)
	v_cndmask_b32_e32 v5, v8, v5, vcc_lo
	v_add_co_u32 v8, vcc_lo, v2, 1
	v_cmp_ne_u32_e64 s0, 0, v5
	v_cndmask_b32_e64 v5, v6, v10, s1
	v_add_co_ci_u32_e32 v6, vcc_lo, 0, v7, vcc_lo
	s_delay_alu instid0(VALU_DEP_3) | instskip(NEXT) | instid1(VALU_DEP_3)
	v_cndmask_b32_e64 v8, v8, v9, s0
	v_cmp_ne_u32_e32 vcc_lo, 0, v5
	s_delay_alu instid0(VALU_DEP_3) | instskip(SKIP_1) | instid1(VALU_DEP_2)
	v_cndmask_b32_e64 v5, v6, v12, s0
	v_xor_b32_e32 v6, s94, v11
	v_dual_cndmask_b32 v2, v2, v8 :: v_dual_cndmask_b32 v5, v7, v5
	s_delay_alu instid0(VALU_DEP_1) | instskip(NEXT) | instid1(VALU_DEP_2)
	v_xor_b32_e32 v2, v2, v6
	v_xor_b32_e32 v5, v5, v6
	s_delay_alu instid0(VALU_DEP_2) | instskip(NEXT) | instid1(VALU_DEP_2)
	v_sub_co_u32 v7, vcc_lo, v2, v6
	v_sub_co_ci_u32_e32 v8, vcc_lo, v5, v6, vcc_lo
.LBB19_6:                               ;   in Loop: Header=BB19_4 Depth=1
	s_and_not1_saveexec_b32 s0, s70
	s_cbranch_execz .LBB19_8
; %bb.7:                                ;   in Loop: Header=BB19_4 Depth=1
	s_sub_i32 s1, 0, s4
	v_mov_b32_e32 v8, v1
	v_mul_lo_u32 v2, s1, v0
	s_delay_alu instid0(VALU_DEP_1) | instskip(NEXT) | instid1(VALU_DEP_1)
	v_mul_hi_u32 v2, v0, v2
	v_add_nc_u32_e32 v2, v0, v2
	s_delay_alu instid0(VALU_DEP_1) | instskip(NEXT) | instid1(VALU_DEP_1)
	v_mul_hi_u32 v2, v3, v2
	v_mul_lo_u32 v5, v2, s4
	v_add_nc_u32_e32 v6, 1, v2
	s_delay_alu instid0(VALU_DEP_2) | instskip(NEXT) | instid1(VALU_DEP_1)
	v_sub_nc_u32_e32 v5, v3, v5
	v_cmp_le_u32_e32 vcc_lo, s4, v5
	v_subrev_nc_u32_e32 v7, s4, v5
	s_delay_alu instid0(VALU_DEP_1) | instskip(NEXT) | instid1(VALU_DEP_1)
	v_dual_cndmask_b32 v2, v2, v6 :: v_dual_cndmask_b32 v5, v5, v7
	v_add_nc_u32_e32 v6, 1, v2
	s_delay_alu instid0(VALU_DEP_2) | instskip(NEXT) | instid1(VALU_DEP_2)
	v_cmp_le_u32_e32 vcc_lo, s4, v5
	v_cndmask_b32_e32 v7, v2, v6, vcc_lo
.LBB19_8:                               ;   in Loop: Header=BB19_4 Depth=1
	s_or_b32 exec_lo, exec_lo, s0
	s_delay_alu instid0(VALU_DEP_1) | instskip(SKIP_3) | instid1(VALU_DEP_1)
	v_mul_lo_u32 v2, s99, v7
	v_mul_lo_u32 v9, s100, v8
	v_mad_u64_u32 v[5:6], null, s100, v7, 0
	s_mov_b32 s0, exec_lo
	v_add3_u32 v6, v6, v9, v2
	s_delay_alu instid0(VALU_DEP_2) | instskip(NEXT) | instid1(VALU_DEP_2)
	v_add_co_u32 v24, vcc_lo, v3, v5
                                        ; implicit-def: $vgpr9_vgpr10
	v_add_co_ci_u32_e32 v26, vcc_lo, v4, v6, vcc_lo
	s_delay_alu instid0(VALU_DEP_1) | instskip(SKIP_1) | instid1(VALU_DEP_2)
	v_or_b32_e32 v2, s45, v26
	v_ashrrev_i32_e32 v23, 31, v26
	v_cmpx_ne_u64_e32 0, v[1:2]
	s_xor_b32 s70, exec_lo, s0
	s_cbranch_execz .LBB19_10
; %bb.9:                                ;   in Loop: Header=BB19_4 Depth=1
	s_ashr_i32 s94, s45, 31
	s_delay_alu instid0(SALU_CYCLE_1) | instskip(SKIP_2) | instid1(SALU_CYCLE_1)
	s_add_u32 s0, s44, s94
	s_mov_b32 s95, s94
	s_addc_u32 s1, s45, s94
	s_xor_b64 s[2:3], s[0:1], s[94:95]
	s_delay_alu instid0(SALU_CYCLE_1) | instskip(SKIP_3) | instid1(VALU_DEP_1)
	v_cvt_f32_u32_e32 v2, s2
	v_cvt_f32_u32_e32 v9, s3
	s_sub_u32 s0, 0, s2
	s_subb_u32 s1, 0, s3
	v_fmac_f32_e32 v2, 0x4f800000, v9
	s_delay_alu instid0(VALU_DEP_1) | instskip(SKIP_2) | instid1(VALU_DEP_1)
	v_rcp_f32_e32 v2, v2
	s_waitcnt_depctr 0xfff
	v_mul_f32_e32 v2, 0x5f7ffffc, v2
	v_mul_f32_e32 v9, 0x2f800000, v2
	s_delay_alu instid0(VALU_DEP_1) | instskip(NEXT) | instid1(VALU_DEP_1)
	v_trunc_f32_e32 v9, v9
	v_fmac_f32_e32 v2, 0xcf800000, v9
	v_cvt_u32_f32_e32 v9, v9
	s_delay_alu instid0(VALU_DEP_2) | instskip(NEXT) | instid1(VALU_DEP_2)
	v_cvt_u32_f32_e32 v2, v2
	v_mul_lo_u32 v10, s0, v9
	s_delay_alu instid0(VALU_DEP_2) | instskip(SKIP_1) | instid1(VALU_DEP_2)
	v_mul_hi_u32 v11, s0, v2
	v_mul_lo_u32 v12, s1, v2
	v_add_nc_u32_e32 v10, v11, v10
	v_mul_lo_u32 v11, s0, v2
	s_delay_alu instid0(VALU_DEP_2) | instskip(NEXT) | instid1(VALU_DEP_2)
	v_add_nc_u32_e32 v10, v10, v12
	v_mul_hi_u32 v12, v2, v11
	s_delay_alu instid0(VALU_DEP_2)
	v_mul_lo_u32 v13, v2, v10
	v_mul_hi_u32 v14, v2, v10
	v_mul_hi_u32 v15, v9, v11
	v_mul_lo_u32 v11, v9, v11
	v_mul_hi_u32 v16, v9, v10
	v_mul_lo_u32 v10, v9, v10
	v_add_co_u32 v12, vcc_lo, v12, v13
	v_add_co_ci_u32_e32 v13, vcc_lo, 0, v14, vcc_lo
	s_delay_alu instid0(VALU_DEP_2) | instskip(NEXT) | instid1(VALU_DEP_2)
	v_add_co_u32 v11, vcc_lo, v12, v11
	v_add_co_ci_u32_e32 v11, vcc_lo, v13, v15, vcc_lo
	v_add_co_ci_u32_e32 v12, vcc_lo, 0, v16, vcc_lo
	s_delay_alu instid0(VALU_DEP_2) | instskip(NEXT) | instid1(VALU_DEP_2)
	v_add_co_u32 v10, vcc_lo, v11, v10
	v_add_co_ci_u32_e32 v11, vcc_lo, 0, v12, vcc_lo
	s_delay_alu instid0(VALU_DEP_2) | instskip(NEXT) | instid1(VALU_DEP_2)
	v_add_co_u32 v2, vcc_lo, v2, v10
	v_add_co_ci_u32_e32 v9, vcc_lo, v9, v11, vcc_lo
	s_delay_alu instid0(VALU_DEP_2) | instskip(SKIP_1) | instid1(VALU_DEP_3)
	v_mul_hi_u32 v10, s0, v2
	v_mul_lo_u32 v12, s1, v2
	v_mul_lo_u32 v11, s0, v9
	s_delay_alu instid0(VALU_DEP_1) | instskip(SKIP_2) | instid1(VALU_DEP_3)
	v_add_nc_u32_e32 v10, v10, v11
	v_mul_lo_u32 v11, s0, v2
	v_add_co_u32 v15, s0, v24, v23
	v_add_nc_u32_e32 v10, v10, v12
	s_delay_alu instid0(VALU_DEP_2) | instskip(NEXT) | instid1(VALU_DEP_4)
	v_xor_b32_e32 v15, v15, v23
	v_mul_hi_u32 v12, v2, v11
	s_delay_alu instid0(VALU_DEP_3)
	v_mul_lo_u32 v13, v2, v10
	v_mul_hi_u32 v14, v2, v10
	v_mul_hi_u32 v16, v9, v11
	v_mul_lo_u32 v11, v9, v11
	v_mul_hi_u32 v17, v9, v10
	v_mul_lo_u32 v10, v9, v10
	v_add_co_u32 v12, vcc_lo, v12, v13
	v_add_co_ci_u32_e32 v13, vcc_lo, 0, v14, vcc_lo
	s_delay_alu instid0(VALU_DEP_2) | instskip(NEXT) | instid1(VALU_DEP_2)
	v_add_co_u32 v11, vcc_lo, v12, v11
	v_add_co_ci_u32_e32 v11, vcc_lo, v13, v16, vcc_lo
	v_add_co_ci_u32_e32 v12, vcc_lo, 0, v17, vcc_lo
	v_add_co_ci_u32_e64 v13, vcc_lo, v26, v23, s0
	s_delay_alu instid0(VALU_DEP_3) | instskip(NEXT) | instid1(VALU_DEP_3)
	v_add_co_u32 v10, vcc_lo, v11, v10
	v_add_co_ci_u32_e32 v11, vcc_lo, 0, v12, vcc_lo
	s_delay_alu instid0(VALU_DEP_3) | instskip(NEXT) | instid1(VALU_DEP_3)
	v_xor_b32_e32 v17, v13, v23
	v_add_co_u32 v2, vcc_lo, v2, v10
	s_delay_alu instid0(VALU_DEP_3) | instskip(NEXT) | instid1(VALU_DEP_2)
	v_add_co_ci_u32_e32 v16, vcc_lo, v9, v11, vcc_lo
	v_mul_hi_u32 v18, v15, v2
	s_delay_alu instid0(VALU_DEP_4) | instskip(NEXT) | instid1(VALU_DEP_3)
	v_mad_u64_u32 v[11:12], null, v17, v2, 0
	v_mad_u64_u32 v[9:10], null, v15, v16, 0
	;; [unrolled: 1-line block ×3, first 2 shown]
	s_delay_alu instid0(VALU_DEP_2) | instskip(NEXT) | instid1(VALU_DEP_3)
	v_add_co_u32 v2, vcc_lo, v18, v9
	v_add_co_ci_u32_e32 v9, vcc_lo, 0, v10, vcc_lo
	s_delay_alu instid0(VALU_DEP_2) | instskip(NEXT) | instid1(VALU_DEP_2)
	v_add_co_u32 v2, vcc_lo, v2, v11
	v_add_co_ci_u32_e32 v2, vcc_lo, v9, v12, vcc_lo
	v_add_co_ci_u32_e32 v9, vcc_lo, 0, v14, vcc_lo
	s_delay_alu instid0(VALU_DEP_2) | instskip(NEXT) | instid1(VALU_DEP_2)
	v_add_co_u32 v2, vcc_lo, v2, v13
	v_add_co_ci_u32_e32 v11, vcc_lo, 0, v9, vcc_lo
	s_delay_alu instid0(VALU_DEP_2) | instskip(SKIP_1) | instid1(VALU_DEP_3)
	v_mul_lo_u32 v12, s3, v2
	v_mad_u64_u32 v[9:10], null, s2, v2, 0
	v_mul_lo_u32 v13, s2, v11
	s_delay_alu instid0(VALU_DEP_2) | instskip(NEXT) | instid1(VALU_DEP_2)
	v_sub_co_u32 v9, vcc_lo, v15, v9
	v_add3_u32 v10, v10, v13, v12
	s_delay_alu instid0(VALU_DEP_2) | instskip(NEXT) | instid1(VALU_DEP_2)
	v_cmp_le_u32_e64 s1, s2, v9
	v_sub_nc_u32_e32 v12, v17, v10
	s_delay_alu instid0(VALU_DEP_2) | instskip(NEXT) | instid1(VALU_DEP_2)
	v_cndmask_b32_e64 v14, 0, -1, s1
	v_subrev_co_ci_u32_e64 v12, s0, s3, v12, vcc_lo
	v_sub_co_u32 v13, s0, v9, s2
	v_sub_co_ci_u32_e32 v10, vcc_lo, v17, v10, vcc_lo
	s_delay_alu instid0(VALU_DEP_3) | instskip(NEXT) | instid1(VALU_DEP_3)
	v_subrev_co_ci_u32_e64 v12, s0, 0, v12, s0
	v_cmp_le_u32_e32 vcc_lo, s2, v13
	s_delay_alu instid0(VALU_DEP_3) | instskip(SKIP_1) | instid1(VALU_DEP_4)
	v_cmp_le_u32_e64 s2, s3, v10
	v_cmp_eq_u32_e64 s1, s3, v10
	v_cmp_le_u32_e64 s0, s3, v12
	v_cndmask_b32_e64 v9, 0, -1, vcc_lo
	v_cmp_eq_u32_e32 vcc_lo, s3, v12
	v_cndmask_b32_e64 v10, 0, -1, s2
	s_delay_alu instid0(VALU_DEP_4) | instskip(SKIP_1) | instid1(VALU_DEP_1)
	v_cndmask_b32_e64 v12, 0, -1, s0
	v_add_co_u32 v13, s0, v2, 2
	v_add_co_ci_u32_e64 v15, s0, 0, v11, s0
	s_delay_alu instid0(VALU_DEP_3) | instskip(SKIP_1) | instid1(VALU_DEP_2)
	v_cndmask_b32_e32 v9, v12, v9, vcc_lo
	v_add_co_u32 v12, vcc_lo, v2, 1
	v_cmp_ne_u32_e64 s0, 0, v9
	v_cndmask_b32_e64 v9, v10, v14, s1
	v_add_co_ci_u32_e32 v10, vcc_lo, 0, v11, vcc_lo
	s_delay_alu instid0(VALU_DEP_3) | instskip(NEXT) | instid1(VALU_DEP_3)
	v_cndmask_b32_e64 v12, v12, v13, s0
	v_cmp_ne_u32_e32 vcc_lo, 0, v9
	s_delay_alu instid0(VALU_DEP_3) | instskip(SKIP_1) | instid1(VALU_DEP_2)
	v_cndmask_b32_e64 v9, v10, v15, s0
	v_xor_b32_e32 v10, s94, v23
	v_dual_cndmask_b32 v2, v2, v12 :: v_dual_cndmask_b32 v9, v11, v9
	s_delay_alu instid0(VALU_DEP_1) | instskip(NEXT) | instid1(VALU_DEP_2)
	v_xor_b32_e32 v2, v2, v10
	v_xor_b32_e32 v11, v9, v10
	s_delay_alu instid0(VALU_DEP_2) | instskip(NEXT) | instid1(VALU_DEP_2)
	v_sub_co_u32 v9, vcc_lo, v2, v10
	v_sub_co_ci_u32_e32 v10, vcc_lo, v11, v10, vcc_lo
.LBB19_10:                              ;   in Loop: Header=BB19_4 Depth=1
	s_or_saveexec_b32 s0, s70
	v_cvt_f32_u32_e32 v21, s44
	s_xor_b32 exec_lo, exec_lo, s0
	s_cbranch_execz .LBB19_12
; %bb.11:                               ;   in Loop: Header=BB19_4 Depth=1
	s_delay_alu instid0(VALU_DEP_1) | instskip(SKIP_3) | instid1(VALU_DEP_1)
	v_rcp_iflag_f32_e32 v2, v21
	s_sub_i32 s1, 0, s44
	s_waitcnt_depctr 0xfff
	v_mul_f32_e32 v2, 0x4f7ffffe, v2
	v_cvt_u32_f32_e32 v2, v2
	s_delay_alu instid0(VALU_DEP_1) | instskip(NEXT) | instid1(VALU_DEP_1)
	v_mul_lo_u32 v9, s1, v2
	v_mul_hi_u32 v9, v2, v9
	s_delay_alu instid0(VALU_DEP_1) | instskip(NEXT) | instid1(VALU_DEP_1)
	v_add_nc_u32_e32 v2, v2, v9
	v_mul_hi_u32 v2, v24, v2
	s_delay_alu instid0(VALU_DEP_1) | instskip(SKIP_1) | instid1(VALU_DEP_2)
	v_mul_lo_u32 v9, v2, s44
	v_add_nc_u32_e32 v10, 1, v2
	v_sub_nc_u32_e32 v9, v24, v9
	s_delay_alu instid0(VALU_DEP_1) | instskip(SKIP_1) | instid1(VALU_DEP_1)
	v_cmp_le_u32_e32 vcc_lo, s44, v9
	v_subrev_nc_u32_e32 v11, s44, v9
	v_dual_cndmask_b32 v2, v2, v10 :: v_dual_cndmask_b32 v9, v9, v11
	s_delay_alu instid0(VALU_DEP_1) | instskip(NEXT) | instid1(VALU_DEP_2)
	v_add_nc_u32_e32 v10, 1, v2
	v_cmp_le_u32_e32 vcc_lo, s44, v9
	s_delay_alu instid0(VALU_DEP_2)
	v_dual_cndmask_b32 v9, v2, v10 :: v_dual_mov_b32 v10, v1
.LBB19_12:                              ;   in Loop: Header=BB19_4 Depth=1
	s_or_b32 exec_lo, exec_lo, s0
	s_delay_alu instid0(VALU_DEP_1) | instskip(NEXT) | instid1(VALU_DEP_2)
	v_mul_lo_u32 v2, v10, s12
	v_mul_lo_u32 v13, v9, s13
	v_mad_u64_u32 v[11:12], null, v9, s12, 0
	v_mad_u64_u32 v[15:16], null, v7, 3, 0
	s_mov_b32 s0, exec_lo
	s_delay_alu instid0(VALU_DEP_2) | instskip(SKIP_3) | instid1(VALU_DEP_4)
	v_add3_u32 v12, v12, v13, v2
	v_mul_lo_u32 v2, v10, s44
	v_mul_lo_u32 v10, v9, s45
	v_mad_u64_u32 v[13:14], null, v9, s44, 0
	v_lshlrev_b64 v[11:12], 3, v[11:12]
	s_delay_alu instid0(VALU_DEP_2) | instskip(NEXT) | instid1(VALU_DEP_3)
	v_add3_u32 v2, v14, v10, v2
	v_sub_co_u32 v9, vcc_lo, v5, v13
	s_delay_alu instid0(VALU_DEP_2) | instskip(NEXT) | instid1(VALU_DEP_2)
	v_sub_co_ci_u32_e32 v2, vcc_lo, v6, v2, vcc_lo
	v_add_co_u32 v13, vcc_lo, v3, v9
	s_delay_alu instid0(VALU_DEP_2) | instskip(NEXT) | instid1(VALU_DEP_2)
	v_add_co_ci_u32_e32 v2, vcc_lo, v4, v2, vcc_lo
	v_mul_lo_u32 v14, v13, s15
	v_mad_u64_u32 v[9:10], null, v13, s14, 0
	s_delay_alu instid0(VALU_DEP_3) | instskip(NEXT) | instid1(VALU_DEP_1)
	v_mul_lo_u32 v2, v2, s14
	v_add3_u32 v10, v10, v14, v2
	v_add_co_u32 v2, vcc_lo, s42, v11
	v_add_co_ci_u32_e32 v11, vcc_lo, s43, v12, vcc_lo
	s_delay_alu instid0(VALU_DEP_3) | instskip(NEXT) | instid1(VALU_DEP_1)
	v_lshlrev_b64 v[9:10], 3, v[9:10]
	v_add_co_u32 v13, vcc_lo, v2, v9
	v_mov_b32_e32 v2, v16
	s_delay_alu instid0(VALU_DEP_3) | instskip(SKIP_1) | instid1(VALU_DEP_3)
	v_add_co_ci_u32_e32 v14, vcc_lo, v11, v10, vcc_lo
	v_mad_u64_u32 v[9:10], null, s4, v15, s[4:5]
	v_mad_u64_u32 v[11:12], null, v8, 3, v[2:3]
	v_mul_lo_u32 v2, s5, v15
	s_delay_alu instid0(VALU_DEP_3) | instskip(NEXT) | instid1(VALU_DEP_3)
	v_add_co_u32 v28, vcc_lo, v3, v9
	v_mul_lo_u32 v7, s4, v11
	s_delay_alu instid0(VALU_DEP_1) | instskip(SKIP_2) | instid1(VALU_DEP_1)
	v_add3_u32 v10, v2, v10, v7
	global_load_b64 v[7:8], v[13:14], off
                                        ; implicit-def: $vgpr12_vgpr13
	v_add_co_ci_u32_e32 v29, vcc_lo, v4, v10, vcc_lo
	v_or_b32_e32 v2, s45, v29
	v_ashrrev_i32_e32 v25, 31, v29
	s_delay_alu instid0(VALU_DEP_2)
	v_cmpx_ne_u64_e32 0, v[1:2]
	s_xor_b32 s70, exec_lo, s0
	s_cbranch_execz .LBB19_14
; %bb.13:                               ;   in Loop: Header=BB19_4 Depth=1
	s_ashr_i32 s94, s45, 31
	s_delay_alu instid0(SALU_CYCLE_1) | instskip(SKIP_2) | instid1(SALU_CYCLE_1)
	s_add_u32 s0, s44, s94
	s_mov_b32 s95, s94
	s_addc_u32 s1, s45, s94
	s_xor_b64 s[2:3], s[0:1], s[94:95]
	s_delay_alu instid0(SALU_CYCLE_1) | instskip(SKIP_3) | instid1(VALU_DEP_1)
	v_cvt_f32_u32_e32 v2, s2
	v_cvt_f32_u32_e32 v12, s3
	s_sub_u32 s0, 0, s2
	s_subb_u32 s1, 0, s3
	v_fmac_f32_e32 v2, 0x4f800000, v12
	s_delay_alu instid0(VALU_DEP_1) | instskip(SKIP_2) | instid1(VALU_DEP_1)
	v_rcp_f32_e32 v2, v2
	s_waitcnt_depctr 0xfff
	v_mul_f32_e32 v2, 0x5f7ffffc, v2
	v_mul_f32_e32 v12, 0x2f800000, v2
	s_delay_alu instid0(VALU_DEP_1) | instskip(NEXT) | instid1(VALU_DEP_1)
	v_trunc_f32_e32 v12, v12
	v_fmac_f32_e32 v2, 0xcf800000, v12
	v_cvt_u32_f32_e32 v12, v12
	s_delay_alu instid0(VALU_DEP_2) | instskip(NEXT) | instid1(VALU_DEP_2)
	v_cvt_u32_f32_e32 v2, v2
	v_mul_lo_u32 v13, s0, v12
	s_delay_alu instid0(VALU_DEP_2) | instskip(SKIP_1) | instid1(VALU_DEP_2)
	v_mul_hi_u32 v14, s0, v2
	v_mul_lo_u32 v16, s1, v2
	v_add_nc_u32_e32 v13, v14, v13
	v_mul_lo_u32 v14, s0, v2
	s_delay_alu instid0(VALU_DEP_2) | instskip(NEXT) | instid1(VALU_DEP_2)
	v_add_nc_u32_e32 v13, v13, v16
	v_mul_hi_u32 v16, v2, v14
	s_delay_alu instid0(VALU_DEP_2)
	v_mul_lo_u32 v17, v2, v13
	v_mul_hi_u32 v18, v2, v13
	v_mul_hi_u32 v19, v12, v14
	v_mul_lo_u32 v14, v12, v14
	v_mul_hi_u32 v20, v12, v13
	v_mul_lo_u32 v13, v12, v13
	v_add_co_u32 v16, vcc_lo, v16, v17
	v_add_co_ci_u32_e32 v17, vcc_lo, 0, v18, vcc_lo
	s_delay_alu instid0(VALU_DEP_2) | instskip(NEXT) | instid1(VALU_DEP_2)
	v_add_co_u32 v14, vcc_lo, v16, v14
	v_add_co_ci_u32_e32 v14, vcc_lo, v17, v19, vcc_lo
	v_add_co_ci_u32_e32 v16, vcc_lo, 0, v20, vcc_lo
	s_delay_alu instid0(VALU_DEP_2) | instskip(NEXT) | instid1(VALU_DEP_2)
	v_add_co_u32 v13, vcc_lo, v14, v13
	v_add_co_ci_u32_e32 v14, vcc_lo, 0, v16, vcc_lo
	s_delay_alu instid0(VALU_DEP_2) | instskip(NEXT) | instid1(VALU_DEP_2)
	v_add_co_u32 v2, vcc_lo, v2, v13
	v_add_co_ci_u32_e32 v12, vcc_lo, v12, v14, vcc_lo
	s_delay_alu instid0(VALU_DEP_2) | instskip(SKIP_1) | instid1(VALU_DEP_3)
	v_mul_hi_u32 v13, s0, v2
	v_mul_lo_u32 v16, s1, v2
	v_mul_lo_u32 v14, s0, v12
	s_delay_alu instid0(VALU_DEP_1) | instskip(SKIP_2) | instid1(VALU_DEP_3)
	v_add_nc_u32_e32 v13, v13, v14
	v_mul_lo_u32 v14, s0, v2
	v_add_co_u32 v19, s0, v28, v25
	v_add_nc_u32_e32 v13, v13, v16
	s_delay_alu instid0(VALU_DEP_3) | instskip(NEXT) | instid1(VALU_DEP_2)
	v_mul_hi_u32 v16, v2, v14
	v_mul_lo_u32 v17, v2, v13
	v_mul_hi_u32 v18, v2, v13
	v_mul_hi_u32 v20, v12, v14
	v_mul_lo_u32 v14, v12, v14
	v_mul_hi_u32 v22, v12, v13
	v_mul_lo_u32 v13, v12, v13
	v_add_co_u32 v16, vcc_lo, v16, v17
	v_add_co_ci_u32_e32 v17, vcc_lo, 0, v18, vcc_lo
	s_delay_alu instid0(VALU_DEP_2) | instskip(NEXT) | instid1(VALU_DEP_2)
	v_add_co_u32 v14, vcc_lo, v16, v14
	v_add_co_ci_u32_e32 v14, vcc_lo, v17, v20, vcc_lo
	v_add_co_ci_u32_e32 v16, vcc_lo, 0, v22, vcc_lo
	v_add_co_ci_u32_e64 v17, vcc_lo, v29, v25, s0
	s_delay_alu instid0(VALU_DEP_3) | instskip(NEXT) | instid1(VALU_DEP_3)
	v_add_co_u32 v13, vcc_lo, v14, v13
	v_add_co_ci_u32_e32 v14, vcc_lo, 0, v16, vcc_lo
	v_xor_b32_e32 v20, v19, v25
	s_delay_alu instid0(VALU_DEP_3) | instskip(NEXT) | instid1(VALU_DEP_3)
	v_add_co_u32 v2, vcc_lo, v2, v13
	v_add_co_ci_u32_e32 v14, vcc_lo, v12, v14, vcc_lo
	v_xor_b32_e32 v22, v17, v25
	s_delay_alu instid0(VALU_DEP_3) | instskip(NEXT) | instid1(VALU_DEP_3)
	v_mul_hi_u32 v27, v20, v2
	v_mad_u64_u32 v[12:13], null, v20, v14, 0
	s_delay_alu instid0(VALU_DEP_3) | instskip(SKIP_1) | instid1(VALU_DEP_3)
	v_mad_u64_u32 v[16:17], null, v22, v2, 0
	v_mad_u64_u32 v[18:19], null, v22, v14, 0
	v_add_co_u32 v2, vcc_lo, v27, v12
	s_delay_alu instid0(VALU_DEP_4) | instskip(NEXT) | instid1(VALU_DEP_2)
	v_add_co_ci_u32_e32 v12, vcc_lo, 0, v13, vcc_lo
	v_add_co_u32 v2, vcc_lo, v2, v16
	s_delay_alu instid0(VALU_DEP_2) | instskip(SKIP_1) | instid1(VALU_DEP_2)
	v_add_co_ci_u32_e32 v2, vcc_lo, v12, v17, vcc_lo
	v_add_co_ci_u32_e32 v12, vcc_lo, 0, v19, vcc_lo
	v_add_co_u32 v2, vcc_lo, v2, v18
	s_delay_alu instid0(VALU_DEP_2) | instskip(NEXT) | instid1(VALU_DEP_2)
	v_add_co_ci_u32_e32 v14, vcc_lo, 0, v12, vcc_lo
	v_mul_lo_u32 v16, s3, v2
	v_mad_u64_u32 v[12:13], null, s2, v2, 0
	s_delay_alu instid0(VALU_DEP_3) | instskip(NEXT) | instid1(VALU_DEP_2)
	v_mul_lo_u32 v17, s2, v14
	v_sub_co_u32 v12, vcc_lo, v20, v12
	s_delay_alu instid0(VALU_DEP_2) | instskip(NEXT) | instid1(VALU_DEP_2)
	v_add3_u32 v13, v13, v17, v16
	v_cmp_le_u32_e64 s1, s2, v12
	s_delay_alu instid0(VALU_DEP_2) | instskip(NEXT) | instid1(VALU_DEP_2)
	v_sub_nc_u32_e32 v16, v22, v13
	v_cndmask_b32_e64 v18, 0, -1, s1
	s_delay_alu instid0(VALU_DEP_2) | instskip(SKIP_2) | instid1(VALU_DEP_3)
	v_subrev_co_ci_u32_e64 v16, s0, s3, v16, vcc_lo
	v_sub_co_u32 v17, s0, v12, s2
	v_sub_co_ci_u32_e32 v13, vcc_lo, v22, v13, vcc_lo
	v_subrev_co_ci_u32_e64 v16, s0, 0, v16, s0
	s_delay_alu instid0(VALU_DEP_3) | instskip(NEXT) | instid1(VALU_DEP_3)
	v_cmp_le_u32_e32 vcc_lo, s2, v17
	v_cmp_le_u32_e64 s2, s3, v13
	v_cmp_eq_u32_e64 s1, s3, v13
	s_delay_alu instid0(VALU_DEP_4) | instskip(SKIP_3) | instid1(VALU_DEP_4)
	v_cmp_le_u32_e64 s0, s3, v16
	v_cndmask_b32_e64 v12, 0, -1, vcc_lo
	v_cmp_eq_u32_e32 vcc_lo, s3, v16
	v_cndmask_b32_e64 v13, 0, -1, s2
	v_cndmask_b32_e64 v16, 0, -1, s0
	v_add_co_u32 v17, s0, v2, 2
	s_delay_alu instid0(VALU_DEP_1) | instskip(NEXT) | instid1(VALU_DEP_3)
	v_add_co_ci_u32_e64 v19, s0, 0, v14, s0
	v_cndmask_b32_e32 v12, v16, v12, vcc_lo
	v_add_co_u32 v16, vcc_lo, v2, 1
	s_delay_alu instid0(VALU_DEP_2) | instskip(SKIP_2) | instid1(VALU_DEP_3)
	v_cmp_ne_u32_e64 s0, 0, v12
	v_cndmask_b32_e64 v12, v13, v18, s1
	v_add_co_ci_u32_e32 v13, vcc_lo, 0, v14, vcc_lo
	v_cndmask_b32_e64 v16, v16, v17, s0
	s_delay_alu instid0(VALU_DEP_3) | instskip(NEXT) | instid1(VALU_DEP_3)
	v_cmp_ne_u32_e32 vcc_lo, 0, v12
	v_cndmask_b32_e64 v12, v13, v19, s0
	v_xor_b32_e32 v13, s94, v25
	s_delay_alu instid0(VALU_DEP_4) | instskip(NEXT) | instid1(VALU_DEP_3)
	v_cndmask_b32_e32 v2, v2, v16, vcc_lo
	v_cndmask_b32_e32 v12, v14, v12, vcc_lo
	s_delay_alu instid0(VALU_DEP_2) | instskip(NEXT) | instid1(VALU_DEP_2)
	v_xor_b32_e32 v2, v2, v13
	v_xor_b32_e32 v14, v12, v13
	s_delay_alu instid0(VALU_DEP_2) | instskip(NEXT) | instid1(VALU_DEP_2)
	v_sub_co_u32 v12, vcc_lo, v2, v13
	v_sub_co_ci_u32_e32 v13, vcc_lo, v14, v13, vcc_lo
.LBB19_14:                              ;   in Loop: Header=BB19_4 Depth=1
	s_and_not1_saveexec_b32 s0, s70
	s_cbranch_execz .LBB19_16
; %bb.15:                               ;   in Loop: Header=BB19_4 Depth=1
	v_rcp_iflag_f32_e32 v2, v21
	s_sub_i32 s1, 0, s44
	s_waitcnt_depctr 0xfff
	v_mul_f32_e32 v2, 0x4f7ffffe, v2
	s_delay_alu instid0(VALU_DEP_1) | instskip(NEXT) | instid1(VALU_DEP_1)
	v_cvt_u32_f32_e32 v2, v2
	v_mul_lo_u32 v12, s1, v2
	s_delay_alu instid0(VALU_DEP_1) | instskip(NEXT) | instid1(VALU_DEP_1)
	v_mul_hi_u32 v12, v2, v12
	v_add_nc_u32_e32 v2, v2, v12
	s_delay_alu instid0(VALU_DEP_1) | instskip(NEXT) | instid1(VALU_DEP_1)
	v_mul_hi_u32 v2, v28, v2
	v_mul_lo_u32 v12, v2, s44
	v_add_nc_u32_e32 v13, 1, v2
	s_delay_alu instid0(VALU_DEP_2) | instskip(NEXT) | instid1(VALU_DEP_1)
	v_sub_nc_u32_e32 v12, v28, v12
	v_cmp_le_u32_e32 vcc_lo, s44, v12
	v_subrev_nc_u32_e32 v14, s44, v12
	s_delay_alu instid0(VALU_DEP_4) | instskip(NEXT) | instid1(VALU_DEP_2)
	v_cndmask_b32_e32 v2, v2, v13, vcc_lo
	v_cndmask_b32_e32 v12, v12, v14, vcc_lo
	s_delay_alu instid0(VALU_DEP_2) | instskip(NEXT) | instid1(VALU_DEP_2)
	v_add_nc_u32_e32 v13, 1, v2
	v_cmp_le_u32_e32 vcc_lo, s44, v12
	s_delay_alu instid0(VALU_DEP_2)
	v_dual_cndmask_b32 v12, v2, v13 :: v_dual_mov_b32 v13, v1
.LBB19_16:                              ;   in Loop: Header=BB19_4 Depth=1
	s_or_b32 exec_lo, exec_lo, s0
	s_delay_alu instid0(VALU_DEP_1) | instskip(NEXT) | instid1(VALU_DEP_2)
	v_mul_lo_u32 v2, v13, s12
	v_mul_lo_u32 v14, v12, s13
	v_mad_u64_u32 v[16:17], null, v12, s12, 0
	v_mul_lo_u32 v18, v12, s45
	v_mov_b32_e32 v19, v11
	s_mov_b32 s0, exec_lo
	s_delay_alu instid0(VALU_DEP_3) | instskip(SKIP_2) | instid1(VALU_DEP_3)
	v_add3_u32 v17, v17, v14, v2
	v_mul_lo_u32 v2, v13, s44
	v_mad_u64_u32 v[13:14], null, v12, s44, 0
	v_lshlrev_b64 v[16:17], 3, v[16:17]
	s_delay_alu instid0(VALU_DEP_2) | instskip(NEXT) | instid1(VALU_DEP_3)
	v_add3_u32 v2, v14, v18, v2
	v_sub_co_u32 v12, vcc_lo, v9, v13
	s_delay_alu instid0(VALU_DEP_2) | instskip(NEXT) | instid1(VALU_DEP_2)
	v_sub_co_ci_u32_e32 v2, vcc_lo, v10, v2, vcc_lo
	v_add_co_u32 v14, vcc_lo, v3, v12
	s_delay_alu instid0(VALU_DEP_2) | instskip(NEXT) | instid1(VALU_DEP_2)
	v_add_co_ci_u32_e32 v2, vcc_lo, v4, v2, vcc_lo
	v_mul_lo_u32 v18, v14, s15
	v_mad_u64_u32 v[12:13], null, v14, s14, 0
	s_delay_alu instid0(VALU_DEP_3) | instskip(NEXT) | instid1(VALU_DEP_1)
	v_mul_lo_u32 v2, v2, s14
	v_add3_u32 v13, v13, v18, v2
	v_add_co_u32 v2, vcc_lo, s42, v16
	v_add_co_ci_u32_e32 v14, vcc_lo, s43, v17, vcc_lo
	s_delay_alu instid0(VALU_DEP_3) | instskip(NEXT) | instid1(VALU_DEP_1)
	v_lshlrev_b64 v[12:13], 3, v[12:13]
	v_add_co_u32 v16, vcc_lo, v2, v12
	s_delay_alu instid0(VALU_DEP_2) | instskip(SKIP_2) | instid1(VALU_DEP_2)
	v_add_co_ci_u32_e32 v17, vcc_lo, v14, v13, vcc_lo
	v_add_co_u32 v2, vcc_lo, v15, 2
	v_add_co_ci_u32_e32 v11, vcc_lo, 0, v19, vcc_lo
	v_mul_lo_u32 v12, s5, v2
	v_mad_u64_u32 v[13:14], null, s4, v2, 0
	s_delay_alu instid0(VALU_DEP_3) | instskip(NEXT) | instid1(VALU_DEP_2)
	v_mul_lo_u32 v11, s4, v11
	v_add_co_u32 v31, vcc_lo, v3, v13
	s_delay_alu instid0(VALU_DEP_2) | instskip(SKIP_2) | instid1(VALU_DEP_1)
	v_add3_u32 v14, v14, v11, v12
	global_load_b64 v[11:12], v[16:17], off
                                        ; implicit-def: $vgpr16_vgpr17
	v_add_co_ci_u32_e32 v32, vcc_lo, v4, v14, vcc_lo
	v_or_b32_e32 v2, s45, v32
	v_ashrrev_i32_e32 v27, 31, v32
	s_delay_alu instid0(VALU_DEP_2)
	v_cmpx_ne_u64_e32 0, v[1:2]
	s_xor_b32 s70, exec_lo, s0
	s_cbranch_execz .LBB19_18
; %bb.17:                               ;   in Loop: Header=BB19_4 Depth=1
	s_ashr_i32 s94, s45, 31
	s_delay_alu instid0(SALU_CYCLE_1) | instskip(SKIP_2) | instid1(SALU_CYCLE_1)
	s_add_u32 s0, s44, s94
	s_mov_b32 s95, s94
	s_addc_u32 s1, s45, s94
	s_xor_b64 s[2:3], s[0:1], s[94:95]
	s_delay_alu instid0(SALU_CYCLE_1) | instskip(SKIP_3) | instid1(VALU_DEP_1)
	v_cvt_f32_u32_e32 v2, s2
	v_cvt_f32_u32_e32 v16, s3
	s_sub_u32 s0, 0, s2
	s_subb_u32 s1, 0, s3
	v_fmac_f32_e32 v2, 0x4f800000, v16
	s_delay_alu instid0(VALU_DEP_1) | instskip(SKIP_2) | instid1(VALU_DEP_1)
	v_rcp_f32_e32 v2, v2
	s_waitcnt_depctr 0xfff
	v_mul_f32_e32 v2, 0x5f7ffffc, v2
	v_mul_f32_e32 v16, 0x2f800000, v2
	s_delay_alu instid0(VALU_DEP_1) | instskip(NEXT) | instid1(VALU_DEP_1)
	v_trunc_f32_e32 v16, v16
	v_fmac_f32_e32 v2, 0xcf800000, v16
	v_cvt_u32_f32_e32 v16, v16
	s_delay_alu instid0(VALU_DEP_2) | instskip(NEXT) | instid1(VALU_DEP_2)
	v_cvt_u32_f32_e32 v2, v2
	v_mul_lo_u32 v17, s0, v16
	s_delay_alu instid0(VALU_DEP_2) | instskip(SKIP_1) | instid1(VALU_DEP_2)
	v_mul_hi_u32 v18, s0, v2
	v_mul_lo_u32 v20, s1, v2
	v_add_nc_u32_e32 v17, v18, v17
	v_mul_lo_u32 v18, s0, v2
	s_delay_alu instid0(VALU_DEP_2) | instskip(NEXT) | instid1(VALU_DEP_2)
	v_add_nc_u32_e32 v17, v17, v20
	v_mul_hi_u32 v20, v2, v18
	s_delay_alu instid0(VALU_DEP_2)
	v_mul_lo_u32 v22, v2, v17
	v_mul_hi_u32 v30, v2, v17
	v_mul_hi_u32 v33, v16, v18
	v_mul_lo_u32 v18, v16, v18
	v_mul_hi_u32 v34, v16, v17
	v_mul_lo_u32 v17, v16, v17
	v_add_co_u32 v20, vcc_lo, v20, v22
	v_add_co_ci_u32_e32 v22, vcc_lo, 0, v30, vcc_lo
	s_delay_alu instid0(VALU_DEP_2) | instskip(NEXT) | instid1(VALU_DEP_2)
	v_add_co_u32 v18, vcc_lo, v20, v18
	v_add_co_ci_u32_e32 v18, vcc_lo, v22, v33, vcc_lo
	v_add_co_ci_u32_e32 v20, vcc_lo, 0, v34, vcc_lo
	s_delay_alu instid0(VALU_DEP_2) | instskip(NEXT) | instid1(VALU_DEP_2)
	v_add_co_u32 v17, vcc_lo, v18, v17
	v_add_co_ci_u32_e32 v18, vcc_lo, 0, v20, vcc_lo
	s_delay_alu instid0(VALU_DEP_2) | instskip(NEXT) | instid1(VALU_DEP_2)
	v_add_co_u32 v2, vcc_lo, v2, v17
	v_add_co_ci_u32_e32 v16, vcc_lo, v16, v18, vcc_lo
	s_delay_alu instid0(VALU_DEP_2) | instskip(SKIP_1) | instid1(VALU_DEP_3)
	v_mul_hi_u32 v17, s0, v2
	v_mul_lo_u32 v20, s1, v2
	v_mul_lo_u32 v18, s0, v16
	s_delay_alu instid0(VALU_DEP_1) | instskip(SKIP_2) | instid1(VALU_DEP_3)
	v_add_nc_u32_e32 v17, v17, v18
	v_mul_lo_u32 v18, s0, v2
	v_add_co_u32 v33, s0, v31, v27
	v_add_nc_u32_e32 v17, v17, v20
	s_delay_alu instid0(VALU_DEP_3) | instskip(NEXT) | instid1(VALU_DEP_2)
	v_mul_hi_u32 v20, v2, v18
	v_mul_lo_u32 v22, v2, v17
	v_mul_hi_u32 v30, v2, v17
	v_mul_hi_u32 v34, v16, v18
	v_mul_lo_u32 v18, v16, v18
	v_mul_hi_u32 v35, v16, v17
	v_mul_lo_u32 v17, v16, v17
	v_add_co_u32 v20, vcc_lo, v20, v22
	v_add_co_ci_u32_e32 v22, vcc_lo, 0, v30, vcc_lo
	s_delay_alu instid0(VALU_DEP_2) | instskip(NEXT) | instid1(VALU_DEP_2)
	v_add_co_u32 v18, vcc_lo, v20, v18
	v_add_co_ci_u32_e32 v18, vcc_lo, v22, v34, vcc_lo
	v_add_co_ci_u32_e32 v20, vcc_lo, 0, v35, vcc_lo
	v_add_co_ci_u32_e64 v22, vcc_lo, v32, v27, s0
	s_delay_alu instid0(VALU_DEP_3) | instskip(NEXT) | instid1(VALU_DEP_3)
	v_add_co_u32 v17, vcc_lo, v18, v17
	v_add_co_ci_u32_e32 v18, vcc_lo, 0, v20, vcc_lo
	v_xor_b32_e32 v20, v33, v27
	s_delay_alu instid0(VALU_DEP_3) | instskip(NEXT) | instid1(VALU_DEP_3)
	v_add_co_u32 v2, vcc_lo, v2, v17
	v_add_co_ci_u32_e32 v18, vcc_lo, v16, v18, vcc_lo
	v_xor_b32_e32 v22, v22, v27
	s_delay_alu instid0(VALU_DEP_3) | instskip(NEXT) | instid1(VALU_DEP_3)
	v_mul_hi_u32 v30, v20, v2
	v_mad_u64_u32 v[16:17], null, v20, v18, 0
	s_delay_alu instid0(VALU_DEP_3) | instskip(SKIP_1) | instid1(VALU_DEP_3)
	v_mad_u64_u32 v[33:34], null, v22, v2, 0
	v_mad_u64_u32 v[35:36], null, v22, v18, 0
	v_add_co_u32 v2, vcc_lo, v30, v16
	s_delay_alu instid0(VALU_DEP_4) | instskip(NEXT) | instid1(VALU_DEP_2)
	v_add_co_ci_u32_e32 v16, vcc_lo, 0, v17, vcc_lo
	v_add_co_u32 v2, vcc_lo, v2, v33
	s_delay_alu instid0(VALU_DEP_2) | instskip(SKIP_1) | instid1(VALU_DEP_2)
	v_add_co_ci_u32_e32 v2, vcc_lo, v16, v34, vcc_lo
	v_add_co_ci_u32_e32 v16, vcc_lo, 0, v36, vcc_lo
	v_add_co_u32 v2, vcc_lo, v2, v35
	s_delay_alu instid0(VALU_DEP_2) | instskip(NEXT) | instid1(VALU_DEP_2)
	v_add_co_ci_u32_e32 v18, vcc_lo, 0, v16, vcc_lo
	v_mul_lo_u32 v30, s3, v2
	v_mad_u64_u32 v[16:17], null, s2, v2, 0
	s_delay_alu instid0(VALU_DEP_3) | instskip(NEXT) | instid1(VALU_DEP_2)
	v_mul_lo_u32 v33, s2, v18
	v_sub_co_u32 v16, vcc_lo, v20, v16
	s_delay_alu instid0(VALU_DEP_2) | instskip(NEXT) | instid1(VALU_DEP_2)
	v_add3_u32 v17, v17, v33, v30
	v_cmp_le_u32_e64 s1, s2, v16
	s_delay_alu instid0(VALU_DEP_2) | instskip(NEXT) | instid1(VALU_DEP_1)
	v_sub_nc_u32_e32 v30, v22, v17
	v_subrev_co_ci_u32_e64 v20, s0, s3, v30, vcc_lo
	v_sub_co_u32 v30, s0, v16, s2
	v_sub_co_ci_u32_e32 v17, vcc_lo, v22, v17, vcc_lo
	s_delay_alu instid0(VALU_DEP_3) | instskip(NEXT) | instid1(VALU_DEP_3)
	v_subrev_co_ci_u32_e64 v20, s0, 0, v20, s0
	v_cmp_le_u32_e32 vcc_lo, s2, v30
	s_delay_alu instid0(VALU_DEP_3) | instskip(SKIP_1) | instid1(VALU_DEP_4)
	v_cmp_le_u32_e64 s2, s3, v17
	v_cndmask_b32_e64 v30, 0, -1, s1
	v_cmp_le_u32_e64 s0, s3, v20
	v_cmp_eq_u32_e64 s1, s3, v17
	v_cndmask_b32_e64 v16, 0, -1, vcc_lo
	v_cmp_eq_u32_e32 vcc_lo, s3, v20
	v_cndmask_b32_e64 v17, 0, -1, s2
	v_cndmask_b32_e64 v20, 0, -1, s0
	v_add_co_u32 v22, s0, v2, 2
	s_delay_alu instid0(VALU_DEP_1) | instskip(NEXT) | instid1(VALU_DEP_3)
	v_add_co_ci_u32_e64 v33, s0, 0, v18, s0
	v_cndmask_b32_e32 v16, v20, v16, vcc_lo
	v_add_co_u32 v20, vcc_lo, v2, 1
	s_delay_alu instid0(VALU_DEP_2) | instskip(SKIP_2) | instid1(VALU_DEP_3)
	v_cmp_ne_u32_e64 s0, 0, v16
	v_cndmask_b32_e64 v16, v17, v30, s1
	v_add_co_ci_u32_e32 v17, vcc_lo, 0, v18, vcc_lo
	v_cndmask_b32_e64 v20, v20, v22, s0
	s_delay_alu instid0(VALU_DEP_3) | instskip(NEXT) | instid1(VALU_DEP_3)
	v_cmp_ne_u32_e32 vcc_lo, 0, v16
	v_cndmask_b32_e64 v16, v17, v33, s0
	v_xor_b32_e32 v17, s94, v27
	s_delay_alu instid0(VALU_DEP_4) | instskip(NEXT) | instid1(VALU_DEP_3)
	v_cndmask_b32_e32 v2, v2, v20, vcc_lo
	v_cndmask_b32_e32 v16, v18, v16, vcc_lo
	s_delay_alu instid0(VALU_DEP_2) | instskip(NEXT) | instid1(VALU_DEP_2)
	v_xor_b32_e32 v2, v2, v17
	v_xor_b32_e32 v18, v16, v17
	s_delay_alu instid0(VALU_DEP_2) | instskip(NEXT) | instid1(VALU_DEP_2)
	v_sub_co_u32 v16, vcc_lo, v2, v17
	v_sub_co_ci_u32_e32 v17, vcc_lo, v18, v17, vcc_lo
.LBB19_18:                              ;   in Loop: Header=BB19_4 Depth=1
	s_and_not1_saveexec_b32 s0, s70
	s_cbranch_execz .LBB19_20
; %bb.19:                               ;   in Loop: Header=BB19_4 Depth=1
	v_rcp_iflag_f32_e32 v2, v21
	s_sub_i32 s1, 0, s44
	s_waitcnt_depctr 0xfff
	v_mul_f32_e32 v2, 0x4f7ffffe, v2
	s_delay_alu instid0(VALU_DEP_1) | instskip(NEXT) | instid1(VALU_DEP_1)
	v_cvt_u32_f32_e32 v2, v2
	v_mul_lo_u32 v16, s1, v2
	s_delay_alu instid0(VALU_DEP_1) | instskip(NEXT) | instid1(VALU_DEP_1)
	v_mul_hi_u32 v16, v2, v16
	v_add_nc_u32_e32 v2, v2, v16
	s_delay_alu instid0(VALU_DEP_1) | instskip(NEXT) | instid1(VALU_DEP_1)
	v_mul_hi_u32 v2, v31, v2
	v_mul_lo_u32 v16, v2, s44
	v_add_nc_u32_e32 v17, 1, v2
	s_delay_alu instid0(VALU_DEP_2) | instskip(NEXT) | instid1(VALU_DEP_1)
	v_sub_nc_u32_e32 v16, v31, v16
	v_cmp_le_u32_e32 vcc_lo, s44, v16
	v_subrev_nc_u32_e32 v18, s44, v16
	s_delay_alu instid0(VALU_DEP_4) | instskip(NEXT) | instid1(VALU_DEP_2)
	v_cndmask_b32_e32 v2, v2, v17, vcc_lo
	v_cndmask_b32_e32 v16, v16, v18, vcc_lo
	s_delay_alu instid0(VALU_DEP_2) | instskip(NEXT) | instid1(VALU_DEP_2)
	v_add_nc_u32_e32 v17, 1, v2
	v_cmp_le_u32_e32 vcc_lo, s44, v16
	s_delay_alu instid0(VALU_DEP_2)
	v_dual_cndmask_b32 v16, v2, v17 :: v_dual_mov_b32 v17, v1
.LBB19_20:                              ;   in Loop: Header=BB19_4 Depth=1
	s_or_b32 exec_lo, exec_lo, s0
	s_delay_alu instid0(VALU_DEP_1) | instskip(NEXT) | instid1(VALU_DEP_2)
	v_mul_lo_u32 v2, v17, s12
	v_mul_lo_u32 v18, v16, s13
	v_mad_u64_u32 v[33:34], null, v16, s12, 0
	v_mul_lo_u32 v20, v16, s45
	s_mov_b32 s0, exec_lo
	s_delay_alu instid0(VALU_DEP_2) | instskip(SKIP_2) | instid1(VALU_DEP_3)
	v_add3_u32 v34, v34, v18, v2
	v_mul_lo_u32 v2, v17, s44
	v_mad_u64_u32 v[17:18], null, v16, s44, 0
	v_lshlrev_b64 v[33:34], 3, v[33:34]
	s_delay_alu instid0(VALU_DEP_2) | instskip(NEXT) | instid1(VALU_DEP_3)
	v_add3_u32 v2, v18, v20, v2
	v_sub_co_u32 v16, vcc_lo, v13, v17
	s_delay_alu instid0(VALU_DEP_2) | instskip(NEXT) | instid1(VALU_DEP_2)
	v_sub_co_ci_u32_e32 v2, vcc_lo, v14, v2, vcc_lo
	v_add_co_u32 v18, vcc_lo, v3, v16
	s_delay_alu instid0(VALU_DEP_2) | instskip(NEXT) | instid1(VALU_DEP_2)
	v_add_co_ci_u32_e32 v2, vcc_lo, v4, v2, vcc_lo
	v_mul_lo_u32 v20, v18, s15
	v_mad_u64_u32 v[16:17], null, v18, s14, 0
	s_delay_alu instid0(VALU_DEP_3) | instskip(NEXT) | instid1(VALU_DEP_1)
	v_mul_lo_u32 v2, v2, s14
	v_add3_u32 v17, v17, v20, v2
	v_add_co_u32 v2, vcc_lo, s42, v33
	v_add_co_ci_u32_e32 v18, vcc_lo, s43, v34, vcc_lo
	s_delay_alu instid0(VALU_DEP_3) | instskip(NEXT) | instid1(VALU_DEP_1)
	v_lshlrev_b64 v[16:17], 3, v[16:17]
	v_add_co_u32 v16, vcc_lo, v2, v16
	s_delay_alu instid0(VALU_DEP_2)
	v_add_co_ci_u32_e32 v17, vcc_lo, v18, v17, vcc_lo
	v_add_co_u32 v2, vcc_lo, v15, 3
	v_add_co_ci_u32_e32 v15, vcc_lo, 0, v19, vcc_lo
	global_load_b64 v[17:18], v[16:17], off
	v_mul_lo_u32 v19, s5, v2
	v_mul_lo_u32 v20, s4, v15
	v_mad_u64_u32 v[15:16], null, s4, v2, 0
	s_delay_alu instid0(VALU_DEP_1) | instskip(NEXT) | instid1(VALU_DEP_2)
	v_add3_u32 v16, v16, v20, v19
	v_add_co_u32 v33, vcc_lo, v3, v15
                                        ; implicit-def: $vgpr19_vgpr20
	s_delay_alu instid0(VALU_DEP_2) | instskip(NEXT) | instid1(VALU_DEP_1)
	v_add_co_ci_u32_e32 v34, vcc_lo, v4, v16, vcc_lo
	v_or_b32_e32 v2, s45, v34
	v_ashrrev_i32_e32 v30, 31, v34
	s_delay_alu instid0(VALU_DEP_2)
	v_cmpx_ne_u64_e32 0, v[1:2]
	s_xor_b32 s70, exec_lo, s0
	s_cbranch_execz .LBB19_22
; %bb.21:                               ;   in Loop: Header=BB19_4 Depth=1
	s_ashr_i32 s94, s45, 31
	s_delay_alu instid0(SALU_CYCLE_1) | instskip(SKIP_2) | instid1(SALU_CYCLE_1)
	s_add_u32 s0, s44, s94
	s_mov_b32 s95, s94
	s_addc_u32 s1, s45, s94
	s_xor_b64 s[2:3], s[0:1], s[94:95]
	s_delay_alu instid0(SALU_CYCLE_1) | instskip(SKIP_3) | instid1(VALU_DEP_1)
	v_cvt_f32_u32_e32 v2, s2
	v_cvt_f32_u32_e32 v19, s3
	s_sub_u32 s0, 0, s2
	s_subb_u32 s1, 0, s3
	v_fmac_f32_e32 v2, 0x4f800000, v19
	s_delay_alu instid0(VALU_DEP_1) | instskip(SKIP_2) | instid1(VALU_DEP_1)
	v_rcp_f32_e32 v2, v2
	s_waitcnt_depctr 0xfff
	v_mul_f32_e32 v2, 0x5f7ffffc, v2
	v_mul_f32_e32 v19, 0x2f800000, v2
	s_delay_alu instid0(VALU_DEP_1) | instskip(NEXT) | instid1(VALU_DEP_1)
	v_trunc_f32_e32 v19, v19
	v_fmac_f32_e32 v2, 0xcf800000, v19
	v_cvt_u32_f32_e32 v19, v19
	s_delay_alu instid0(VALU_DEP_2) | instskip(NEXT) | instid1(VALU_DEP_2)
	v_cvt_u32_f32_e32 v2, v2
	v_mul_lo_u32 v20, s0, v19
	s_delay_alu instid0(VALU_DEP_2) | instskip(SKIP_1) | instid1(VALU_DEP_2)
	v_mul_hi_u32 v21, s0, v2
	v_mul_lo_u32 v22, s1, v2
	v_add_nc_u32_e32 v20, v21, v20
	v_mul_lo_u32 v21, s0, v2
	s_delay_alu instid0(VALU_DEP_2) | instskip(NEXT) | instid1(VALU_DEP_2)
	v_add_nc_u32_e32 v20, v20, v22
	v_mul_hi_u32 v22, v2, v21
	s_delay_alu instid0(VALU_DEP_2)
	v_mul_lo_u32 v35, v2, v20
	v_mul_hi_u32 v36, v2, v20
	v_mul_hi_u32 v37, v19, v21
	v_mul_lo_u32 v21, v19, v21
	v_mul_hi_u32 v38, v19, v20
	v_mul_lo_u32 v20, v19, v20
	v_add_co_u32 v22, vcc_lo, v22, v35
	v_add_co_ci_u32_e32 v35, vcc_lo, 0, v36, vcc_lo
	s_delay_alu instid0(VALU_DEP_2) | instskip(NEXT) | instid1(VALU_DEP_2)
	v_add_co_u32 v21, vcc_lo, v22, v21
	v_add_co_ci_u32_e32 v21, vcc_lo, v35, v37, vcc_lo
	v_add_co_ci_u32_e32 v22, vcc_lo, 0, v38, vcc_lo
	s_delay_alu instid0(VALU_DEP_2) | instskip(NEXT) | instid1(VALU_DEP_2)
	v_add_co_u32 v20, vcc_lo, v21, v20
	v_add_co_ci_u32_e32 v21, vcc_lo, 0, v22, vcc_lo
	s_delay_alu instid0(VALU_DEP_2) | instskip(NEXT) | instid1(VALU_DEP_2)
	v_add_co_u32 v2, vcc_lo, v2, v20
	v_add_co_ci_u32_e32 v19, vcc_lo, v19, v21, vcc_lo
	s_delay_alu instid0(VALU_DEP_2) | instskip(SKIP_1) | instid1(VALU_DEP_3)
	v_mul_hi_u32 v20, s0, v2
	v_mul_lo_u32 v22, s1, v2
	v_mul_lo_u32 v21, s0, v19
	s_delay_alu instid0(VALU_DEP_1) | instskip(SKIP_2) | instid1(VALU_DEP_3)
	v_add_nc_u32_e32 v20, v20, v21
	v_mul_lo_u32 v21, s0, v2
	v_add_co_u32 v37, s0, v33, v30
	v_add_nc_u32_e32 v20, v20, v22
	s_delay_alu instid0(VALU_DEP_2) | instskip(NEXT) | instid1(VALU_DEP_4)
	v_xor_b32_e32 v37, v37, v30
	v_mul_hi_u32 v22, v2, v21
	s_delay_alu instid0(VALU_DEP_3)
	v_mul_lo_u32 v35, v2, v20
	v_mul_hi_u32 v36, v2, v20
	v_mul_hi_u32 v38, v19, v21
	v_mul_lo_u32 v21, v19, v21
	v_mul_hi_u32 v39, v19, v20
	v_mul_lo_u32 v20, v19, v20
	v_add_co_u32 v22, vcc_lo, v22, v35
	v_add_co_ci_u32_e32 v35, vcc_lo, 0, v36, vcc_lo
	s_delay_alu instid0(VALU_DEP_2) | instskip(NEXT) | instid1(VALU_DEP_2)
	v_add_co_u32 v21, vcc_lo, v22, v21
	v_add_co_ci_u32_e32 v21, vcc_lo, v35, v38, vcc_lo
	v_add_co_ci_u32_e32 v22, vcc_lo, 0, v39, vcc_lo
	v_add_co_ci_u32_e64 v35, vcc_lo, v34, v30, s0
	s_delay_alu instid0(VALU_DEP_3) | instskip(NEXT) | instid1(VALU_DEP_3)
	v_add_co_u32 v20, vcc_lo, v21, v20
	v_add_co_ci_u32_e32 v21, vcc_lo, 0, v22, vcc_lo
	s_delay_alu instid0(VALU_DEP_3) | instskip(NEXT) | instid1(VALU_DEP_3)
	v_xor_b32_e32 v39, v35, v30
	v_add_co_u32 v2, vcc_lo, v2, v20
	s_delay_alu instid0(VALU_DEP_3) | instskip(NEXT) | instid1(VALU_DEP_2)
	v_add_co_ci_u32_e32 v38, vcc_lo, v19, v21, vcc_lo
	v_mul_hi_u32 v40, v37, v2
	s_delay_alu instid0(VALU_DEP_4) | instskip(NEXT) | instid1(VALU_DEP_3)
	v_mad_u64_u32 v[21:22], null, v39, v2, 0
	v_mad_u64_u32 v[19:20], null, v37, v38, 0
	;; [unrolled: 1-line block ×3, first 2 shown]
	s_delay_alu instid0(VALU_DEP_2) | instskip(NEXT) | instid1(VALU_DEP_3)
	v_add_co_u32 v2, vcc_lo, v40, v19
	v_add_co_ci_u32_e32 v19, vcc_lo, 0, v20, vcc_lo
	s_delay_alu instid0(VALU_DEP_2) | instskip(NEXT) | instid1(VALU_DEP_2)
	v_add_co_u32 v2, vcc_lo, v2, v21
	v_add_co_ci_u32_e32 v2, vcc_lo, v19, v22, vcc_lo
	v_add_co_ci_u32_e32 v19, vcc_lo, 0, v36, vcc_lo
	s_delay_alu instid0(VALU_DEP_2) | instskip(NEXT) | instid1(VALU_DEP_2)
	v_add_co_u32 v2, vcc_lo, v2, v35
	v_add_co_ci_u32_e32 v21, vcc_lo, 0, v19, vcc_lo
	s_delay_alu instid0(VALU_DEP_2) | instskip(SKIP_1) | instid1(VALU_DEP_3)
	v_mul_lo_u32 v22, s3, v2
	v_mad_u64_u32 v[19:20], null, s2, v2, 0
	v_mul_lo_u32 v35, s2, v21
	s_delay_alu instid0(VALU_DEP_2) | instskip(NEXT) | instid1(VALU_DEP_2)
	v_sub_co_u32 v19, vcc_lo, v37, v19
	v_add3_u32 v20, v20, v35, v22
	s_delay_alu instid0(VALU_DEP_2) | instskip(NEXT) | instid1(VALU_DEP_2)
	v_cmp_le_u32_e64 s1, s2, v19
	v_sub_nc_u32_e32 v22, v39, v20
	s_delay_alu instid0(VALU_DEP_2) | instskip(NEXT) | instid1(VALU_DEP_2)
	v_cndmask_b32_e64 v36, 0, -1, s1
	v_subrev_co_ci_u32_e64 v22, s0, s3, v22, vcc_lo
	v_sub_co_u32 v35, s0, v19, s2
	v_sub_co_ci_u32_e32 v20, vcc_lo, v39, v20, vcc_lo
	s_delay_alu instid0(VALU_DEP_3) | instskip(NEXT) | instid1(VALU_DEP_3)
	v_subrev_co_ci_u32_e64 v22, s0, 0, v22, s0
	v_cmp_le_u32_e32 vcc_lo, s2, v35
	s_delay_alu instid0(VALU_DEP_3) | instskip(SKIP_1) | instid1(VALU_DEP_4)
	v_cmp_le_u32_e64 s2, s3, v20
	v_cmp_eq_u32_e64 s1, s3, v20
	v_cmp_le_u32_e64 s0, s3, v22
	v_cndmask_b32_e64 v19, 0, -1, vcc_lo
	v_cmp_eq_u32_e32 vcc_lo, s3, v22
	v_cndmask_b32_e64 v20, 0, -1, s2
	s_delay_alu instid0(VALU_DEP_4) | instskip(SKIP_1) | instid1(VALU_DEP_1)
	v_cndmask_b32_e64 v22, 0, -1, s0
	v_add_co_u32 v35, s0, v2, 2
	v_add_co_ci_u32_e64 v37, s0, 0, v21, s0
	s_delay_alu instid0(VALU_DEP_3) | instskip(SKIP_1) | instid1(VALU_DEP_2)
	v_cndmask_b32_e32 v19, v22, v19, vcc_lo
	v_add_co_u32 v22, vcc_lo, v2, 1
	v_cmp_ne_u32_e64 s0, 0, v19
	v_cndmask_b32_e64 v19, v20, v36, s1
	v_add_co_ci_u32_e32 v20, vcc_lo, 0, v21, vcc_lo
	s_delay_alu instid0(VALU_DEP_3) | instskip(NEXT) | instid1(VALU_DEP_3)
	v_cndmask_b32_e64 v22, v22, v35, s0
	v_cmp_ne_u32_e32 vcc_lo, 0, v19
	s_delay_alu instid0(VALU_DEP_3) | instskip(SKIP_1) | instid1(VALU_DEP_2)
	v_cndmask_b32_e64 v19, v20, v37, s0
	v_xor_b32_e32 v20, s94, v30
	v_dual_cndmask_b32 v2, v2, v22 :: v_dual_cndmask_b32 v19, v21, v19
	s_delay_alu instid0(VALU_DEP_1) | instskip(NEXT) | instid1(VALU_DEP_2)
	v_xor_b32_e32 v2, v2, v20
	v_xor_b32_e32 v21, v19, v20
	s_delay_alu instid0(VALU_DEP_2) | instskip(NEXT) | instid1(VALU_DEP_2)
	v_sub_co_u32 v19, vcc_lo, v2, v20
	v_sub_co_ci_u32_e32 v20, vcc_lo, v21, v20, vcc_lo
                                        ; implicit-def: $vgpr21
.LBB19_22:                              ;   in Loop: Header=BB19_4 Depth=1
	s_and_not1_saveexec_b32 s0, s70
	s_cbranch_execz .LBB19_24
; %bb.23:                               ;   in Loop: Header=BB19_4 Depth=1
	v_rcp_iflag_f32_e32 v2, v21
	s_sub_i32 s1, 0, s44
	s_waitcnt_depctr 0xfff
	v_mul_f32_e32 v2, 0x4f7ffffe, v2
	s_delay_alu instid0(VALU_DEP_1) | instskip(NEXT) | instid1(VALU_DEP_1)
	v_cvt_u32_f32_e32 v2, v2
	v_mul_lo_u32 v19, s1, v2
	s_delay_alu instid0(VALU_DEP_1) | instskip(NEXT) | instid1(VALU_DEP_1)
	v_mul_hi_u32 v19, v2, v19
	v_add_nc_u32_e32 v2, v2, v19
	s_delay_alu instid0(VALU_DEP_1) | instskip(NEXT) | instid1(VALU_DEP_1)
	v_mul_hi_u32 v2, v33, v2
	v_mul_lo_u32 v19, v2, s44
	v_add_nc_u32_e32 v20, 1, v2
	s_delay_alu instid0(VALU_DEP_2) | instskip(NEXT) | instid1(VALU_DEP_1)
	v_sub_nc_u32_e32 v19, v33, v19
	v_cmp_le_u32_e32 vcc_lo, s44, v19
	v_subrev_nc_u32_e32 v21, s44, v19
	s_delay_alu instid0(VALU_DEP_1) | instskip(NEXT) | instid1(VALU_DEP_1)
	v_dual_cndmask_b32 v2, v2, v20 :: v_dual_cndmask_b32 v19, v19, v21
	v_add_nc_u32_e32 v20, 1, v2
	s_delay_alu instid0(VALU_DEP_2) | instskip(NEXT) | instid1(VALU_DEP_2)
	v_cmp_le_u32_e32 vcc_lo, s44, v19
	v_dual_cndmask_b32 v19, v2, v20 :: v_dual_mov_b32 v20, v1
.LBB19_24:                              ;   in Loop: Header=BB19_4 Depth=1
	s_or_b32 exec_lo, exec_lo, s0
	s_delay_alu instid0(VALU_DEP_1) | instskip(NEXT) | instid1(VALU_DEP_2)
	v_mul_lo_u32 v2, v20, s44
	v_mul_lo_u32 v35, v19, s45
	v_mad_u64_u32 v[21:22], null, v19, s44, 0
	v_mul_lo_u32 v36, v19, s13
	s_mov_b32 s0, exec_lo
	s_delay_alu instid0(VALU_DEP_2) | instskip(NEXT) | instid1(VALU_DEP_3)
	v_add3_u32 v2, v22, v35, v2
	v_sub_co_u32 v35, vcc_lo, v15, v21
	v_mul_lo_u32 v22, v20, s12
	v_mad_u64_u32 v[20:21], null, v19, s12, 0
	s_delay_alu instid0(VALU_DEP_4) | instskip(NEXT) | instid1(VALU_DEP_4)
	v_sub_co_ci_u32_e32 v2, vcc_lo, v16, v2, vcc_lo
	v_add_co_u32 v19, vcc_lo, v3, v35
	s_delay_alu instid0(VALU_DEP_2) | instskip(NEXT) | instid1(VALU_DEP_4)
	v_add_co_ci_u32_e32 v2, vcc_lo, v4, v2, vcc_lo
	v_add3_u32 v21, v21, v36, v22
	s_delay_alu instid0(VALU_DEP_3) | instskip(SKIP_1) | instid1(VALU_DEP_4)
	v_mul_lo_u32 v22, v19, s15
	v_mad_u64_u32 v[35:36], null, v19, s14, 0
	v_mul_lo_u32 v2, v2, s14
	s_delay_alu instid0(VALU_DEP_4) | instskip(NEXT) | instid1(VALU_DEP_2)
	v_lshlrev_b64 v[19:20], 3, v[20:21]
	v_add3_u32 v36, v36, v22, v2
	s_delay_alu instid0(VALU_DEP_2) | instskip(NEXT) | instid1(VALU_DEP_3)
	v_add_co_u32 v2, vcc_lo, s42, v19
	v_add_co_ci_u32_e32 v20, vcc_lo, s43, v20, vcc_lo
	s_delay_alu instid0(VALU_DEP_3) | instskip(NEXT) | instid1(VALU_DEP_1)
	v_lshlrev_b64 v[21:22], 3, v[35:36]
	v_add_co_u32 v19, vcc_lo, v2, v21
	s_delay_alu instid0(VALU_DEP_2)
	v_add_co_ci_u32_e32 v20, vcc_lo, v20, v22, vcc_lo
	v_or_b32_e32 v2, s49, v26
                                        ; implicit-def: $vgpr21_vgpr22
	global_load_b64 v[19:20], v[19:20], off
	v_cmpx_ne_u64_e32 0, v[1:2]
	s_xor_b32 s70, exec_lo, s0
	s_cbranch_execz .LBB19_26
; %bb.25:                               ;   in Loop: Header=BB19_4 Depth=1
	s_ashr_i32 s94, s49, 31
	s_delay_alu instid0(SALU_CYCLE_1) | instskip(SKIP_2) | instid1(SALU_CYCLE_1)
	s_add_u32 s0, s48, s94
	s_mov_b32 s95, s94
	s_addc_u32 s1, s49, s94
	s_xor_b64 s[2:3], s[0:1], s[94:95]
	s_delay_alu instid0(SALU_CYCLE_1) | instskip(SKIP_3) | instid1(VALU_DEP_1)
	v_cvt_f32_u32_e32 v2, s2
	v_cvt_f32_u32_e32 v21, s3
	s_sub_u32 s0, 0, s2
	s_subb_u32 s1, 0, s3
	v_fmac_f32_e32 v2, 0x4f800000, v21
	s_delay_alu instid0(VALU_DEP_1) | instskip(SKIP_2) | instid1(VALU_DEP_1)
	v_rcp_f32_e32 v2, v2
	s_waitcnt_depctr 0xfff
	v_mul_f32_e32 v2, 0x5f7ffffc, v2
	v_mul_f32_e32 v21, 0x2f800000, v2
	s_delay_alu instid0(VALU_DEP_1) | instskip(NEXT) | instid1(VALU_DEP_1)
	v_trunc_f32_e32 v21, v21
	v_fmac_f32_e32 v2, 0xcf800000, v21
	v_cvt_u32_f32_e32 v21, v21
	s_delay_alu instid0(VALU_DEP_2) | instskip(NEXT) | instid1(VALU_DEP_2)
	v_cvt_u32_f32_e32 v2, v2
	v_mul_lo_u32 v22, s0, v21
	s_delay_alu instid0(VALU_DEP_2) | instskip(SKIP_1) | instid1(VALU_DEP_2)
	v_mul_hi_u32 v35, s0, v2
	v_mul_lo_u32 v36, s1, v2
	v_add_nc_u32_e32 v22, v35, v22
	v_mul_lo_u32 v35, s0, v2
	s_delay_alu instid0(VALU_DEP_2) | instskip(NEXT) | instid1(VALU_DEP_2)
	v_add_nc_u32_e32 v22, v22, v36
	v_mul_hi_u32 v36, v2, v35
	s_delay_alu instid0(VALU_DEP_2)
	v_mul_lo_u32 v37, v2, v22
	v_mul_hi_u32 v38, v2, v22
	v_mul_hi_u32 v39, v21, v35
	v_mul_lo_u32 v35, v21, v35
	v_mul_hi_u32 v40, v21, v22
	v_mul_lo_u32 v22, v21, v22
	v_add_co_u32 v36, vcc_lo, v36, v37
	v_add_co_ci_u32_e32 v37, vcc_lo, 0, v38, vcc_lo
	s_delay_alu instid0(VALU_DEP_2) | instskip(NEXT) | instid1(VALU_DEP_2)
	v_add_co_u32 v35, vcc_lo, v36, v35
	v_add_co_ci_u32_e32 v35, vcc_lo, v37, v39, vcc_lo
	v_add_co_ci_u32_e32 v36, vcc_lo, 0, v40, vcc_lo
	s_delay_alu instid0(VALU_DEP_2) | instskip(NEXT) | instid1(VALU_DEP_2)
	v_add_co_u32 v22, vcc_lo, v35, v22
	v_add_co_ci_u32_e32 v35, vcc_lo, 0, v36, vcc_lo
	s_delay_alu instid0(VALU_DEP_2) | instskip(NEXT) | instid1(VALU_DEP_2)
	v_add_co_u32 v2, vcc_lo, v2, v22
	v_add_co_ci_u32_e32 v21, vcc_lo, v21, v35, vcc_lo
	s_delay_alu instid0(VALU_DEP_2) | instskip(SKIP_1) | instid1(VALU_DEP_3)
	v_mul_hi_u32 v22, s0, v2
	v_mul_lo_u32 v36, s1, v2
	v_mul_lo_u32 v35, s0, v21
	s_delay_alu instid0(VALU_DEP_1) | instskip(SKIP_2) | instid1(VALU_DEP_3)
	v_add_nc_u32_e32 v22, v22, v35
	v_mul_lo_u32 v35, s0, v2
	v_add_co_u32 v24, s0, v24, v23
	v_add_nc_u32_e32 v22, v22, v36
	s_delay_alu instid0(VALU_DEP_2) | instskip(NEXT) | instid1(VALU_DEP_4)
	v_xor_b32_e32 v24, v24, v23
	v_mul_hi_u32 v36, v2, v35
	s_delay_alu instid0(VALU_DEP_3)
	v_mul_lo_u32 v37, v2, v22
	v_mul_hi_u32 v38, v2, v22
	v_mul_hi_u32 v39, v21, v35
	v_mul_lo_u32 v35, v21, v35
	v_mul_hi_u32 v40, v21, v22
	v_mul_lo_u32 v22, v21, v22
	v_add_co_u32 v36, vcc_lo, v36, v37
	v_add_co_ci_u32_e32 v37, vcc_lo, 0, v38, vcc_lo
	s_delay_alu instid0(VALU_DEP_2) | instskip(NEXT) | instid1(VALU_DEP_2)
	v_add_co_u32 v35, vcc_lo, v36, v35
	v_add_co_ci_u32_e32 v35, vcc_lo, v37, v39, vcc_lo
	v_add_co_ci_u32_e32 v36, vcc_lo, 0, v40, vcc_lo
	v_add_co_ci_u32_e64 v26, vcc_lo, v26, v23, s0
	s_delay_alu instid0(VALU_DEP_3) | instskip(NEXT) | instid1(VALU_DEP_3)
	v_add_co_u32 v22, vcc_lo, v35, v22
	v_add_co_ci_u32_e32 v35, vcc_lo, 0, v36, vcc_lo
	s_delay_alu instid0(VALU_DEP_3) | instskip(NEXT) | instid1(VALU_DEP_3)
	v_xor_b32_e32 v26, v26, v23
	v_add_co_u32 v2, vcc_lo, v2, v22
	s_delay_alu instid0(VALU_DEP_3) | instskip(NEXT) | instid1(VALU_DEP_2)
	v_add_co_ci_u32_e32 v39, vcc_lo, v21, v35, vcc_lo
	v_mul_hi_u32 v40, v24, v2
	s_delay_alu instid0(VALU_DEP_4) | instskip(NEXT) | instid1(VALU_DEP_3)
	v_mad_u64_u32 v[35:36], null, v26, v2, 0
	v_mad_u64_u32 v[21:22], null, v24, v39, 0
	;; [unrolled: 1-line block ×3, first 2 shown]
	s_delay_alu instid0(VALU_DEP_2) | instskip(NEXT) | instid1(VALU_DEP_3)
	v_add_co_u32 v2, vcc_lo, v40, v21
	v_add_co_ci_u32_e32 v21, vcc_lo, 0, v22, vcc_lo
	s_delay_alu instid0(VALU_DEP_2) | instskip(NEXT) | instid1(VALU_DEP_2)
	v_add_co_u32 v2, vcc_lo, v2, v35
	v_add_co_ci_u32_e32 v2, vcc_lo, v21, v36, vcc_lo
	v_add_co_ci_u32_e32 v21, vcc_lo, 0, v38, vcc_lo
	s_delay_alu instid0(VALU_DEP_2) | instskip(NEXT) | instid1(VALU_DEP_2)
	v_add_co_u32 v2, vcc_lo, v2, v37
	v_add_co_ci_u32_e32 v35, vcc_lo, 0, v21, vcc_lo
	s_delay_alu instid0(VALU_DEP_2) | instskip(SKIP_1) | instid1(VALU_DEP_3)
	v_mul_lo_u32 v36, s3, v2
	v_mad_u64_u32 v[21:22], null, s2, v2, 0
	v_mul_lo_u32 v37, s2, v35
	s_delay_alu instid0(VALU_DEP_2) | instskip(NEXT) | instid1(VALU_DEP_2)
	v_sub_co_u32 v21, vcc_lo, v24, v21
	v_add3_u32 v22, v22, v37, v36
	s_delay_alu instid0(VALU_DEP_2) | instskip(NEXT) | instid1(VALU_DEP_2)
	v_cmp_le_u32_e64 s1, s2, v21
	v_sub_nc_u32_e32 v36, v26, v22
	s_delay_alu instid0(VALU_DEP_1) | instskip(SKIP_2) | instid1(VALU_DEP_3)
	v_subrev_co_ci_u32_e64 v24, s0, s3, v36, vcc_lo
	v_sub_co_u32 v36, s0, v21, s2
	v_sub_co_ci_u32_e32 v22, vcc_lo, v26, v22, vcc_lo
	v_subrev_co_ci_u32_e64 v24, s0, 0, v24, s0
	s_delay_alu instid0(VALU_DEP_3) | instskip(NEXT) | instid1(VALU_DEP_3)
	v_cmp_le_u32_e32 vcc_lo, s2, v36
	v_cmp_le_u32_e64 s2, s3, v22
	v_cndmask_b32_e64 v36, 0, -1, s1
	s_delay_alu instid0(VALU_DEP_4)
	v_cmp_le_u32_e64 s0, s3, v24
	v_cmp_eq_u32_e64 s1, s3, v22
	v_cndmask_b32_e64 v21, 0, -1, vcc_lo
	v_cmp_eq_u32_e32 vcc_lo, s3, v24
	v_cndmask_b32_e64 v22, 0, -1, s2
	v_cndmask_b32_e64 v24, 0, -1, s0
	v_add_co_u32 v26, s0, v2, 2
	s_delay_alu instid0(VALU_DEP_1) | instskip(NEXT) | instid1(VALU_DEP_3)
	v_add_co_ci_u32_e64 v37, s0, 0, v35, s0
	v_cndmask_b32_e32 v21, v24, v21, vcc_lo
	v_add_co_u32 v24, vcc_lo, v2, 1
	s_delay_alu instid0(VALU_DEP_2) | instskip(SKIP_2) | instid1(VALU_DEP_3)
	v_cmp_ne_u32_e64 s0, 0, v21
	v_cndmask_b32_e64 v21, v22, v36, s1
	v_add_co_ci_u32_e32 v22, vcc_lo, 0, v35, vcc_lo
	v_cndmask_b32_e64 v24, v24, v26, s0
	s_delay_alu instid0(VALU_DEP_3) | instskip(NEXT) | instid1(VALU_DEP_3)
	v_cmp_ne_u32_e32 vcc_lo, 0, v21
	v_cndmask_b32_e64 v21, v22, v37, s0
	v_xor_b32_e32 v22, s94, v23
	s_delay_alu instid0(VALU_DEP_2) | instskip(NEXT) | instid1(VALU_DEP_1)
	v_dual_cndmask_b32 v2, v2, v24 :: v_dual_cndmask_b32 v21, v35, v21
                                        ; implicit-def: $vgpr24
	v_xor_b32_e32 v2, v2, v22
	s_delay_alu instid0(VALU_DEP_2) | instskip(NEXT) | instid1(VALU_DEP_2)
	v_xor_b32_e32 v23, v21, v22
	v_sub_co_u32 v21, vcc_lo, v2, v22
	s_delay_alu instid0(VALU_DEP_2)
	v_sub_co_ci_u32_e32 v22, vcc_lo, v23, v22, vcc_lo
.LBB19_26:                              ;   in Loop: Header=BB19_4 Depth=1
	s_or_saveexec_b32 s0, s70
	v_cvt_f32_u32_e32 v35, s48
	s_xor_b32 exec_lo, exec_lo, s0
	s_cbranch_execz .LBB19_28
; %bb.27:                               ;   in Loop: Header=BB19_4 Depth=1
	s_delay_alu instid0(VALU_DEP_1) | instskip(SKIP_3) | instid1(VALU_DEP_1)
	v_rcp_iflag_f32_e32 v2, v35
	s_sub_i32 s1, 0, s48
	s_waitcnt_depctr 0xfff
	v_mul_f32_e32 v2, 0x4f7ffffe, v2
	v_cvt_u32_f32_e32 v2, v2
	s_delay_alu instid0(VALU_DEP_1) | instskip(NEXT) | instid1(VALU_DEP_1)
	v_mul_lo_u32 v21, s1, v2
	v_mul_hi_u32 v21, v2, v21
	s_delay_alu instid0(VALU_DEP_1) | instskip(NEXT) | instid1(VALU_DEP_1)
	v_add_nc_u32_e32 v2, v2, v21
	v_mul_hi_u32 v2, v24, v2
	s_delay_alu instid0(VALU_DEP_1) | instskip(SKIP_1) | instid1(VALU_DEP_2)
	v_mul_lo_u32 v21, v2, s48
	v_add_nc_u32_e32 v22, 1, v2
	v_sub_nc_u32_e32 v21, v24, v21
	s_delay_alu instid0(VALU_DEP_1) | instskip(SKIP_1) | instid1(VALU_DEP_1)
	v_cmp_le_u32_e32 vcc_lo, s48, v21
	v_subrev_nc_u32_e32 v23, s48, v21
	v_dual_cndmask_b32 v2, v2, v22 :: v_dual_cndmask_b32 v21, v21, v23
	s_delay_alu instid0(VALU_DEP_1) | instskip(NEXT) | instid1(VALU_DEP_2)
	v_add_nc_u32_e32 v22, 1, v2
	v_cmp_le_u32_e32 vcc_lo, s48, v21
	s_delay_alu instid0(VALU_DEP_2)
	v_dual_cndmask_b32 v21, v2, v22 :: v_dual_mov_b32 v22, v1
.LBB19_28:                              ;   in Loop: Header=BB19_4 Depth=1
	s_or_b32 exec_lo, exec_lo, s0
	v_or_b32_e32 v2, s49, v29
                                        ; implicit-def: $vgpr23_vgpr24
	s_mov_b32 s0, exec_lo
	s_delay_alu instid0(VALU_DEP_1)
	v_cmpx_ne_u64_e32 0, v[1:2]
	s_xor_b32 s70, exec_lo, s0
	s_cbranch_execz .LBB19_30
; %bb.29:                               ;   in Loop: Header=BB19_4 Depth=1
	s_ashr_i32 s94, s49, 31
	s_delay_alu instid0(SALU_CYCLE_1) | instskip(SKIP_2) | instid1(SALU_CYCLE_1)
	s_add_u32 s0, s48, s94
	s_mov_b32 s95, s94
	s_addc_u32 s1, s49, s94
	s_xor_b64 s[2:3], s[0:1], s[94:95]
	s_delay_alu instid0(SALU_CYCLE_1) | instskip(SKIP_3) | instid1(VALU_DEP_1)
	v_cvt_f32_u32_e32 v2, s2
	v_cvt_f32_u32_e32 v23, s3
	s_sub_u32 s0, 0, s2
	s_subb_u32 s1, 0, s3
	v_fmac_f32_e32 v2, 0x4f800000, v23
	s_delay_alu instid0(VALU_DEP_1) | instskip(SKIP_2) | instid1(VALU_DEP_1)
	v_rcp_f32_e32 v2, v2
	s_waitcnt_depctr 0xfff
	v_mul_f32_e32 v2, 0x5f7ffffc, v2
	v_mul_f32_e32 v23, 0x2f800000, v2
	s_delay_alu instid0(VALU_DEP_1) | instskip(NEXT) | instid1(VALU_DEP_1)
	v_trunc_f32_e32 v23, v23
	v_fmac_f32_e32 v2, 0xcf800000, v23
	v_cvt_u32_f32_e32 v23, v23
	s_delay_alu instid0(VALU_DEP_2) | instskip(NEXT) | instid1(VALU_DEP_2)
	v_cvt_u32_f32_e32 v2, v2
	v_mul_lo_u32 v24, s0, v23
	s_delay_alu instid0(VALU_DEP_2) | instskip(SKIP_1) | instid1(VALU_DEP_2)
	v_mul_hi_u32 v26, s0, v2
	v_mul_lo_u32 v36, s1, v2
	v_add_nc_u32_e32 v24, v26, v24
	v_mul_lo_u32 v26, s0, v2
	s_delay_alu instid0(VALU_DEP_2) | instskip(NEXT) | instid1(VALU_DEP_2)
	v_add_nc_u32_e32 v24, v24, v36
	v_mul_hi_u32 v36, v2, v26
	s_delay_alu instid0(VALU_DEP_2)
	v_mul_lo_u32 v37, v2, v24
	v_mul_hi_u32 v38, v2, v24
	v_mul_hi_u32 v39, v23, v26
	v_mul_lo_u32 v26, v23, v26
	v_mul_hi_u32 v40, v23, v24
	v_mul_lo_u32 v24, v23, v24
	v_add_co_u32 v36, vcc_lo, v36, v37
	v_add_co_ci_u32_e32 v37, vcc_lo, 0, v38, vcc_lo
	s_delay_alu instid0(VALU_DEP_2) | instskip(NEXT) | instid1(VALU_DEP_2)
	v_add_co_u32 v26, vcc_lo, v36, v26
	v_add_co_ci_u32_e32 v26, vcc_lo, v37, v39, vcc_lo
	v_add_co_ci_u32_e32 v36, vcc_lo, 0, v40, vcc_lo
	s_delay_alu instid0(VALU_DEP_2) | instskip(NEXT) | instid1(VALU_DEP_2)
	v_add_co_u32 v24, vcc_lo, v26, v24
	v_add_co_ci_u32_e32 v26, vcc_lo, 0, v36, vcc_lo
	s_delay_alu instid0(VALU_DEP_2) | instskip(NEXT) | instid1(VALU_DEP_2)
	v_add_co_u32 v2, vcc_lo, v2, v24
	v_add_co_ci_u32_e32 v23, vcc_lo, v23, v26, vcc_lo
	s_delay_alu instid0(VALU_DEP_2) | instskip(SKIP_1) | instid1(VALU_DEP_3)
	v_mul_hi_u32 v24, s0, v2
	v_mul_lo_u32 v36, s1, v2
	v_mul_lo_u32 v26, s0, v23
	s_delay_alu instid0(VALU_DEP_1) | instskip(SKIP_2) | instid1(VALU_DEP_3)
	v_add_nc_u32_e32 v24, v24, v26
	v_mul_lo_u32 v26, s0, v2
	v_add_co_u32 v28, s0, v28, v25
	v_add_nc_u32_e32 v24, v24, v36
	s_delay_alu instid0(VALU_DEP_3) | instskip(NEXT) | instid1(VALU_DEP_2)
	v_mul_hi_u32 v36, v2, v26
	v_mul_lo_u32 v37, v2, v24
	v_mul_hi_u32 v38, v2, v24
	v_mul_hi_u32 v39, v23, v26
	v_mul_lo_u32 v26, v23, v26
	v_mul_hi_u32 v40, v23, v24
	v_mul_lo_u32 v24, v23, v24
	v_add_co_u32 v36, vcc_lo, v36, v37
	v_add_co_ci_u32_e32 v37, vcc_lo, 0, v38, vcc_lo
	v_xor_b32_e32 v38, v28, v25
	s_delay_alu instid0(VALU_DEP_3) | instskip(NEXT) | instid1(VALU_DEP_3)
	v_add_co_u32 v26, vcc_lo, v36, v26
	v_add_co_ci_u32_e32 v26, vcc_lo, v37, v39, vcc_lo
	v_add_co_ci_u32_e32 v36, vcc_lo, 0, v40, vcc_lo
	v_add_co_ci_u32_e64 v29, vcc_lo, v29, v25, s0
	s_delay_alu instid0(VALU_DEP_3) | instskip(NEXT) | instid1(VALU_DEP_3)
	v_add_co_u32 v24, vcc_lo, v26, v24
	v_add_co_ci_u32_e32 v26, vcc_lo, 0, v36, vcc_lo
	s_delay_alu instid0(VALU_DEP_3) | instskip(NEXT) | instid1(VALU_DEP_3)
	v_xor_b32_e32 v39, v29, v25
	v_add_co_u32 v2, vcc_lo, v2, v24
	s_delay_alu instid0(VALU_DEP_3) | instskip(NEXT) | instid1(VALU_DEP_2)
	v_add_co_ci_u32_e32 v26, vcc_lo, v23, v26, vcc_lo
	v_mul_hi_u32 v40, v38, v2
	s_delay_alu instid0(VALU_DEP_4) | instskip(NEXT) | instid1(VALU_DEP_3)
	v_mad_u64_u32 v[28:29], null, v39, v2, 0
	v_mad_u64_u32 v[23:24], null, v38, v26, 0
	;; [unrolled: 1-line block ×3, first 2 shown]
	s_delay_alu instid0(VALU_DEP_2) | instskip(NEXT) | instid1(VALU_DEP_3)
	v_add_co_u32 v2, vcc_lo, v40, v23
	v_add_co_ci_u32_e32 v23, vcc_lo, 0, v24, vcc_lo
	s_delay_alu instid0(VALU_DEP_2) | instskip(NEXT) | instid1(VALU_DEP_2)
	v_add_co_u32 v2, vcc_lo, v2, v28
	v_add_co_ci_u32_e32 v2, vcc_lo, v23, v29, vcc_lo
	v_add_co_ci_u32_e32 v23, vcc_lo, 0, v37, vcc_lo
	s_delay_alu instid0(VALU_DEP_2) | instskip(NEXT) | instid1(VALU_DEP_2)
	v_add_co_u32 v2, vcc_lo, v2, v36
	v_add_co_ci_u32_e32 v26, vcc_lo, 0, v23, vcc_lo
	s_delay_alu instid0(VALU_DEP_2) | instskip(SKIP_1) | instid1(VALU_DEP_3)
	v_mul_lo_u32 v28, s3, v2
	v_mad_u64_u32 v[23:24], null, s2, v2, 0
	v_mul_lo_u32 v29, s2, v26
	s_delay_alu instid0(VALU_DEP_2) | instskip(NEXT) | instid1(VALU_DEP_2)
	v_sub_co_u32 v23, vcc_lo, v38, v23
	v_add3_u32 v24, v24, v29, v28
	s_delay_alu instid0(VALU_DEP_2) | instskip(NEXT) | instid1(VALU_DEP_2)
	v_cmp_le_u32_e64 s1, s2, v23
	v_sub_nc_u32_e32 v28, v39, v24
	s_delay_alu instid0(VALU_DEP_2) | instskip(NEXT) | instid1(VALU_DEP_2)
	v_cndmask_b32_e64 v36, 0, -1, s1
	v_subrev_co_ci_u32_e64 v28, s0, s3, v28, vcc_lo
	v_sub_co_u32 v29, s0, v23, s2
	v_sub_co_ci_u32_e32 v24, vcc_lo, v39, v24, vcc_lo
	s_delay_alu instid0(VALU_DEP_3) | instskip(NEXT) | instid1(VALU_DEP_3)
	v_subrev_co_ci_u32_e64 v28, s0, 0, v28, s0
	v_cmp_le_u32_e32 vcc_lo, s2, v29
	s_delay_alu instid0(VALU_DEP_3) | instskip(SKIP_1) | instid1(VALU_DEP_4)
	v_cmp_le_u32_e64 s2, s3, v24
	v_cmp_eq_u32_e64 s1, s3, v24
	v_cmp_le_u32_e64 s0, s3, v28
	v_cndmask_b32_e64 v23, 0, -1, vcc_lo
	v_cmp_eq_u32_e32 vcc_lo, s3, v28
	v_cndmask_b32_e64 v24, 0, -1, s2
	s_delay_alu instid0(VALU_DEP_4) | instskip(SKIP_1) | instid1(VALU_DEP_1)
	v_cndmask_b32_e64 v28, 0, -1, s0
	v_add_co_u32 v29, s0, v2, 2
	v_add_co_ci_u32_e64 v37, s0, 0, v26, s0
	s_delay_alu instid0(VALU_DEP_3) | instskip(SKIP_1) | instid1(VALU_DEP_2)
	v_cndmask_b32_e32 v23, v28, v23, vcc_lo
	v_add_co_u32 v28, vcc_lo, v2, 1
	v_cmp_ne_u32_e64 s0, 0, v23
	v_cndmask_b32_e64 v23, v24, v36, s1
	v_add_co_ci_u32_e32 v24, vcc_lo, 0, v26, vcc_lo
	s_delay_alu instid0(VALU_DEP_3) | instskip(NEXT) | instid1(VALU_DEP_3)
	v_cndmask_b32_e64 v28, v28, v29, s0
	v_cmp_ne_u32_e32 vcc_lo, 0, v23
	s_delay_alu instid0(VALU_DEP_3) | instskip(SKIP_1) | instid1(VALU_DEP_4)
	v_cndmask_b32_e64 v23, v24, v37, s0
	v_xor_b32_e32 v24, s94, v25
	v_cndmask_b32_e32 v2, v2, v28, vcc_lo
	s_delay_alu instid0(VALU_DEP_3) | instskip(NEXT) | instid1(VALU_DEP_2)
	v_cndmask_b32_e32 v23, v26, v23, vcc_lo
                                        ; implicit-def: $vgpr28
	v_xor_b32_e32 v2, v2, v24
	s_delay_alu instid0(VALU_DEP_2) | instskip(NEXT) | instid1(VALU_DEP_2)
	v_xor_b32_e32 v25, v23, v24
	v_sub_co_u32 v23, vcc_lo, v2, v24
	s_delay_alu instid0(VALU_DEP_2)
	v_sub_co_ci_u32_e32 v24, vcc_lo, v25, v24, vcc_lo
.LBB19_30:                              ;   in Loop: Header=BB19_4 Depth=1
	s_and_not1_saveexec_b32 s0, s70
	s_cbranch_execz .LBB19_32
; %bb.31:                               ;   in Loop: Header=BB19_4 Depth=1
	v_rcp_iflag_f32_e32 v2, v35
	s_sub_i32 s1, 0, s48
	s_waitcnt_depctr 0xfff
	v_mul_f32_e32 v2, 0x4f7ffffe, v2
	s_delay_alu instid0(VALU_DEP_1) | instskip(NEXT) | instid1(VALU_DEP_1)
	v_cvt_u32_f32_e32 v2, v2
	v_mul_lo_u32 v23, s1, v2
	s_delay_alu instid0(VALU_DEP_1) | instskip(NEXT) | instid1(VALU_DEP_1)
	v_mul_hi_u32 v23, v2, v23
	v_add_nc_u32_e32 v2, v2, v23
	s_delay_alu instid0(VALU_DEP_1) | instskip(NEXT) | instid1(VALU_DEP_1)
	v_mul_hi_u32 v2, v28, v2
	v_mul_lo_u32 v23, v2, s48
	v_add_nc_u32_e32 v24, 1, v2
	s_delay_alu instid0(VALU_DEP_2) | instskip(NEXT) | instid1(VALU_DEP_1)
	v_sub_nc_u32_e32 v23, v28, v23
	v_cmp_le_u32_e32 vcc_lo, s48, v23
	v_subrev_nc_u32_e32 v25, s48, v23
	s_delay_alu instid0(VALU_DEP_1) | instskip(NEXT) | instid1(VALU_DEP_1)
	v_dual_cndmask_b32 v2, v2, v24 :: v_dual_cndmask_b32 v23, v23, v25
	v_add_nc_u32_e32 v24, 1, v2
	s_delay_alu instid0(VALU_DEP_2) | instskip(NEXT) | instid1(VALU_DEP_2)
	v_cmp_le_u32_e32 vcc_lo, s48, v23
	v_dual_cndmask_b32 v23, v2, v24 :: v_dual_mov_b32 v24, v1
.LBB19_32:                              ;   in Loop: Header=BB19_4 Depth=1
	s_or_b32 exec_lo, exec_lo, s0
	v_or_b32_e32 v2, s49, v32
                                        ; implicit-def: $vgpr25_vgpr26
	s_mov_b32 s0, exec_lo
	s_delay_alu instid0(VALU_DEP_1)
	v_cmpx_ne_u64_e32 0, v[1:2]
	s_xor_b32 s70, exec_lo, s0
	s_cbranch_execz .LBB19_34
; %bb.33:                               ;   in Loop: Header=BB19_4 Depth=1
	s_ashr_i32 s94, s49, 31
	s_delay_alu instid0(SALU_CYCLE_1) | instskip(SKIP_2) | instid1(SALU_CYCLE_1)
	s_add_u32 s0, s48, s94
	s_mov_b32 s95, s94
	s_addc_u32 s1, s49, s94
	s_xor_b64 s[2:3], s[0:1], s[94:95]
	s_delay_alu instid0(SALU_CYCLE_1) | instskip(SKIP_3) | instid1(VALU_DEP_1)
	v_cvt_f32_u32_e32 v2, s2
	v_cvt_f32_u32_e32 v25, s3
	s_sub_u32 s0, 0, s2
	s_subb_u32 s1, 0, s3
	v_fmac_f32_e32 v2, 0x4f800000, v25
	s_delay_alu instid0(VALU_DEP_1) | instskip(SKIP_2) | instid1(VALU_DEP_1)
	v_rcp_f32_e32 v2, v2
	s_waitcnt_depctr 0xfff
	v_mul_f32_e32 v2, 0x5f7ffffc, v2
	v_mul_f32_e32 v25, 0x2f800000, v2
	s_delay_alu instid0(VALU_DEP_1) | instskip(NEXT) | instid1(VALU_DEP_1)
	v_trunc_f32_e32 v25, v25
	v_fmac_f32_e32 v2, 0xcf800000, v25
	v_cvt_u32_f32_e32 v25, v25
	s_delay_alu instid0(VALU_DEP_2) | instskip(NEXT) | instid1(VALU_DEP_2)
	v_cvt_u32_f32_e32 v2, v2
	v_mul_lo_u32 v26, s0, v25
	s_delay_alu instid0(VALU_DEP_2) | instskip(SKIP_1) | instid1(VALU_DEP_2)
	v_mul_hi_u32 v28, s0, v2
	v_mul_lo_u32 v29, s1, v2
	v_add_nc_u32_e32 v26, v28, v26
	v_mul_lo_u32 v28, s0, v2
	s_delay_alu instid0(VALU_DEP_2) | instskip(NEXT) | instid1(VALU_DEP_2)
	v_add_nc_u32_e32 v26, v26, v29
	v_mul_hi_u32 v29, v2, v28
	s_delay_alu instid0(VALU_DEP_2)
	v_mul_lo_u32 v36, v2, v26
	v_mul_hi_u32 v37, v2, v26
	v_mul_hi_u32 v38, v25, v28
	v_mul_lo_u32 v28, v25, v28
	v_mul_hi_u32 v39, v25, v26
	v_mul_lo_u32 v26, v25, v26
	v_add_co_u32 v29, vcc_lo, v29, v36
	v_add_co_ci_u32_e32 v36, vcc_lo, 0, v37, vcc_lo
	s_delay_alu instid0(VALU_DEP_2) | instskip(NEXT) | instid1(VALU_DEP_2)
	v_add_co_u32 v28, vcc_lo, v29, v28
	v_add_co_ci_u32_e32 v28, vcc_lo, v36, v38, vcc_lo
	v_add_co_ci_u32_e32 v29, vcc_lo, 0, v39, vcc_lo
	s_delay_alu instid0(VALU_DEP_2) | instskip(NEXT) | instid1(VALU_DEP_2)
	v_add_co_u32 v26, vcc_lo, v28, v26
	v_add_co_ci_u32_e32 v28, vcc_lo, 0, v29, vcc_lo
	s_delay_alu instid0(VALU_DEP_2) | instskip(NEXT) | instid1(VALU_DEP_2)
	v_add_co_u32 v2, vcc_lo, v2, v26
	v_add_co_ci_u32_e32 v25, vcc_lo, v25, v28, vcc_lo
	s_delay_alu instid0(VALU_DEP_2) | instskip(SKIP_1) | instid1(VALU_DEP_3)
	v_mul_hi_u32 v26, s0, v2
	v_mul_lo_u32 v29, s1, v2
	v_mul_lo_u32 v28, s0, v25
	s_delay_alu instid0(VALU_DEP_1) | instskip(SKIP_2) | instid1(VALU_DEP_3)
	v_add_nc_u32_e32 v26, v26, v28
	v_mul_lo_u32 v28, s0, v2
	v_add_co_u32 v31, s0, v31, v27
	v_add_nc_u32_e32 v26, v26, v29
	s_delay_alu instid0(VALU_DEP_3) | instskip(NEXT) | instid1(VALU_DEP_2)
	v_mul_hi_u32 v29, v2, v28
	v_mul_lo_u32 v36, v2, v26
	v_mul_hi_u32 v37, v2, v26
	v_mul_hi_u32 v38, v25, v28
	v_mul_lo_u32 v28, v25, v28
	v_mul_hi_u32 v39, v25, v26
	v_mul_lo_u32 v26, v25, v26
	v_add_co_u32 v29, vcc_lo, v29, v36
	v_add_co_ci_u32_e32 v36, vcc_lo, 0, v37, vcc_lo
	s_delay_alu instid0(VALU_DEP_2) | instskip(NEXT) | instid1(VALU_DEP_2)
	v_add_co_u32 v28, vcc_lo, v29, v28
	v_add_co_ci_u32_e32 v28, vcc_lo, v36, v38, vcc_lo
	v_add_co_ci_u32_e32 v29, vcc_lo, 0, v39, vcc_lo
	v_add_co_ci_u32_e64 v32, vcc_lo, v32, v27, s0
	s_delay_alu instid0(VALU_DEP_3) | instskip(NEXT) | instid1(VALU_DEP_3)
	v_add_co_u32 v26, vcc_lo, v28, v26
	v_add_co_ci_u32_e32 v28, vcc_lo, 0, v29, vcc_lo
	v_xor_b32_e32 v36, v31, v27
	s_delay_alu instid0(VALU_DEP_3) | instskip(NEXT) | instid1(VALU_DEP_3)
	v_add_co_u32 v2, vcc_lo, v2, v26
	v_add_co_ci_u32_e32 v37, vcc_lo, v25, v28, vcc_lo
	v_xor_b32_e32 v38, v32, v27
	s_delay_alu instid0(VALU_DEP_3) | instskip(NEXT) | instid1(VALU_DEP_3)
	v_mul_hi_u32 v39, v36, v2
	v_mad_u64_u32 v[25:26], null, v36, v37, 0
	s_delay_alu instid0(VALU_DEP_3) | instskip(SKIP_1) | instid1(VALU_DEP_3)
	v_mad_u64_u32 v[28:29], null, v38, v2, 0
	v_mad_u64_u32 v[31:32], null, v38, v37, 0
	v_add_co_u32 v2, vcc_lo, v39, v25
	s_delay_alu instid0(VALU_DEP_4) | instskip(NEXT) | instid1(VALU_DEP_2)
	v_add_co_ci_u32_e32 v25, vcc_lo, 0, v26, vcc_lo
	v_add_co_u32 v2, vcc_lo, v2, v28
	s_delay_alu instid0(VALU_DEP_2) | instskip(SKIP_1) | instid1(VALU_DEP_2)
	v_add_co_ci_u32_e32 v2, vcc_lo, v25, v29, vcc_lo
	v_add_co_ci_u32_e32 v25, vcc_lo, 0, v32, vcc_lo
	v_add_co_u32 v2, vcc_lo, v2, v31
	s_delay_alu instid0(VALU_DEP_2) | instskip(NEXT) | instid1(VALU_DEP_2)
	v_add_co_ci_u32_e32 v28, vcc_lo, 0, v25, vcc_lo
	v_mul_lo_u32 v29, s3, v2
	v_mad_u64_u32 v[25:26], null, s2, v2, 0
	s_delay_alu instid0(VALU_DEP_3) | instskip(NEXT) | instid1(VALU_DEP_2)
	v_mul_lo_u32 v31, s2, v28
	v_sub_co_u32 v25, vcc_lo, v36, v25
	s_delay_alu instid0(VALU_DEP_2) | instskip(NEXT) | instid1(VALU_DEP_2)
	v_add3_u32 v26, v26, v31, v29
	v_cmp_le_u32_e64 s1, s2, v25
	s_delay_alu instid0(VALU_DEP_2) | instskip(NEXT) | instid1(VALU_DEP_2)
	v_sub_nc_u32_e32 v29, v38, v26
	v_cndmask_b32_e64 v32, 0, -1, s1
	s_delay_alu instid0(VALU_DEP_2) | instskip(SKIP_2) | instid1(VALU_DEP_3)
	v_subrev_co_ci_u32_e64 v29, s0, s3, v29, vcc_lo
	v_sub_co_u32 v31, s0, v25, s2
	v_sub_co_ci_u32_e32 v26, vcc_lo, v38, v26, vcc_lo
	v_subrev_co_ci_u32_e64 v29, s0, 0, v29, s0
	s_delay_alu instid0(VALU_DEP_3) | instskip(NEXT) | instid1(VALU_DEP_3)
	v_cmp_le_u32_e32 vcc_lo, s2, v31
	v_cmp_le_u32_e64 s2, s3, v26
	v_cmp_eq_u32_e64 s1, s3, v26
	s_delay_alu instid0(VALU_DEP_4) | instskip(SKIP_3) | instid1(VALU_DEP_4)
	v_cmp_le_u32_e64 s0, s3, v29
	v_cndmask_b32_e64 v25, 0, -1, vcc_lo
	v_cmp_eq_u32_e32 vcc_lo, s3, v29
	v_cndmask_b32_e64 v26, 0, -1, s2
	v_cndmask_b32_e64 v29, 0, -1, s0
	v_add_co_u32 v31, s0, v2, 2
	s_delay_alu instid0(VALU_DEP_1) | instskip(NEXT) | instid1(VALU_DEP_3)
	v_add_co_ci_u32_e64 v36, s0, 0, v28, s0
	v_cndmask_b32_e32 v25, v29, v25, vcc_lo
	v_add_co_u32 v29, vcc_lo, v2, 1
	s_delay_alu instid0(VALU_DEP_2) | instskip(SKIP_2) | instid1(VALU_DEP_3)
	v_cmp_ne_u32_e64 s0, 0, v25
	v_cndmask_b32_e64 v25, v26, v32, s1
	v_add_co_ci_u32_e32 v26, vcc_lo, 0, v28, vcc_lo
	v_cndmask_b32_e64 v29, v29, v31, s0
	s_delay_alu instid0(VALU_DEP_3) | instskip(NEXT) | instid1(VALU_DEP_3)
	v_cmp_ne_u32_e32 vcc_lo, 0, v25
	v_cndmask_b32_e64 v25, v26, v36, s0
	v_xor_b32_e32 v26, s94, v27
                                        ; implicit-def: $vgpr31
	s_delay_alu instid0(VALU_DEP_4) | instskip(NEXT) | instid1(VALU_DEP_3)
	v_cndmask_b32_e32 v2, v2, v29, vcc_lo
	v_cndmask_b32_e32 v25, v28, v25, vcc_lo
	s_delay_alu instid0(VALU_DEP_2) | instskip(NEXT) | instid1(VALU_DEP_2)
	v_xor_b32_e32 v2, v2, v26
	v_xor_b32_e32 v27, v25, v26
	s_delay_alu instid0(VALU_DEP_2) | instskip(NEXT) | instid1(VALU_DEP_2)
	v_sub_co_u32 v25, vcc_lo, v2, v26
	v_sub_co_ci_u32_e32 v26, vcc_lo, v27, v26, vcc_lo
.LBB19_34:                              ;   in Loop: Header=BB19_4 Depth=1
	s_and_not1_saveexec_b32 s0, s70
	s_cbranch_execz .LBB19_36
; %bb.35:                               ;   in Loop: Header=BB19_4 Depth=1
	v_rcp_iflag_f32_e32 v2, v35
	s_sub_i32 s1, 0, s48
	s_waitcnt_depctr 0xfff
	v_mul_f32_e32 v2, 0x4f7ffffe, v2
	s_delay_alu instid0(VALU_DEP_1) | instskip(NEXT) | instid1(VALU_DEP_1)
	v_cvt_u32_f32_e32 v2, v2
	v_mul_lo_u32 v25, s1, v2
	s_delay_alu instid0(VALU_DEP_1) | instskip(NEXT) | instid1(VALU_DEP_1)
	v_mul_hi_u32 v25, v2, v25
	v_add_nc_u32_e32 v2, v2, v25
	s_delay_alu instid0(VALU_DEP_1) | instskip(NEXT) | instid1(VALU_DEP_1)
	v_mul_hi_u32 v2, v31, v2
	v_mul_lo_u32 v25, v2, s48
	v_add_nc_u32_e32 v26, 1, v2
	s_delay_alu instid0(VALU_DEP_2) | instskip(NEXT) | instid1(VALU_DEP_1)
	v_sub_nc_u32_e32 v25, v31, v25
	v_cmp_le_u32_e32 vcc_lo, s48, v25
	v_subrev_nc_u32_e32 v27, s48, v25
	s_delay_alu instid0(VALU_DEP_1) | instskip(NEXT) | instid1(VALU_DEP_1)
	v_dual_cndmask_b32 v2, v2, v26 :: v_dual_cndmask_b32 v25, v25, v27
	v_add_nc_u32_e32 v26, 1, v2
	s_delay_alu instid0(VALU_DEP_2) | instskip(NEXT) | instid1(VALU_DEP_2)
	v_cmp_le_u32_e32 vcc_lo, s48, v25
	v_dual_cndmask_b32 v25, v2, v26 :: v_dual_mov_b32 v26, v1
.LBB19_36:                              ;   in Loop: Header=BB19_4 Depth=1
	s_or_b32 exec_lo, exec_lo, s0
	v_or_b32_e32 v2, s49, v34
                                        ; implicit-def: $vgpr27_vgpr28
	s_mov_b32 s0, exec_lo
	s_delay_alu instid0(VALU_DEP_1)
	v_cmpx_ne_u64_e32 0, v[1:2]
	s_xor_b32 s70, exec_lo, s0
	s_cbranch_execz .LBB19_38
; %bb.37:                               ;   in Loop: Header=BB19_4 Depth=1
	s_ashr_i32 s94, s49, 31
	s_delay_alu instid0(SALU_CYCLE_1) | instskip(SKIP_2) | instid1(SALU_CYCLE_1)
	s_add_u32 s0, s48, s94
	s_mov_b32 s95, s94
	s_addc_u32 s1, s49, s94
	s_xor_b64 s[2:3], s[0:1], s[94:95]
	s_delay_alu instid0(SALU_CYCLE_1) | instskip(SKIP_3) | instid1(VALU_DEP_1)
	v_cvt_f32_u32_e32 v2, s2
	v_cvt_f32_u32_e32 v27, s3
	s_sub_u32 s0, 0, s2
	s_subb_u32 s1, 0, s3
	v_fmac_f32_e32 v2, 0x4f800000, v27
	s_delay_alu instid0(VALU_DEP_1) | instskip(SKIP_2) | instid1(VALU_DEP_1)
	v_rcp_f32_e32 v2, v2
	s_waitcnt_depctr 0xfff
	v_mul_f32_e32 v2, 0x5f7ffffc, v2
	v_mul_f32_e32 v27, 0x2f800000, v2
	s_delay_alu instid0(VALU_DEP_1) | instskip(NEXT) | instid1(VALU_DEP_1)
	v_trunc_f32_e32 v27, v27
	v_fmac_f32_e32 v2, 0xcf800000, v27
	v_cvt_u32_f32_e32 v27, v27
	s_delay_alu instid0(VALU_DEP_2) | instskip(NEXT) | instid1(VALU_DEP_2)
	v_cvt_u32_f32_e32 v2, v2
	v_mul_lo_u32 v28, s0, v27
	s_delay_alu instid0(VALU_DEP_2) | instskip(SKIP_1) | instid1(VALU_DEP_2)
	v_mul_hi_u32 v29, s0, v2
	v_mul_lo_u32 v31, s1, v2
	v_add_nc_u32_e32 v28, v29, v28
	v_mul_lo_u32 v29, s0, v2
	s_delay_alu instid0(VALU_DEP_2) | instskip(NEXT) | instid1(VALU_DEP_2)
	v_add_nc_u32_e32 v28, v28, v31
	v_mul_hi_u32 v31, v2, v29
	s_delay_alu instid0(VALU_DEP_2)
	v_mul_lo_u32 v32, v2, v28
	v_mul_hi_u32 v35, v2, v28
	v_mul_hi_u32 v36, v27, v29
	v_mul_lo_u32 v29, v27, v29
	v_mul_hi_u32 v37, v27, v28
	v_mul_lo_u32 v28, v27, v28
	v_add_co_u32 v31, vcc_lo, v31, v32
	v_add_co_ci_u32_e32 v32, vcc_lo, 0, v35, vcc_lo
	s_delay_alu instid0(VALU_DEP_2) | instskip(NEXT) | instid1(VALU_DEP_2)
	v_add_co_u32 v29, vcc_lo, v31, v29
	v_add_co_ci_u32_e32 v29, vcc_lo, v32, v36, vcc_lo
	v_add_co_ci_u32_e32 v31, vcc_lo, 0, v37, vcc_lo
	s_delay_alu instid0(VALU_DEP_2) | instskip(NEXT) | instid1(VALU_DEP_2)
	v_add_co_u32 v28, vcc_lo, v29, v28
	v_add_co_ci_u32_e32 v29, vcc_lo, 0, v31, vcc_lo
	s_delay_alu instid0(VALU_DEP_2) | instskip(NEXT) | instid1(VALU_DEP_2)
	v_add_co_u32 v2, vcc_lo, v2, v28
	v_add_co_ci_u32_e32 v27, vcc_lo, v27, v29, vcc_lo
	s_delay_alu instid0(VALU_DEP_2) | instskip(SKIP_1) | instid1(VALU_DEP_3)
	v_mul_hi_u32 v28, s0, v2
	v_mul_lo_u32 v31, s1, v2
	v_mul_lo_u32 v29, s0, v27
	s_delay_alu instid0(VALU_DEP_1) | instskip(SKIP_2) | instid1(VALU_DEP_3)
	v_add_nc_u32_e32 v28, v28, v29
	v_mul_lo_u32 v29, s0, v2
	v_add_co_u32 v33, s0, v33, v30
	v_add_nc_u32_e32 v28, v28, v31
	s_delay_alu instid0(VALU_DEP_3) | instskip(NEXT) | instid1(VALU_DEP_2)
	v_mul_hi_u32 v31, v2, v29
	v_mul_lo_u32 v32, v2, v28
	v_mul_hi_u32 v35, v2, v28
	v_mul_hi_u32 v36, v27, v29
	v_mul_lo_u32 v29, v27, v29
	v_mul_hi_u32 v37, v27, v28
	v_mul_lo_u32 v28, v27, v28
	v_add_co_u32 v31, vcc_lo, v31, v32
	v_add_co_ci_u32_e32 v32, vcc_lo, 0, v35, vcc_lo
	v_xor_b32_e32 v35, v33, v30
	s_delay_alu instid0(VALU_DEP_3) | instskip(NEXT) | instid1(VALU_DEP_3)
	v_add_co_u32 v29, vcc_lo, v31, v29
	v_add_co_ci_u32_e32 v29, vcc_lo, v32, v36, vcc_lo
	v_add_co_ci_u32_e32 v31, vcc_lo, 0, v37, vcc_lo
	v_add_co_ci_u32_e64 v32, vcc_lo, v34, v30, s0
	s_delay_alu instid0(VALU_DEP_3) | instskip(NEXT) | instid1(VALU_DEP_3)
	v_add_co_u32 v28, vcc_lo, v29, v28
	v_add_co_ci_u32_e32 v29, vcc_lo, 0, v31, vcc_lo
	s_delay_alu instid0(VALU_DEP_3) | instskip(NEXT) | instid1(VALU_DEP_3)
	v_xor_b32_e32 v36, v32, v30
	v_add_co_u32 v2, vcc_lo, v2, v28
	s_delay_alu instid0(VALU_DEP_3) | instskip(NEXT) | instid1(VALU_DEP_2)
	v_add_co_ci_u32_e32 v29, vcc_lo, v27, v29, vcc_lo
	v_mul_hi_u32 v37, v35, v2
	s_delay_alu instid0(VALU_DEP_4) | instskip(NEXT) | instid1(VALU_DEP_3)
	v_mad_u64_u32 v[31:32], null, v36, v2, 0
	v_mad_u64_u32 v[27:28], null, v35, v29, 0
	;; [unrolled: 1-line block ×3, first 2 shown]
	s_delay_alu instid0(VALU_DEP_2) | instskip(NEXT) | instid1(VALU_DEP_3)
	v_add_co_u32 v2, vcc_lo, v37, v27
	v_add_co_ci_u32_e32 v27, vcc_lo, 0, v28, vcc_lo
	s_delay_alu instid0(VALU_DEP_2) | instskip(NEXT) | instid1(VALU_DEP_2)
	v_add_co_u32 v2, vcc_lo, v2, v31
	v_add_co_ci_u32_e32 v2, vcc_lo, v27, v32, vcc_lo
	v_add_co_ci_u32_e32 v27, vcc_lo, 0, v34, vcc_lo
	s_delay_alu instid0(VALU_DEP_2) | instskip(NEXT) | instid1(VALU_DEP_2)
	v_add_co_u32 v2, vcc_lo, v2, v33
	v_add_co_ci_u32_e32 v29, vcc_lo, 0, v27, vcc_lo
	s_delay_alu instid0(VALU_DEP_2) | instskip(SKIP_1) | instid1(VALU_DEP_3)
	v_mul_lo_u32 v31, s3, v2
	v_mad_u64_u32 v[27:28], null, s2, v2, 0
	v_mul_lo_u32 v32, s2, v29
	s_delay_alu instid0(VALU_DEP_2) | instskip(NEXT) | instid1(VALU_DEP_2)
	v_sub_co_u32 v27, vcc_lo, v35, v27
	v_add3_u32 v28, v28, v32, v31
                                        ; implicit-def: $vgpr35
	s_delay_alu instid0(VALU_DEP_2) | instskip(NEXT) | instid1(VALU_DEP_2)
	v_cmp_le_u32_e64 s1, s2, v27
	v_sub_nc_u32_e32 v31, v36, v28
	s_delay_alu instid0(VALU_DEP_2) | instskip(NEXT) | instid1(VALU_DEP_2)
	v_cndmask_b32_e64 v33, 0, -1, s1
	v_subrev_co_ci_u32_e64 v31, s0, s3, v31, vcc_lo
	v_sub_co_u32 v32, s0, v27, s2
	v_sub_co_ci_u32_e32 v28, vcc_lo, v36, v28, vcc_lo
	s_delay_alu instid0(VALU_DEP_3) | instskip(NEXT) | instid1(VALU_DEP_3)
	v_subrev_co_ci_u32_e64 v31, s0, 0, v31, s0
	v_cmp_le_u32_e32 vcc_lo, s2, v32
	s_delay_alu instid0(VALU_DEP_3) | instskip(SKIP_1) | instid1(VALU_DEP_4)
	v_cmp_le_u32_e64 s2, s3, v28
	v_cmp_eq_u32_e64 s1, s3, v28
	v_cmp_le_u32_e64 s0, s3, v31
	v_cndmask_b32_e64 v27, 0, -1, vcc_lo
	v_cmp_eq_u32_e32 vcc_lo, s3, v31
	v_cndmask_b32_e64 v28, 0, -1, s2
	s_delay_alu instid0(VALU_DEP_4) | instskip(SKIP_1) | instid1(VALU_DEP_1)
	v_cndmask_b32_e64 v31, 0, -1, s0
	v_add_co_u32 v32, s0, v2, 2
	v_add_co_ci_u32_e64 v34, s0, 0, v29, s0
	s_delay_alu instid0(VALU_DEP_3) | instskip(SKIP_1) | instid1(VALU_DEP_2)
	v_cndmask_b32_e32 v27, v31, v27, vcc_lo
	v_add_co_u32 v31, vcc_lo, v2, 1
	v_cmp_ne_u32_e64 s0, 0, v27
	v_cndmask_b32_e64 v27, v28, v33, s1
	v_add_co_ci_u32_e32 v28, vcc_lo, 0, v29, vcc_lo
                                        ; implicit-def: $vgpr33
	s_delay_alu instid0(VALU_DEP_3) | instskip(NEXT) | instid1(VALU_DEP_3)
	v_cndmask_b32_e64 v31, v31, v32, s0
	v_cmp_ne_u32_e32 vcc_lo, 0, v27
	s_delay_alu instid0(VALU_DEP_3) | instskip(SKIP_1) | instid1(VALU_DEP_4)
	v_cndmask_b32_e64 v27, v28, v34, s0
	v_xor_b32_e32 v28, s94, v30
	v_cndmask_b32_e32 v2, v2, v31, vcc_lo
	s_delay_alu instid0(VALU_DEP_3) | instskip(NEXT) | instid1(VALU_DEP_2)
	v_cndmask_b32_e32 v27, v29, v27, vcc_lo
	v_xor_b32_e32 v2, v2, v28
	s_delay_alu instid0(VALU_DEP_2) | instskip(NEXT) | instid1(VALU_DEP_2)
	v_xor_b32_e32 v29, v27, v28
	v_sub_co_u32 v27, vcc_lo, v2, v28
	s_delay_alu instid0(VALU_DEP_2)
	v_sub_co_ci_u32_e32 v28, vcc_lo, v29, v28, vcc_lo
.LBB19_38:                              ;   in Loop: Header=BB19_4 Depth=1
	s_and_not1_saveexec_b32 s0, s70
	s_cbranch_execz .LBB19_40
; %bb.39:                               ;   in Loop: Header=BB19_4 Depth=1
	v_rcp_iflag_f32_e32 v2, v35
	s_sub_i32 s1, 0, s48
	s_waitcnt_depctr 0xfff
	v_mul_f32_e32 v2, 0x4f7ffffe, v2
	s_delay_alu instid0(VALU_DEP_1) | instskip(NEXT) | instid1(VALU_DEP_1)
	v_cvt_u32_f32_e32 v2, v2
	v_mul_lo_u32 v27, s1, v2
	s_delay_alu instid0(VALU_DEP_1) | instskip(NEXT) | instid1(VALU_DEP_1)
	v_mul_hi_u32 v27, v2, v27
	v_add_nc_u32_e32 v2, v2, v27
	s_delay_alu instid0(VALU_DEP_1) | instskip(NEXT) | instid1(VALU_DEP_1)
	v_mul_hi_u32 v2, v33, v2
	v_mul_lo_u32 v27, v2, s48
	v_add_nc_u32_e32 v28, 1, v2
	s_delay_alu instid0(VALU_DEP_2) | instskip(NEXT) | instid1(VALU_DEP_1)
	v_sub_nc_u32_e32 v27, v33, v27
	v_cmp_le_u32_e32 vcc_lo, s48, v27
	v_subrev_nc_u32_e32 v29, s48, v27
	s_delay_alu instid0(VALU_DEP_1) | instskip(NEXT) | instid1(VALU_DEP_1)
	v_dual_cndmask_b32 v2, v2, v28 :: v_dual_cndmask_b32 v27, v27, v29
	v_add_nc_u32_e32 v28, 1, v2
	s_delay_alu instid0(VALU_DEP_2) | instskip(NEXT) | instid1(VALU_DEP_2)
	v_cmp_le_u32_e32 vcc_lo, s48, v27
	v_dual_cndmask_b32 v27, v2, v28 :: v_dual_mov_b32 v28, v1
.LBB19_40:                              ;   in Loop: Header=BB19_4 Depth=1
	s_or_b32 exec_lo, exec_lo, s0
	v_or_b32_e32 v2, s53, v4
                                        ; implicit-def: $vgpr29_vgpr30
	s_mov_b32 s0, exec_lo
	s_delay_alu instid0(VALU_DEP_1)
	v_cmpx_ne_u64_e32 0, v[1:2]
	s_xor_b32 s70, exec_lo, s0
	s_cbranch_execz .LBB19_42
; %bb.41:                               ;   in Loop: Header=BB19_4 Depth=1
	s_ashr_i32 s94, s53, 31
	s_delay_alu instid0(SALU_CYCLE_1) | instskip(SKIP_2) | instid1(SALU_CYCLE_1)
	s_add_u32 s0, s52, s94
	s_mov_b32 s95, s94
	s_addc_u32 s1, s53, s94
	s_xor_b64 s[2:3], s[0:1], s[94:95]
	s_delay_alu instid0(SALU_CYCLE_1) | instskip(SKIP_3) | instid1(VALU_DEP_1)
	v_cvt_f32_u32_e32 v2, s2
	v_cvt_f32_u32_e32 v29, s3
	s_sub_u32 s0, 0, s2
	s_subb_u32 s1, 0, s3
	v_fmac_f32_e32 v2, 0x4f800000, v29
	s_delay_alu instid0(VALU_DEP_1) | instskip(SKIP_2) | instid1(VALU_DEP_1)
	v_rcp_f32_e32 v2, v2
	s_waitcnt_depctr 0xfff
	v_mul_f32_e32 v2, 0x5f7ffffc, v2
	v_mul_f32_e32 v29, 0x2f800000, v2
	s_delay_alu instid0(VALU_DEP_1) | instskip(NEXT) | instid1(VALU_DEP_1)
	v_trunc_f32_e32 v29, v29
	v_fmac_f32_e32 v2, 0xcf800000, v29
	v_cvt_u32_f32_e32 v29, v29
	s_delay_alu instid0(VALU_DEP_2) | instskip(NEXT) | instid1(VALU_DEP_2)
	v_cvt_u32_f32_e32 v2, v2
	v_mul_lo_u32 v30, s0, v29
	s_delay_alu instid0(VALU_DEP_2) | instskip(SKIP_1) | instid1(VALU_DEP_2)
	v_mul_hi_u32 v31, s0, v2
	v_mul_lo_u32 v32, s1, v2
	v_add_nc_u32_e32 v30, v31, v30
	v_mul_lo_u32 v31, s0, v2
	s_delay_alu instid0(VALU_DEP_2) | instskip(NEXT) | instid1(VALU_DEP_2)
	v_add_nc_u32_e32 v30, v30, v32
	v_mul_hi_u32 v32, v2, v31
	s_delay_alu instid0(VALU_DEP_2)
	v_mul_lo_u32 v33, v2, v30
	v_mul_hi_u32 v34, v2, v30
	v_mul_hi_u32 v35, v29, v31
	v_mul_lo_u32 v31, v29, v31
	v_mul_hi_u32 v36, v29, v30
	v_mul_lo_u32 v30, v29, v30
	v_add_co_u32 v32, vcc_lo, v32, v33
	v_add_co_ci_u32_e32 v33, vcc_lo, 0, v34, vcc_lo
	s_delay_alu instid0(VALU_DEP_2) | instskip(NEXT) | instid1(VALU_DEP_2)
	v_add_co_u32 v31, vcc_lo, v32, v31
	v_add_co_ci_u32_e32 v31, vcc_lo, v33, v35, vcc_lo
	v_add_co_ci_u32_e32 v32, vcc_lo, 0, v36, vcc_lo
	v_ashrrev_i32_e32 v35, 31, v4
	s_delay_alu instid0(VALU_DEP_3) | instskip(NEXT) | instid1(VALU_DEP_3)
	v_add_co_u32 v30, vcc_lo, v31, v30
	v_add_co_ci_u32_e32 v31, vcc_lo, 0, v32, vcc_lo
	s_delay_alu instid0(VALU_DEP_2) | instskip(NEXT) | instid1(VALU_DEP_2)
	v_add_co_u32 v2, vcc_lo, v2, v30
	v_add_co_ci_u32_e32 v29, vcc_lo, v29, v31, vcc_lo
	s_delay_alu instid0(VALU_DEP_2) | instskip(SKIP_1) | instid1(VALU_DEP_3)
	v_mul_hi_u32 v30, s0, v2
	v_mul_lo_u32 v32, s1, v2
	v_mul_lo_u32 v31, s0, v29
	s_delay_alu instid0(VALU_DEP_1) | instskip(SKIP_2) | instid1(VALU_DEP_3)
	v_add_nc_u32_e32 v30, v30, v31
	v_mul_lo_u32 v31, s0, v2
	v_add_co_u32 v36, s0, v3, v35
	v_add_nc_u32_e32 v30, v30, v32
	s_delay_alu instid0(VALU_DEP_2) | instskip(NEXT) | instid1(VALU_DEP_4)
	v_xor_b32_e32 v36, v36, v35
	v_mul_hi_u32 v32, v2, v31
	s_delay_alu instid0(VALU_DEP_3)
	v_mul_lo_u32 v33, v2, v30
	v_mul_hi_u32 v34, v2, v30
	v_mul_hi_u32 v37, v29, v31
	v_mul_lo_u32 v31, v29, v31
	v_mul_hi_u32 v38, v29, v30
	v_mul_lo_u32 v30, v29, v30
	v_add_co_u32 v32, vcc_lo, v32, v33
	v_add_co_ci_u32_e32 v33, vcc_lo, 0, v34, vcc_lo
	s_delay_alu instid0(VALU_DEP_2) | instskip(NEXT) | instid1(VALU_DEP_2)
	v_add_co_u32 v31, vcc_lo, v32, v31
	v_add_co_ci_u32_e32 v31, vcc_lo, v33, v37, vcc_lo
	v_add_co_ci_u32_e32 v32, vcc_lo, 0, v38, vcc_lo
	v_add_co_ci_u32_e64 v33, vcc_lo, v4, v35, s0
	s_delay_alu instid0(VALU_DEP_3) | instskip(NEXT) | instid1(VALU_DEP_3)
	v_add_co_u32 v30, vcc_lo, v31, v30
	v_add_co_ci_u32_e32 v31, vcc_lo, 0, v32, vcc_lo
	s_delay_alu instid0(VALU_DEP_3) | instskip(NEXT) | instid1(VALU_DEP_3)
	v_xor_b32_e32 v38, v33, v35
	v_add_co_u32 v2, vcc_lo, v2, v30
	s_delay_alu instid0(VALU_DEP_3) | instskip(NEXT) | instid1(VALU_DEP_2)
	v_add_co_ci_u32_e32 v37, vcc_lo, v29, v31, vcc_lo
	v_mul_hi_u32 v39, v36, v2
	s_delay_alu instid0(VALU_DEP_4) | instskip(NEXT) | instid1(VALU_DEP_3)
	v_mad_u64_u32 v[31:32], null, v38, v2, 0
	v_mad_u64_u32 v[29:30], null, v36, v37, 0
	v_mad_u64_u32 v[33:34], null, v38, v37, 0
	s_delay_alu instid0(VALU_DEP_2) | instskip(NEXT) | instid1(VALU_DEP_3)
	v_add_co_u32 v2, vcc_lo, v39, v29
	v_add_co_ci_u32_e32 v29, vcc_lo, 0, v30, vcc_lo
	s_delay_alu instid0(VALU_DEP_2) | instskip(NEXT) | instid1(VALU_DEP_2)
	v_add_co_u32 v2, vcc_lo, v2, v31
	v_add_co_ci_u32_e32 v2, vcc_lo, v29, v32, vcc_lo
	v_add_co_ci_u32_e32 v29, vcc_lo, 0, v34, vcc_lo
	s_delay_alu instid0(VALU_DEP_2) | instskip(NEXT) | instid1(VALU_DEP_2)
	v_add_co_u32 v2, vcc_lo, v2, v33
	v_add_co_ci_u32_e32 v31, vcc_lo, 0, v29, vcc_lo
	s_delay_alu instid0(VALU_DEP_2) | instskip(SKIP_1) | instid1(VALU_DEP_3)
	v_mul_lo_u32 v32, s3, v2
	v_mad_u64_u32 v[29:30], null, s2, v2, 0
	v_mul_lo_u32 v33, s2, v31
	s_delay_alu instid0(VALU_DEP_2) | instskip(NEXT) | instid1(VALU_DEP_2)
	v_sub_co_u32 v29, vcc_lo, v36, v29
	v_add3_u32 v30, v30, v33, v32
	s_delay_alu instid0(VALU_DEP_2) | instskip(NEXT) | instid1(VALU_DEP_2)
	v_cmp_le_u32_e64 s1, s2, v29
	v_sub_nc_u32_e32 v32, v38, v30
	s_delay_alu instid0(VALU_DEP_2) | instskip(NEXT) | instid1(VALU_DEP_2)
	v_cndmask_b32_e64 v34, 0, -1, s1
	v_subrev_co_ci_u32_e64 v32, s0, s3, v32, vcc_lo
	v_sub_co_u32 v33, s0, v29, s2
	v_sub_co_ci_u32_e32 v30, vcc_lo, v38, v30, vcc_lo
	s_delay_alu instid0(VALU_DEP_3) | instskip(NEXT) | instid1(VALU_DEP_3)
	v_subrev_co_ci_u32_e64 v32, s0, 0, v32, s0
	v_cmp_le_u32_e32 vcc_lo, s2, v33
	s_delay_alu instid0(VALU_DEP_3) | instskip(SKIP_1) | instid1(VALU_DEP_4)
	v_cmp_le_u32_e64 s2, s3, v30
	v_cmp_eq_u32_e64 s1, s3, v30
	v_cmp_le_u32_e64 s0, s3, v32
	v_cndmask_b32_e64 v29, 0, -1, vcc_lo
	v_cmp_eq_u32_e32 vcc_lo, s3, v32
	v_cndmask_b32_e64 v30, 0, -1, s2
	s_delay_alu instid0(VALU_DEP_4) | instskip(SKIP_1) | instid1(VALU_DEP_1)
	v_cndmask_b32_e64 v32, 0, -1, s0
	v_add_co_u32 v33, s0, v2, 2
	v_add_co_ci_u32_e64 v36, s0, 0, v31, s0
	s_delay_alu instid0(VALU_DEP_3) | instskip(SKIP_1) | instid1(VALU_DEP_2)
	v_cndmask_b32_e32 v29, v32, v29, vcc_lo
	v_add_co_u32 v32, vcc_lo, v2, 1
	v_cmp_ne_u32_e64 s0, 0, v29
	v_cndmask_b32_e64 v29, v30, v34, s1
	v_add_co_ci_u32_e32 v30, vcc_lo, 0, v31, vcc_lo
	s_delay_alu instid0(VALU_DEP_3) | instskip(NEXT) | instid1(VALU_DEP_3)
	v_cndmask_b32_e64 v32, v32, v33, s0
	v_cmp_ne_u32_e32 vcc_lo, 0, v29
	s_delay_alu instid0(VALU_DEP_3) | instskip(SKIP_1) | instid1(VALU_DEP_2)
	v_cndmask_b32_e64 v29, v30, v36, s0
	v_xor_b32_e32 v30, s94, v35
	v_dual_cndmask_b32 v2, v2, v32 :: v_dual_cndmask_b32 v29, v31, v29
	s_delay_alu instid0(VALU_DEP_1) | instskip(NEXT) | instid1(VALU_DEP_2)
	v_xor_b32_e32 v2, v2, v30
	v_xor_b32_e32 v31, v29, v30
	s_delay_alu instid0(VALU_DEP_2) | instskip(NEXT) | instid1(VALU_DEP_2)
	v_sub_co_u32 v29, vcc_lo, v2, v30
	v_sub_co_ci_u32_e32 v30, vcc_lo, v31, v30, vcc_lo
.LBB19_42:                              ;   in Loop: Header=BB19_4 Depth=1
	s_and_not1_saveexec_b32 s0, s70
	s_cbranch_execz .LBB19_44
; %bb.43:                               ;   in Loop: Header=BB19_4 Depth=1
	v_cvt_f32_u32_e32 v2, s52
	s_sub_i32 s1, 0, s52
	s_delay_alu instid0(VALU_DEP_1) | instskip(SKIP_2) | instid1(VALU_DEP_1)
	v_rcp_iflag_f32_e32 v2, v2
	s_waitcnt_depctr 0xfff
	v_mul_f32_e32 v2, 0x4f7ffffe, v2
	v_cvt_u32_f32_e32 v2, v2
	s_delay_alu instid0(VALU_DEP_1) | instskip(NEXT) | instid1(VALU_DEP_1)
	v_mul_lo_u32 v29, s1, v2
	v_mul_hi_u32 v29, v2, v29
	s_delay_alu instid0(VALU_DEP_1) | instskip(NEXT) | instid1(VALU_DEP_1)
	v_add_nc_u32_e32 v2, v2, v29
	v_mul_hi_u32 v2, v3, v2
	s_delay_alu instid0(VALU_DEP_1) | instskip(SKIP_1) | instid1(VALU_DEP_2)
	v_mul_lo_u32 v29, v2, s52
	v_add_nc_u32_e32 v30, 1, v2
	v_sub_nc_u32_e32 v29, v3, v29
	s_delay_alu instid0(VALU_DEP_1) | instskip(SKIP_1) | instid1(VALU_DEP_1)
	v_cmp_le_u32_e32 vcc_lo, s52, v29
	v_subrev_nc_u32_e32 v31, s52, v29
	v_dual_cndmask_b32 v2, v2, v30 :: v_dual_cndmask_b32 v29, v29, v31
	s_delay_alu instid0(VALU_DEP_1) | instskip(NEXT) | instid1(VALU_DEP_2)
	v_add_nc_u32_e32 v30, 1, v2
	v_cmp_le_u32_e32 vcc_lo, s52, v29
	s_delay_alu instid0(VALU_DEP_2)
	v_dual_cndmask_b32 v29, v2, v30 :: v_dual_mov_b32 v30, v1
.LBB19_44:                              ;   in Loop: Header=BB19_4 Depth=1
	s_or_b32 exec_lo, exec_lo, s0
	s_delay_alu instid0(VALU_DEP_1) | instskip(NEXT) | instid1(VALU_DEP_2)
	v_mad_u64_u32 v[31:32], null, s101, v29, v[3:4]
	v_mul_lo_u32 v2, s101, v30
	v_mul_lo_u32 v33, s102, v29
	;; [unrolled: 1-line block ×4, first 2 shown]
	s_mov_b32 s0, exec_lo
	v_mul_lo_u32 v36, v31, s23
	s_delay_alu instid0(VALU_DEP_4) | instskip(SKIP_2) | instid1(VALU_DEP_3)
	v_add3_u32 v2, v33, v32, v2
	v_mad_u64_u32 v[32:33], null, v29, s20, 0
	v_mad_u64_u32 v[29:30], null, v31, s22, 0
	v_mul_lo_u32 v2, v2, s22
	s_delay_alu instid0(VALU_DEP_3) | instskip(NEXT) | instid1(VALU_DEP_2)
	v_add3_u32 v33, v33, v35, v34
	v_add3_u32 v30, v30, v36, v2
	s_delay_alu instid0(VALU_DEP_2) | instskip(NEXT) | instid1(VALU_DEP_2)
	v_lshlrev_b64 v[31:32], 3, v[32:33]
	v_lshlrev_b64 v[29:30], 3, v[29:30]
	s_delay_alu instid0(VALU_DEP_2) | instskip(NEXT) | instid1(VALU_DEP_3)
	v_add_co_u32 v2, vcc_lo, s50, v31
	v_add_co_ci_u32_e32 v31, vcc_lo, s51, v32, vcc_lo
	s_delay_alu instid0(VALU_DEP_2) | instskip(NEXT) | instid1(VALU_DEP_2)
	v_add_co_u32 v29, vcc_lo, v2, v29
	v_add_co_ci_u32_e32 v30, vcc_lo, v31, v30, vcc_lo
	v_or_b32_e32 v2, s57, v4
                                        ; implicit-def: $vgpr31_vgpr32
	global_load_b64 v[29:30], v[29:30], off
	v_cmpx_ne_u64_e32 0, v[1:2]
	s_xor_b32 s70, exec_lo, s0
	s_cbranch_execz .LBB19_46
; %bb.45:                               ;   in Loop: Header=BB19_4 Depth=1
	s_ashr_i32 s94, s57, 31
	s_delay_alu instid0(SALU_CYCLE_1) | instskip(SKIP_2) | instid1(SALU_CYCLE_1)
	s_add_u32 s0, s56, s94
	s_mov_b32 s95, s94
	s_addc_u32 s1, s57, s94
	s_xor_b64 s[2:3], s[0:1], s[94:95]
	s_delay_alu instid0(SALU_CYCLE_1) | instskip(SKIP_3) | instid1(VALU_DEP_1)
	v_cvt_f32_u32_e32 v2, s2
	v_cvt_f32_u32_e32 v31, s3
	s_sub_u32 s0, 0, s2
	s_subb_u32 s1, 0, s3
	v_fmac_f32_e32 v2, 0x4f800000, v31
	s_delay_alu instid0(VALU_DEP_1) | instskip(SKIP_2) | instid1(VALU_DEP_1)
	v_rcp_f32_e32 v2, v2
	s_waitcnt_depctr 0xfff
	v_mul_f32_e32 v2, 0x5f7ffffc, v2
	v_mul_f32_e32 v31, 0x2f800000, v2
	s_delay_alu instid0(VALU_DEP_1) | instskip(NEXT) | instid1(VALU_DEP_1)
	v_trunc_f32_e32 v31, v31
	v_fmac_f32_e32 v2, 0xcf800000, v31
	v_cvt_u32_f32_e32 v31, v31
	s_delay_alu instid0(VALU_DEP_2) | instskip(NEXT) | instid1(VALU_DEP_2)
	v_cvt_u32_f32_e32 v2, v2
	v_mul_lo_u32 v32, s0, v31
	s_delay_alu instid0(VALU_DEP_2) | instskip(SKIP_1) | instid1(VALU_DEP_2)
	v_mul_hi_u32 v33, s0, v2
	v_mul_lo_u32 v34, s1, v2
	v_add_nc_u32_e32 v32, v33, v32
	v_mul_lo_u32 v33, s0, v2
	s_delay_alu instid0(VALU_DEP_2) | instskip(NEXT) | instid1(VALU_DEP_2)
	v_add_nc_u32_e32 v32, v32, v34
	v_mul_hi_u32 v34, v2, v33
	s_delay_alu instid0(VALU_DEP_2)
	v_mul_lo_u32 v35, v2, v32
	v_mul_hi_u32 v36, v2, v32
	v_mul_hi_u32 v37, v31, v33
	v_mul_lo_u32 v33, v31, v33
	v_mul_hi_u32 v38, v31, v32
	v_mul_lo_u32 v32, v31, v32
	v_add_co_u32 v34, vcc_lo, v34, v35
	v_add_co_ci_u32_e32 v35, vcc_lo, 0, v36, vcc_lo
	s_delay_alu instid0(VALU_DEP_2) | instskip(NEXT) | instid1(VALU_DEP_2)
	v_add_co_u32 v33, vcc_lo, v34, v33
	v_add_co_ci_u32_e32 v33, vcc_lo, v35, v37, vcc_lo
	v_add_co_ci_u32_e32 v34, vcc_lo, 0, v38, vcc_lo
	v_ashrrev_i32_e32 v37, 31, v4
	s_delay_alu instid0(VALU_DEP_3) | instskip(NEXT) | instid1(VALU_DEP_3)
	v_add_co_u32 v32, vcc_lo, v33, v32
	v_add_co_ci_u32_e32 v33, vcc_lo, 0, v34, vcc_lo
	s_delay_alu instid0(VALU_DEP_2) | instskip(NEXT) | instid1(VALU_DEP_2)
	v_add_co_u32 v2, vcc_lo, v2, v32
	v_add_co_ci_u32_e32 v31, vcc_lo, v31, v33, vcc_lo
	s_delay_alu instid0(VALU_DEP_2) | instskip(SKIP_1) | instid1(VALU_DEP_3)
	v_mul_hi_u32 v32, s0, v2
	v_mul_lo_u32 v34, s1, v2
	v_mul_lo_u32 v33, s0, v31
	s_delay_alu instid0(VALU_DEP_1) | instskip(SKIP_2) | instid1(VALU_DEP_3)
	v_add_nc_u32_e32 v32, v32, v33
	v_mul_lo_u32 v33, s0, v2
	v_add_co_u32 v38, s0, v3, v37
	v_add_nc_u32_e32 v32, v32, v34
	s_delay_alu instid0(VALU_DEP_2) | instskip(NEXT) | instid1(VALU_DEP_4)
	v_xor_b32_e32 v38, v38, v37
	v_mul_hi_u32 v34, v2, v33
	s_delay_alu instid0(VALU_DEP_3)
	v_mul_lo_u32 v35, v2, v32
	v_mul_hi_u32 v36, v2, v32
	v_mul_hi_u32 v39, v31, v33
	v_mul_lo_u32 v33, v31, v33
	v_mul_hi_u32 v40, v31, v32
	v_mul_lo_u32 v32, v31, v32
	v_add_co_u32 v34, vcc_lo, v34, v35
	v_add_co_ci_u32_e32 v35, vcc_lo, 0, v36, vcc_lo
	s_delay_alu instid0(VALU_DEP_2) | instskip(NEXT) | instid1(VALU_DEP_2)
	v_add_co_u32 v33, vcc_lo, v34, v33
	v_add_co_ci_u32_e32 v33, vcc_lo, v35, v39, vcc_lo
	v_add_co_ci_u32_e32 v34, vcc_lo, 0, v40, vcc_lo
	v_add_co_ci_u32_e64 v35, vcc_lo, v4, v37, s0
	s_delay_alu instid0(VALU_DEP_3) | instskip(NEXT) | instid1(VALU_DEP_3)
	v_add_co_u32 v32, vcc_lo, v33, v32
	v_add_co_ci_u32_e32 v33, vcc_lo, 0, v34, vcc_lo
	s_delay_alu instid0(VALU_DEP_3) | instskip(NEXT) | instid1(VALU_DEP_3)
	v_xor_b32_e32 v40, v35, v37
	v_add_co_u32 v2, vcc_lo, v2, v32
	s_delay_alu instid0(VALU_DEP_3) | instskip(NEXT) | instid1(VALU_DEP_2)
	v_add_co_ci_u32_e32 v39, vcc_lo, v31, v33, vcc_lo
	v_mul_hi_u32 v41, v38, v2
	s_delay_alu instid0(VALU_DEP_4) | instskip(NEXT) | instid1(VALU_DEP_3)
	v_mad_u64_u32 v[33:34], null, v40, v2, 0
	v_mad_u64_u32 v[31:32], null, v38, v39, 0
	;; [unrolled: 1-line block ×3, first 2 shown]
	s_delay_alu instid0(VALU_DEP_2) | instskip(NEXT) | instid1(VALU_DEP_3)
	v_add_co_u32 v2, vcc_lo, v41, v31
	v_add_co_ci_u32_e32 v31, vcc_lo, 0, v32, vcc_lo
	s_delay_alu instid0(VALU_DEP_2) | instskip(NEXT) | instid1(VALU_DEP_2)
	v_add_co_u32 v2, vcc_lo, v2, v33
	v_add_co_ci_u32_e32 v2, vcc_lo, v31, v34, vcc_lo
	v_add_co_ci_u32_e32 v31, vcc_lo, 0, v36, vcc_lo
	s_delay_alu instid0(VALU_DEP_2) | instskip(NEXT) | instid1(VALU_DEP_2)
	v_add_co_u32 v2, vcc_lo, v2, v35
	v_add_co_ci_u32_e32 v33, vcc_lo, 0, v31, vcc_lo
	s_delay_alu instid0(VALU_DEP_2) | instskip(SKIP_1) | instid1(VALU_DEP_3)
	v_mul_lo_u32 v34, s3, v2
	v_mad_u64_u32 v[31:32], null, s2, v2, 0
	v_mul_lo_u32 v35, s2, v33
	s_delay_alu instid0(VALU_DEP_2) | instskip(NEXT) | instid1(VALU_DEP_2)
	v_sub_co_u32 v31, vcc_lo, v38, v31
	v_add3_u32 v32, v32, v35, v34
	s_delay_alu instid0(VALU_DEP_2) | instskip(NEXT) | instid1(VALU_DEP_2)
	v_cmp_le_u32_e64 s1, s2, v31
	v_sub_nc_u32_e32 v34, v40, v32
	s_delay_alu instid0(VALU_DEP_2) | instskip(NEXT) | instid1(VALU_DEP_2)
	v_cndmask_b32_e64 v36, 0, -1, s1
	v_subrev_co_ci_u32_e64 v34, s0, s3, v34, vcc_lo
	v_sub_co_u32 v35, s0, v31, s2
	v_sub_co_ci_u32_e32 v32, vcc_lo, v40, v32, vcc_lo
	s_delay_alu instid0(VALU_DEP_3) | instskip(NEXT) | instid1(VALU_DEP_3)
	v_subrev_co_ci_u32_e64 v34, s0, 0, v34, s0
	v_cmp_le_u32_e32 vcc_lo, s2, v35
	s_delay_alu instid0(VALU_DEP_3) | instskip(SKIP_1) | instid1(VALU_DEP_4)
	v_cmp_le_u32_e64 s2, s3, v32
	v_cmp_eq_u32_e64 s1, s3, v32
	v_cmp_le_u32_e64 s0, s3, v34
	v_cndmask_b32_e64 v31, 0, -1, vcc_lo
	v_cmp_eq_u32_e32 vcc_lo, s3, v34
	v_cndmask_b32_e64 v32, 0, -1, s2
	s_delay_alu instid0(VALU_DEP_4) | instskip(SKIP_1) | instid1(VALU_DEP_1)
	v_cndmask_b32_e64 v34, 0, -1, s0
	v_add_co_u32 v35, s0, v2, 2
	v_add_co_ci_u32_e64 v38, s0, 0, v33, s0
	s_delay_alu instid0(VALU_DEP_3) | instskip(SKIP_1) | instid1(VALU_DEP_2)
	v_cndmask_b32_e32 v31, v34, v31, vcc_lo
	v_add_co_u32 v34, vcc_lo, v2, 1
	v_cmp_ne_u32_e64 s0, 0, v31
	v_cndmask_b32_e64 v31, v32, v36, s1
	v_add_co_ci_u32_e32 v32, vcc_lo, 0, v33, vcc_lo
	s_delay_alu instid0(VALU_DEP_3) | instskip(NEXT) | instid1(VALU_DEP_3)
	v_cndmask_b32_e64 v34, v34, v35, s0
	v_cmp_ne_u32_e32 vcc_lo, 0, v31
	s_delay_alu instid0(VALU_DEP_3) | instskip(SKIP_1) | instid1(VALU_DEP_2)
	v_cndmask_b32_e64 v31, v32, v38, s0
	v_xor_b32_e32 v32, s94, v37
	v_dual_cndmask_b32 v2, v2, v34 :: v_dual_cndmask_b32 v31, v33, v31
	s_delay_alu instid0(VALU_DEP_1) | instskip(NEXT) | instid1(VALU_DEP_2)
	v_xor_b32_e32 v2, v2, v32
	v_xor_b32_e32 v33, v31, v32
	s_delay_alu instid0(VALU_DEP_2) | instskip(NEXT) | instid1(VALU_DEP_2)
	v_sub_co_u32 v31, vcc_lo, v2, v32
	v_sub_co_ci_u32_e32 v32, vcc_lo, v33, v32, vcc_lo
.LBB19_46:                              ;   in Loop: Header=BB19_4 Depth=1
	s_and_not1_saveexec_b32 s0, s70
	s_cbranch_execz .LBB19_48
; %bb.47:                               ;   in Loop: Header=BB19_4 Depth=1
	v_cvt_f32_u32_e32 v2, s56
	s_sub_i32 s1, 0, s56
	s_delay_alu instid0(VALU_DEP_1) | instskip(SKIP_2) | instid1(VALU_DEP_1)
	v_rcp_iflag_f32_e32 v2, v2
	s_waitcnt_depctr 0xfff
	v_mul_f32_e32 v2, 0x4f7ffffe, v2
	v_cvt_u32_f32_e32 v2, v2
	s_delay_alu instid0(VALU_DEP_1) | instskip(NEXT) | instid1(VALU_DEP_1)
	v_mul_lo_u32 v31, s1, v2
	v_mul_hi_u32 v31, v2, v31
	s_delay_alu instid0(VALU_DEP_1) | instskip(NEXT) | instid1(VALU_DEP_1)
	v_add_nc_u32_e32 v2, v2, v31
	v_mul_hi_u32 v2, v3, v2
	s_delay_alu instid0(VALU_DEP_1) | instskip(SKIP_1) | instid1(VALU_DEP_2)
	v_mul_lo_u32 v31, v2, s56
	v_add_nc_u32_e32 v32, 1, v2
	v_sub_nc_u32_e32 v31, v3, v31
	s_delay_alu instid0(VALU_DEP_1) | instskip(SKIP_1) | instid1(VALU_DEP_1)
	v_cmp_le_u32_e32 vcc_lo, s56, v31
	v_subrev_nc_u32_e32 v33, s56, v31
	v_dual_cndmask_b32 v2, v2, v32 :: v_dual_cndmask_b32 v31, v31, v33
	s_delay_alu instid0(VALU_DEP_1) | instskip(NEXT) | instid1(VALU_DEP_2)
	v_add_nc_u32_e32 v32, 1, v2
	v_cmp_le_u32_e32 vcc_lo, s56, v31
	s_delay_alu instid0(VALU_DEP_2)
	v_dual_cndmask_b32 v31, v2, v32 :: v_dual_mov_b32 v32, v1
.LBB19_48:                              ;   in Loop: Header=BB19_4 Depth=1
	s_or_b32 exec_lo, exec_lo, s0
	s_delay_alu instid0(VALU_DEP_1) | instskip(NEXT) | instid1(VALU_DEP_2)
	v_mad_u64_u32 v[33:34], null, s103, v31, v[3:4]
	v_mul_lo_u32 v2, s103, v32
	v_mul_lo_u32 v35, s104, v31
	;; [unrolled: 1-line block ×4, first 2 shown]
	s_mov_b32 s0, exec_lo
	v_mul_lo_u32 v38, v33, s27
	s_delay_alu instid0(VALU_DEP_4) | instskip(SKIP_2) | instid1(VALU_DEP_3)
	v_add3_u32 v2, v35, v34, v2
	v_mad_u64_u32 v[34:35], null, v31, s24, 0
	v_mad_u64_u32 v[31:32], null, v33, s26, 0
	v_mul_lo_u32 v2, v2, s26
	s_delay_alu instid0(VALU_DEP_3) | instskip(NEXT) | instid1(VALU_DEP_2)
	v_add3_u32 v35, v35, v37, v36
	v_add3_u32 v32, v32, v38, v2
	s_delay_alu instid0(VALU_DEP_2) | instskip(NEXT) | instid1(VALU_DEP_2)
	v_lshlrev_b64 v[33:34], 3, v[34:35]
	v_lshlrev_b64 v[31:32], 3, v[31:32]
	s_delay_alu instid0(VALU_DEP_2) | instskip(NEXT) | instid1(VALU_DEP_3)
	v_add_co_u32 v2, vcc_lo, s54, v33
	v_add_co_ci_u32_e32 v33, vcc_lo, s55, v34, vcc_lo
	s_delay_alu instid0(VALU_DEP_2) | instskip(NEXT) | instid1(VALU_DEP_2)
	v_add_co_u32 v31, vcc_lo, v2, v31
	v_add_co_ci_u32_e32 v32, vcc_lo, v33, v32, vcc_lo
	v_or_b32_e32 v2, s61, v4
	global_load_b64 v[33:34], v[31:32], off
                                        ; implicit-def: $vgpr31_vgpr32
	v_cmpx_ne_u64_e32 0, v[1:2]
	s_xor_b32 s70, exec_lo, s0
	s_cbranch_execnz .LBB19_60
; %bb.49:                               ;   in Loop: Header=BB19_4 Depth=1
	s_and_not1_saveexec_b32 s0, s70
	s_cbranch_execnz .LBB19_61
.LBB19_50:                              ;   in Loop: Header=BB19_4 Depth=1
	s_or_b32 exec_lo, exec_lo, s0
	s_delay_alu instid0(SALU_CYCLE_1)
	s_and_not1_b32 vcc_lo, exec_lo, s33
	s_cbranch_vccnz .LBB19_62
.LBB19_51:                              ;   in Loop: Header=BB19_4 Depth=1
	v_or_b32_e32 v2, s63, v4
                                        ; implicit-def: $vgpr35_vgpr36
	s_mov_b32 s0, exec_lo
	s_delay_alu instid0(VALU_DEP_1)
	v_cmpx_ne_u64_e32 0, v[1:2]
	s_xor_b32 s70, exec_lo, s0
	s_cbranch_execz .LBB19_53
; %bb.52:                               ;   in Loop: Header=BB19_4 Depth=1
	s_ashr_i32 s94, s63, 31
	s_delay_alu instid0(SALU_CYCLE_1) | instskip(SKIP_2) | instid1(SALU_CYCLE_1)
	s_add_u32 s0, s62, s94
	s_mov_b32 s95, s94
	s_addc_u32 s1, s63, s94
	s_xor_b64 s[2:3], s[0:1], s[94:95]
	s_delay_alu instid0(SALU_CYCLE_1) | instskip(SKIP_3) | instid1(VALU_DEP_1)
	v_cvt_f32_u32_e32 v2, s2
	v_cvt_f32_u32_e32 v35, s3
	s_sub_u32 s0, 0, s2
	s_subb_u32 s1, 0, s3
	v_fmac_f32_e32 v2, 0x4f800000, v35
	s_delay_alu instid0(VALU_DEP_1) | instskip(SKIP_2) | instid1(VALU_DEP_1)
	v_rcp_f32_e32 v2, v2
	s_waitcnt_depctr 0xfff
	v_mul_f32_e32 v2, 0x5f7ffffc, v2
	v_mul_f32_e32 v35, 0x2f800000, v2
	s_delay_alu instid0(VALU_DEP_1) | instskip(NEXT) | instid1(VALU_DEP_1)
	v_trunc_f32_e32 v35, v35
	v_fmac_f32_e32 v2, 0xcf800000, v35
	v_cvt_u32_f32_e32 v35, v35
	s_delay_alu instid0(VALU_DEP_2) | instskip(NEXT) | instid1(VALU_DEP_2)
	v_cvt_u32_f32_e32 v2, v2
	v_mul_lo_u32 v36, s0, v35
	s_delay_alu instid0(VALU_DEP_2) | instskip(SKIP_1) | instid1(VALU_DEP_2)
	v_mul_hi_u32 v37, s0, v2
	v_mul_lo_u32 v38, s1, v2
	v_add_nc_u32_e32 v36, v37, v36
	v_mul_lo_u32 v37, s0, v2
	s_delay_alu instid0(VALU_DEP_2) | instskip(NEXT) | instid1(VALU_DEP_2)
	v_add_nc_u32_e32 v36, v36, v38
	v_mul_hi_u32 v38, v2, v37
	s_delay_alu instid0(VALU_DEP_2)
	v_mul_lo_u32 v39, v2, v36
	v_mul_hi_u32 v40, v2, v36
	v_mul_hi_u32 v41, v35, v37
	v_mul_lo_u32 v37, v35, v37
	v_mul_hi_u32 v42, v35, v36
	v_mul_lo_u32 v36, v35, v36
	v_add_co_u32 v38, vcc_lo, v38, v39
	v_add_co_ci_u32_e32 v39, vcc_lo, 0, v40, vcc_lo
	s_delay_alu instid0(VALU_DEP_2) | instskip(NEXT) | instid1(VALU_DEP_2)
	v_add_co_u32 v37, vcc_lo, v38, v37
	v_add_co_ci_u32_e32 v37, vcc_lo, v39, v41, vcc_lo
	v_add_co_ci_u32_e32 v38, vcc_lo, 0, v42, vcc_lo
	v_ashrrev_i32_e32 v41, 31, v4
	s_delay_alu instid0(VALU_DEP_3) | instskip(NEXT) | instid1(VALU_DEP_3)
	v_add_co_u32 v36, vcc_lo, v37, v36
	v_add_co_ci_u32_e32 v37, vcc_lo, 0, v38, vcc_lo
	s_delay_alu instid0(VALU_DEP_2) | instskip(NEXT) | instid1(VALU_DEP_2)
	v_add_co_u32 v2, vcc_lo, v2, v36
	v_add_co_ci_u32_e32 v35, vcc_lo, v35, v37, vcc_lo
	s_delay_alu instid0(VALU_DEP_2) | instskip(SKIP_1) | instid1(VALU_DEP_3)
	v_mul_hi_u32 v36, s0, v2
	v_mul_lo_u32 v38, s1, v2
	v_mul_lo_u32 v37, s0, v35
	s_delay_alu instid0(VALU_DEP_1) | instskip(SKIP_2) | instid1(VALU_DEP_3)
	v_add_nc_u32_e32 v36, v36, v37
	v_mul_lo_u32 v37, s0, v2
	v_add_co_u32 v42, s0, v3, v41
	v_add_nc_u32_e32 v36, v36, v38
	s_delay_alu instid0(VALU_DEP_2) | instskip(NEXT) | instid1(VALU_DEP_4)
	v_xor_b32_e32 v42, v42, v41
	v_mul_hi_u32 v38, v2, v37
	s_delay_alu instid0(VALU_DEP_3)
	v_mul_lo_u32 v39, v2, v36
	v_mul_hi_u32 v40, v2, v36
	v_mul_hi_u32 v43, v35, v37
	v_mul_lo_u32 v37, v35, v37
	v_mul_hi_u32 v44, v35, v36
	v_mul_lo_u32 v36, v35, v36
	v_add_co_u32 v38, vcc_lo, v38, v39
	v_add_co_ci_u32_e32 v39, vcc_lo, 0, v40, vcc_lo
	s_delay_alu instid0(VALU_DEP_2) | instskip(NEXT) | instid1(VALU_DEP_2)
	v_add_co_u32 v37, vcc_lo, v38, v37
	v_add_co_ci_u32_e32 v37, vcc_lo, v39, v43, vcc_lo
	v_add_co_ci_u32_e32 v38, vcc_lo, 0, v44, vcc_lo
	v_add_co_ci_u32_e64 v39, vcc_lo, v4, v41, s0
	s_delay_alu instid0(VALU_DEP_3) | instskip(NEXT) | instid1(VALU_DEP_3)
	v_add_co_u32 v36, vcc_lo, v37, v36
	v_add_co_ci_u32_e32 v37, vcc_lo, 0, v38, vcc_lo
	s_delay_alu instid0(VALU_DEP_3) | instskip(NEXT) | instid1(VALU_DEP_3)
	v_xor_b32_e32 v44, v39, v41
	v_add_co_u32 v2, vcc_lo, v2, v36
	s_delay_alu instid0(VALU_DEP_3) | instskip(NEXT) | instid1(VALU_DEP_2)
	v_add_co_ci_u32_e32 v43, vcc_lo, v35, v37, vcc_lo
	v_mul_hi_u32 v45, v42, v2
	s_delay_alu instid0(VALU_DEP_4) | instskip(NEXT) | instid1(VALU_DEP_3)
	v_mad_u64_u32 v[37:38], null, v44, v2, 0
	v_mad_u64_u32 v[35:36], null, v42, v43, 0
	;; [unrolled: 1-line block ×3, first 2 shown]
	s_delay_alu instid0(VALU_DEP_2) | instskip(NEXT) | instid1(VALU_DEP_3)
	v_add_co_u32 v2, vcc_lo, v45, v35
	v_add_co_ci_u32_e32 v35, vcc_lo, 0, v36, vcc_lo
	s_delay_alu instid0(VALU_DEP_2) | instskip(NEXT) | instid1(VALU_DEP_2)
	v_add_co_u32 v2, vcc_lo, v2, v37
	v_add_co_ci_u32_e32 v2, vcc_lo, v35, v38, vcc_lo
	v_add_co_ci_u32_e32 v35, vcc_lo, 0, v40, vcc_lo
	s_delay_alu instid0(VALU_DEP_2) | instskip(NEXT) | instid1(VALU_DEP_2)
	v_add_co_u32 v2, vcc_lo, v2, v39
	v_add_co_ci_u32_e32 v37, vcc_lo, 0, v35, vcc_lo
	s_delay_alu instid0(VALU_DEP_2) | instskip(SKIP_1) | instid1(VALU_DEP_3)
	v_mul_lo_u32 v38, s3, v2
	v_mad_u64_u32 v[35:36], null, s2, v2, 0
	v_mul_lo_u32 v39, s2, v37
	s_delay_alu instid0(VALU_DEP_2) | instskip(NEXT) | instid1(VALU_DEP_2)
	v_sub_co_u32 v35, vcc_lo, v42, v35
	v_add3_u32 v36, v36, v39, v38
	s_delay_alu instid0(VALU_DEP_2) | instskip(NEXT) | instid1(VALU_DEP_2)
	v_cmp_le_u32_e64 s1, s2, v35
	v_sub_nc_u32_e32 v38, v44, v36
	s_delay_alu instid0(VALU_DEP_2) | instskip(NEXT) | instid1(VALU_DEP_2)
	v_cndmask_b32_e64 v40, 0, -1, s1
	v_subrev_co_ci_u32_e64 v38, s0, s3, v38, vcc_lo
	v_sub_co_u32 v39, s0, v35, s2
	v_sub_co_ci_u32_e32 v36, vcc_lo, v44, v36, vcc_lo
	s_delay_alu instid0(VALU_DEP_3) | instskip(NEXT) | instid1(VALU_DEP_3)
	v_subrev_co_ci_u32_e64 v38, s0, 0, v38, s0
	v_cmp_le_u32_e32 vcc_lo, s2, v39
	s_delay_alu instid0(VALU_DEP_3) | instskip(SKIP_1) | instid1(VALU_DEP_4)
	v_cmp_le_u32_e64 s2, s3, v36
	v_cmp_eq_u32_e64 s1, s3, v36
	v_cmp_le_u32_e64 s0, s3, v38
	v_cndmask_b32_e64 v35, 0, -1, vcc_lo
	v_cmp_eq_u32_e32 vcc_lo, s3, v38
	v_cndmask_b32_e64 v36, 0, -1, s2
	s_delay_alu instid0(VALU_DEP_4) | instskip(SKIP_1) | instid1(VALU_DEP_1)
	v_cndmask_b32_e64 v38, 0, -1, s0
	v_add_co_u32 v39, s0, v2, 2
	v_add_co_ci_u32_e64 v42, s0, 0, v37, s0
	s_delay_alu instid0(VALU_DEP_3) | instskip(SKIP_1) | instid1(VALU_DEP_2)
	v_cndmask_b32_e32 v35, v38, v35, vcc_lo
	v_add_co_u32 v38, vcc_lo, v2, 1
	v_cmp_ne_u32_e64 s0, 0, v35
	v_cndmask_b32_e64 v35, v36, v40, s1
	v_add_co_ci_u32_e32 v36, vcc_lo, 0, v37, vcc_lo
	s_delay_alu instid0(VALU_DEP_3) | instskip(NEXT) | instid1(VALU_DEP_3)
	v_cndmask_b32_e64 v38, v38, v39, s0
	v_cmp_ne_u32_e32 vcc_lo, 0, v35
	s_delay_alu instid0(VALU_DEP_3) | instskip(SKIP_1) | instid1(VALU_DEP_2)
	v_cndmask_b32_e64 v35, v36, v42, s0
	v_xor_b32_e32 v36, s94, v41
	v_dual_cndmask_b32 v2, v2, v38 :: v_dual_cndmask_b32 v35, v37, v35
	s_delay_alu instid0(VALU_DEP_1) | instskip(NEXT) | instid1(VALU_DEP_2)
	v_xor_b32_e32 v2, v2, v36
	v_xor_b32_e32 v37, v35, v36
	s_delay_alu instid0(VALU_DEP_2) | instskip(NEXT) | instid1(VALU_DEP_2)
	v_sub_co_u32 v35, vcc_lo, v2, v36
	v_sub_co_ci_u32_e32 v36, vcc_lo, v37, v36, vcc_lo
.LBB19_53:                              ;   in Loop: Header=BB19_4 Depth=1
	s_and_not1_saveexec_b32 s0, s70
	s_cbranch_execz .LBB19_55
; %bb.54:                               ;   in Loop: Header=BB19_4 Depth=1
	v_cvt_f32_u32_e32 v2, s62
	s_sub_i32 s1, 0, s62
	s_delay_alu instid0(VALU_DEP_1) | instskip(SKIP_2) | instid1(VALU_DEP_1)
	v_rcp_iflag_f32_e32 v2, v2
	s_waitcnt_depctr 0xfff
	v_mul_f32_e32 v2, 0x4f7ffffe, v2
	v_cvt_u32_f32_e32 v2, v2
	s_delay_alu instid0(VALU_DEP_1) | instskip(NEXT) | instid1(VALU_DEP_1)
	v_mul_lo_u32 v35, s1, v2
	v_mul_hi_u32 v35, v2, v35
	s_delay_alu instid0(VALU_DEP_1) | instskip(NEXT) | instid1(VALU_DEP_1)
	v_add_nc_u32_e32 v2, v2, v35
	v_mul_hi_u32 v2, v3, v2
	s_delay_alu instid0(VALU_DEP_1) | instskip(SKIP_1) | instid1(VALU_DEP_2)
	v_mul_lo_u32 v35, v2, s62
	v_add_nc_u32_e32 v36, 1, v2
	v_sub_nc_u32_e32 v35, v3, v35
	s_delay_alu instid0(VALU_DEP_1) | instskip(SKIP_1) | instid1(VALU_DEP_1)
	v_cmp_le_u32_e32 vcc_lo, s62, v35
	v_subrev_nc_u32_e32 v37, s62, v35
	v_dual_cndmask_b32 v2, v2, v36 :: v_dual_cndmask_b32 v35, v35, v37
	s_delay_alu instid0(VALU_DEP_1) | instskip(NEXT) | instid1(VALU_DEP_2)
	v_add_nc_u32_e32 v36, 1, v2
	v_cmp_le_u32_e32 vcc_lo, s62, v35
	s_delay_alu instid0(VALU_DEP_2)
	v_dual_cndmask_b32 v35, v2, v36 :: v_dual_mov_b32 v36, v1
.LBB19_55:                              ;   in Loop: Header=BB19_4 Depth=1
	s_or_b32 exec_lo, exec_lo, s0
	s_delay_alu instid0(VALU_DEP_1) | instskip(NEXT) | instid1(VALU_DEP_2)
	v_mad_u64_u32 v[37:38], null, s66, v35, v[3:4]
	v_mul_lo_u32 v2, s66, v36
	v_mul_lo_u32 v39, s67, v35
	;; [unrolled: 1-line block ×5, first 2 shown]
	s_delay_alu instid0(VALU_DEP_4) | instskip(SKIP_2) | instid1(VALU_DEP_3)
	v_add3_u32 v2, v39, v38, v2
	v_mad_u64_u32 v[38:39], null, v35, s8, 0
	v_mad_u64_u32 v[35:36], null, v37, s10, 0
	v_mul_lo_u32 v2, v2, s10
	s_delay_alu instid0(VALU_DEP_3) | instskip(NEXT) | instid1(VALU_DEP_2)
	v_add3_u32 v39, v39, v41, v40
	v_add3_u32 v36, v36, v42, v2
	s_delay_alu instid0(VALU_DEP_2) | instskip(NEXT) | instid1(VALU_DEP_2)
	v_lshlrev_b64 v[37:38], 3, v[38:39]
	v_lshlrev_b64 v[35:36], 3, v[35:36]
	s_delay_alu instid0(VALU_DEP_2) | instskip(NEXT) | instid1(VALU_DEP_3)
	v_add_co_u32 v2, vcc_lo, s34, v37
	v_add_co_ci_u32_e32 v37, vcc_lo, s35, v38, vcc_lo
	s_delay_alu instid0(VALU_DEP_2) | instskip(NEXT) | instid1(VALU_DEP_2)
	v_add_co_u32 v35, vcc_lo, v2, v35
	v_add_co_ci_u32_e32 v36, vcc_lo, v37, v36, vcc_lo
	global_load_b64 v[35:36], v[35:36], off
	s_and_not1_b32 vcc_lo, exec_lo, s96
	s_cbranch_vccnz .LBB19_63
.LBB19_56:                              ;   in Loop: Header=BB19_4 Depth=1
	v_or_b32_e32 v2, s65, v4
                                        ; implicit-def: $vgpr37_vgpr38
	s_mov_b32 s0, exec_lo
	s_delay_alu instid0(VALU_DEP_1)
	v_cmpx_ne_u64_e32 0, v[1:2]
	s_xor_b32 s70, exec_lo, s0
	s_cbranch_execz .LBB19_58
; %bb.57:                               ;   in Loop: Header=BB19_4 Depth=1
	s_ashr_i32 s94, s65, 31
	s_delay_alu instid0(SALU_CYCLE_1) | instskip(SKIP_2) | instid1(SALU_CYCLE_1)
	s_add_u32 s0, s64, s94
	s_mov_b32 s95, s94
	s_addc_u32 s1, s65, s94
	s_xor_b64 s[2:3], s[0:1], s[94:95]
	s_delay_alu instid0(SALU_CYCLE_1) | instskip(SKIP_3) | instid1(VALU_DEP_1)
	v_cvt_f32_u32_e32 v2, s2
	v_cvt_f32_u32_e32 v37, s3
	s_sub_u32 s0, 0, s2
	s_subb_u32 s1, 0, s3
	v_fmac_f32_e32 v2, 0x4f800000, v37
	s_delay_alu instid0(VALU_DEP_1) | instskip(SKIP_2) | instid1(VALU_DEP_1)
	v_rcp_f32_e32 v2, v2
	s_waitcnt_depctr 0xfff
	v_mul_f32_e32 v2, 0x5f7ffffc, v2
	v_mul_f32_e32 v37, 0x2f800000, v2
	s_delay_alu instid0(VALU_DEP_1) | instskip(NEXT) | instid1(VALU_DEP_1)
	v_trunc_f32_e32 v37, v37
	v_fmac_f32_e32 v2, 0xcf800000, v37
	v_cvt_u32_f32_e32 v37, v37
	s_delay_alu instid0(VALU_DEP_2) | instskip(NEXT) | instid1(VALU_DEP_2)
	v_cvt_u32_f32_e32 v2, v2
	v_mul_lo_u32 v38, s0, v37
	s_delay_alu instid0(VALU_DEP_2) | instskip(SKIP_1) | instid1(VALU_DEP_2)
	v_mul_hi_u32 v39, s0, v2
	v_mul_lo_u32 v40, s1, v2
	v_add_nc_u32_e32 v38, v39, v38
	v_mul_lo_u32 v39, s0, v2
	s_delay_alu instid0(VALU_DEP_2) | instskip(NEXT) | instid1(VALU_DEP_2)
	v_add_nc_u32_e32 v38, v38, v40
	v_mul_hi_u32 v40, v2, v39
	s_delay_alu instid0(VALU_DEP_2)
	v_mul_lo_u32 v41, v2, v38
	v_mul_hi_u32 v42, v2, v38
	v_mul_hi_u32 v43, v37, v39
	v_mul_lo_u32 v39, v37, v39
	v_mul_hi_u32 v44, v37, v38
	v_mul_lo_u32 v38, v37, v38
	v_add_co_u32 v40, vcc_lo, v40, v41
	v_add_co_ci_u32_e32 v41, vcc_lo, 0, v42, vcc_lo
	s_delay_alu instid0(VALU_DEP_2) | instskip(NEXT) | instid1(VALU_DEP_2)
	v_add_co_u32 v39, vcc_lo, v40, v39
	v_add_co_ci_u32_e32 v39, vcc_lo, v41, v43, vcc_lo
	v_add_co_ci_u32_e32 v40, vcc_lo, 0, v44, vcc_lo
	v_ashrrev_i32_e32 v43, 31, v4
	s_delay_alu instid0(VALU_DEP_3) | instskip(NEXT) | instid1(VALU_DEP_3)
	v_add_co_u32 v38, vcc_lo, v39, v38
	v_add_co_ci_u32_e32 v39, vcc_lo, 0, v40, vcc_lo
	s_delay_alu instid0(VALU_DEP_2) | instskip(NEXT) | instid1(VALU_DEP_2)
	v_add_co_u32 v2, vcc_lo, v2, v38
	v_add_co_ci_u32_e32 v37, vcc_lo, v37, v39, vcc_lo
	s_delay_alu instid0(VALU_DEP_2) | instskip(SKIP_1) | instid1(VALU_DEP_3)
	v_mul_hi_u32 v38, s0, v2
	v_mul_lo_u32 v40, s1, v2
	v_mul_lo_u32 v39, s0, v37
	s_delay_alu instid0(VALU_DEP_1) | instskip(SKIP_2) | instid1(VALU_DEP_3)
	v_add_nc_u32_e32 v38, v38, v39
	v_mul_lo_u32 v39, s0, v2
	v_add_co_u32 v44, s0, v3, v43
	v_add_nc_u32_e32 v38, v38, v40
	s_delay_alu instid0(VALU_DEP_2) | instskip(NEXT) | instid1(VALU_DEP_4)
	v_xor_b32_e32 v44, v44, v43
	v_mul_hi_u32 v40, v2, v39
	s_delay_alu instid0(VALU_DEP_3)
	v_mul_lo_u32 v41, v2, v38
	v_mul_hi_u32 v42, v2, v38
	v_mul_hi_u32 v45, v37, v39
	v_mul_lo_u32 v39, v37, v39
	v_mul_hi_u32 v46, v37, v38
	v_mul_lo_u32 v38, v37, v38
	v_add_co_u32 v40, vcc_lo, v40, v41
	v_add_co_ci_u32_e32 v41, vcc_lo, 0, v42, vcc_lo
	s_delay_alu instid0(VALU_DEP_2) | instskip(NEXT) | instid1(VALU_DEP_2)
	v_add_co_u32 v39, vcc_lo, v40, v39
	v_add_co_ci_u32_e32 v39, vcc_lo, v41, v45, vcc_lo
	v_add_co_ci_u32_e32 v40, vcc_lo, 0, v46, vcc_lo
	v_add_co_ci_u32_e64 v41, vcc_lo, v4, v43, s0
	s_delay_alu instid0(VALU_DEP_3) | instskip(NEXT) | instid1(VALU_DEP_3)
	v_add_co_u32 v38, vcc_lo, v39, v38
	v_add_co_ci_u32_e32 v39, vcc_lo, 0, v40, vcc_lo
	s_delay_alu instid0(VALU_DEP_3) | instskip(NEXT) | instid1(VALU_DEP_3)
	v_xor_b32_e32 v46, v41, v43
	v_add_co_u32 v2, vcc_lo, v2, v38
	s_delay_alu instid0(VALU_DEP_3) | instskip(NEXT) | instid1(VALU_DEP_2)
	v_add_co_ci_u32_e32 v45, vcc_lo, v37, v39, vcc_lo
	v_mul_hi_u32 v47, v44, v2
	s_delay_alu instid0(VALU_DEP_4) | instskip(NEXT) | instid1(VALU_DEP_3)
	v_mad_u64_u32 v[39:40], null, v46, v2, 0
	v_mad_u64_u32 v[37:38], null, v44, v45, 0
	;; [unrolled: 1-line block ×3, first 2 shown]
	s_delay_alu instid0(VALU_DEP_2) | instskip(NEXT) | instid1(VALU_DEP_3)
	v_add_co_u32 v2, vcc_lo, v47, v37
	v_add_co_ci_u32_e32 v37, vcc_lo, 0, v38, vcc_lo
	s_delay_alu instid0(VALU_DEP_2) | instskip(NEXT) | instid1(VALU_DEP_2)
	v_add_co_u32 v2, vcc_lo, v2, v39
	v_add_co_ci_u32_e32 v2, vcc_lo, v37, v40, vcc_lo
	v_add_co_ci_u32_e32 v37, vcc_lo, 0, v42, vcc_lo
	s_delay_alu instid0(VALU_DEP_2) | instskip(NEXT) | instid1(VALU_DEP_2)
	v_add_co_u32 v2, vcc_lo, v2, v41
	v_add_co_ci_u32_e32 v39, vcc_lo, 0, v37, vcc_lo
	s_delay_alu instid0(VALU_DEP_2) | instskip(SKIP_1) | instid1(VALU_DEP_3)
	v_mul_lo_u32 v40, s3, v2
	v_mad_u64_u32 v[37:38], null, s2, v2, 0
	v_mul_lo_u32 v41, s2, v39
	s_delay_alu instid0(VALU_DEP_2) | instskip(NEXT) | instid1(VALU_DEP_2)
	v_sub_co_u32 v37, vcc_lo, v44, v37
	v_add3_u32 v38, v38, v41, v40
	s_delay_alu instid0(VALU_DEP_2) | instskip(NEXT) | instid1(VALU_DEP_2)
	v_cmp_le_u32_e64 s1, s2, v37
	v_sub_nc_u32_e32 v40, v46, v38
	s_delay_alu instid0(VALU_DEP_2) | instskip(NEXT) | instid1(VALU_DEP_2)
	v_cndmask_b32_e64 v42, 0, -1, s1
	v_subrev_co_ci_u32_e64 v40, s0, s3, v40, vcc_lo
	v_sub_co_u32 v41, s0, v37, s2
	v_sub_co_ci_u32_e32 v38, vcc_lo, v46, v38, vcc_lo
	s_delay_alu instid0(VALU_DEP_3) | instskip(NEXT) | instid1(VALU_DEP_3)
	v_subrev_co_ci_u32_e64 v40, s0, 0, v40, s0
	v_cmp_le_u32_e32 vcc_lo, s2, v41
	s_delay_alu instid0(VALU_DEP_3) | instskip(SKIP_1) | instid1(VALU_DEP_4)
	v_cmp_le_u32_e64 s2, s3, v38
	v_cmp_eq_u32_e64 s1, s3, v38
	v_cmp_le_u32_e64 s0, s3, v40
	v_cndmask_b32_e64 v37, 0, -1, vcc_lo
	v_cmp_eq_u32_e32 vcc_lo, s3, v40
	v_cndmask_b32_e64 v38, 0, -1, s2
	s_delay_alu instid0(VALU_DEP_4) | instskip(SKIP_1) | instid1(VALU_DEP_1)
	v_cndmask_b32_e64 v40, 0, -1, s0
	v_add_co_u32 v41, s0, v2, 2
	v_add_co_ci_u32_e64 v44, s0, 0, v39, s0
	s_delay_alu instid0(VALU_DEP_3) | instskip(SKIP_1) | instid1(VALU_DEP_2)
	v_cndmask_b32_e32 v37, v40, v37, vcc_lo
	v_add_co_u32 v40, vcc_lo, v2, 1
	v_cmp_ne_u32_e64 s0, 0, v37
	v_cndmask_b32_e64 v37, v38, v42, s1
	v_add_co_ci_u32_e32 v38, vcc_lo, 0, v39, vcc_lo
	s_delay_alu instid0(VALU_DEP_3) | instskip(NEXT) | instid1(VALU_DEP_3)
	v_cndmask_b32_e64 v40, v40, v41, s0
	v_cmp_ne_u32_e32 vcc_lo, 0, v37
	s_delay_alu instid0(VALU_DEP_3) | instskip(SKIP_1) | instid1(VALU_DEP_2)
	v_cndmask_b32_e64 v37, v38, v44, s0
	v_xor_b32_e32 v38, s94, v43
	v_dual_cndmask_b32 v2, v2, v40 :: v_dual_cndmask_b32 v37, v39, v37
	s_delay_alu instid0(VALU_DEP_1) | instskip(NEXT) | instid1(VALU_DEP_2)
	v_xor_b32_e32 v2, v2, v38
	v_xor_b32_e32 v39, v37, v38
	s_delay_alu instid0(VALU_DEP_2) | instskip(NEXT) | instid1(VALU_DEP_2)
	v_sub_co_u32 v37, vcc_lo, v2, v38
	v_sub_co_ci_u32_e32 v38, vcc_lo, v39, v38, vcc_lo
.LBB19_58:                              ;   in Loop: Header=BB19_4 Depth=1
	s_and_not1_saveexec_b32 s0, s70
	s_cbranch_execz .LBB19_2
; %bb.59:                               ;   in Loop: Header=BB19_4 Depth=1
	v_cvt_f32_u32_e32 v2, s64
	s_sub_i32 s1, 0, s64
	s_delay_alu instid0(VALU_DEP_1) | instskip(SKIP_2) | instid1(VALU_DEP_1)
	v_rcp_iflag_f32_e32 v2, v2
	s_waitcnt_depctr 0xfff
	v_mul_f32_e32 v2, 0x4f7ffffe, v2
	v_cvt_u32_f32_e32 v2, v2
	s_delay_alu instid0(VALU_DEP_1) | instskip(NEXT) | instid1(VALU_DEP_1)
	v_mul_lo_u32 v37, s1, v2
	v_mul_hi_u32 v37, v2, v37
	s_delay_alu instid0(VALU_DEP_1) | instskip(NEXT) | instid1(VALU_DEP_1)
	v_add_nc_u32_e32 v2, v2, v37
	v_mul_hi_u32 v2, v3, v2
	s_delay_alu instid0(VALU_DEP_1) | instskip(SKIP_1) | instid1(VALU_DEP_2)
	v_mul_lo_u32 v37, v2, s64
	v_add_nc_u32_e32 v38, 1, v2
	v_sub_nc_u32_e32 v37, v3, v37
	s_delay_alu instid0(VALU_DEP_1) | instskip(SKIP_1) | instid1(VALU_DEP_1)
	v_cmp_le_u32_e32 vcc_lo, s64, v37
	v_subrev_nc_u32_e32 v39, s64, v37
	v_dual_cndmask_b32 v2, v2, v38 :: v_dual_cndmask_b32 v37, v37, v39
	s_delay_alu instid0(VALU_DEP_1) | instskip(NEXT) | instid1(VALU_DEP_2)
	v_add_nc_u32_e32 v38, 1, v2
	v_cmp_le_u32_e32 vcc_lo, s64, v37
	s_delay_alu instid0(VALU_DEP_2)
	v_dual_cndmask_b32 v37, v2, v38 :: v_dual_mov_b32 v38, v1
	s_branch .LBB19_2
.LBB19_60:                              ;   in Loop: Header=BB19_4 Depth=1
	s_ashr_i32 s94, s61, 31
	s_delay_alu instid0(SALU_CYCLE_1) | instskip(SKIP_2) | instid1(SALU_CYCLE_1)
	s_add_u32 s0, s60, s94
	s_mov_b32 s95, s94
	s_addc_u32 s1, s61, s94
	s_xor_b64 s[2:3], s[0:1], s[94:95]
	s_delay_alu instid0(SALU_CYCLE_1) | instskip(SKIP_3) | instid1(VALU_DEP_1)
	v_cvt_f32_u32_e32 v2, s2
	v_cvt_f32_u32_e32 v31, s3
	s_sub_u32 s0, 0, s2
	s_subb_u32 s1, 0, s3
	v_fmac_f32_e32 v2, 0x4f800000, v31
	s_delay_alu instid0(VALU_DEP_1) | instskip(SKIP_2) | instid1(VALU_DEP_1)
	v_rcp_f32_e32 v2, v2
	s_waitcnt_depctr 0xfff
	v_mul_f32_e32 v2, 0x5f7ffffc, v2
	v_mul_f32_e32 v31, 0x2f800000, v2
	s_delay_alu instid0(VALU_DEP_1) | instskip(NEXT) | instid1(VALU_DEP_1)
	v_trunc_f32_e32 v31, v31
	v_fmac_f32_e32 v2, 0xcf800000, v31
	v_cvt_u32_f32_e32 v31, v31
	s_delay_alu instid0(VALU_DEP_2) | instskip(NEXT) | instid1(VALU_DEP_2)
	v_cvt_u32_f32_e32 v2, v2
	v_mul_lo_u32 v32, s0, v31
	s_delay_alu instid0(VALU_DEP_2) | instskip(SKIP_1) | instid1(VALU_DEP_2)
	v_mul_hi_u32 v35, s0, v2
	v_mul_lo_u32 v36, s1, v2
	v_add_nc_u32_e32 v32, v35, v32
	v_mul_lo_u32 v35, s0, v2
	s_delay_alu instid0(VALU_DEP_2) | instskip(NEXT) | instid1(VALU_DEP_2)
	v_add_nc_u32_e32 v32, v32, v36
	v_mul_hi_u32 v36, v2, v35
	s_delay_alu instid0(VALU_DEP_2)
	v_mul_lo_u32 v37, v2, v32
	v_mul_hi_u32 v38, v2, v32
	v_mul_hi_u32 v39, v31, v35
	v_mul_lo_u32 v35, v31, v35
	v_mul_hi_u32 v40, v31, v32
	v_mul_lo_u32 v32, v31, v32
	v_add_co_u32 v36, vcc_lo, v36, v37
	v_add_co_ci_u32_e32 v37, vcc_lo, 0, v38, vcc_lo
	s_delay_alu instid0(VALU_DEP_2) | instskip(NEXT) | instid1(VALU_DEP_2)
	v_add_co_u32 v35, vcc_lo, v36, v35
	v_add_co_ci_u32_e32 v35, vcc_lo, v37, v39, vcc_lo
	v_add_co_ci_u32_e32 v36, vcc_lo, 0, v40, vcc_lo
	v_ashrrev_i32_e32 v39, 31, v4
	s_delay_alu instid0(VALU_DEP_3) | instskip(NEXT) | instid1(VALU_DEP_3)
	v_add_co_u32 v32, vcc_lo, v35, v32
	v_add_co_ci_u32_e32 v35, vcc_lo, 0, v36, vcc_lo
	s_delay_alu instid0(VALU_DEP_2) | instskip(NEXT) | instid1(VALU_DEP_2)
	v_add_co_u32 v2, vcc_lo, v2, v32
	v_add_co_ci_u32_e32 v31, vcc_lo, v31, v35, vcc_lo
	s_delay_alu instid0(VALU_DEP_2) | instskip(SKIP_1) | instid1(VALU_DEP_3)
	v_mul_hi_u32 v32, s0, v2
	v_mul_lo_u32 v36, s1, v2
	v_mul_lo_u32 v35, s0, v31
	s_delay_alu instid0(VALU_DEP_1) | instskip(SKIP_2) | instid1(VALU_DEP_3)
	v_add_nc_u32_e32 v32, v32, v35
	v_mul_lo_u32 v35, s0, v2
	v_add_co_u32 v40, s0, v3, v39
	v_add_nc_u32_e32 v32, v32, v36
	s_delay_alu instid0(VALU_DEP_2) | instskip(NEXT) | instid1(VALU_DEP_4)
	v_xor_b32_e32 v40, v40, v39
	v_mul_hi_u32 v36, v2, v35
	s_delay_alu instid0(VALU_DEP_3)
	v_mul_lo_u32 v37, v2, v32
	v_mul_hi_u32 v38, v2, v32
	v_mul_hi_u32 v41, v31, v35
	v_mul_lo_u32 v35, v31, v35
	v_mul_hi_u32 v42, v31, v32
	v_mul_lo_u32 v32, v31, v32
	v_add_co_u32 v36, vcc_lo, v36, v37
	v_add_co_ci_u32_e32 v37, vcc_lo, 0, v38, vcc_lo
	s_delay_alu instid0(VALU_DEP_2) | instskip(NEXT) | instid1(VALU_DEP_2)
	v_add_co_u32 v35, vcc_lo, v36, v35
	v_add_co_ci_u32_e32 v35, vcc_lo, v37, v41, vcc_lo
	v_add_co_ci_u32_e32 v36, vcc_lo, 0, v42, vcc_lo
	v_add_co_ci_u32_e64 v37, vcc_lo, v4, v39, s0
	s_delay_alu instid0(VALU_DEP_3) | instskip(NEXT) | instid1(VALU_DEP_3)
	v_add_co_u32 v32, vcc_lo, v35, v32
	v_add_co_ci_u32_e32 v35, vcc_lo, 0, v36, vcc_lo
	s_delay_alu instid0(VALU_DEP_3) | instskip(NEXT) | instid1(VALU_DEP_3)
	v_xor_b32_e32 v42, v37, v39
	v_add_co_u32 v2, vcc_lo, v2, v32
	s_delay_alu instid0(VALU_DEP_3) | instskip(NEXT) | instid1(VALU_DEP_2)
	v_add_co_ci_u32_e32 v41, vcc_lo, v31, v35, vcc_lo
	v_mul_hi_u32 v43, v40, v2
	s_delay_alu instid0(VALU_DEP_4) | instskip(NEXT) | instid1(VALU_DEP_3)
	v_mad_u64_u32 v[35:36], null, v42, v2, 0
	v_mad_u64_u32 v[31:32], null, v40, v41, 0
	v_mad_u64_u32 v[37:38], null, v42, v41, 0
	s_delay_alu instid0(VALU_DEP_2) | instskip(NEXT) | instid1(VALU_DEP_3)
	v_add_co_u32 v2, vcc_lo, v43, v31
	v_add_co_ci_u32_e32 v31, vcc_lo, 0, v32, vcc_lo
	s_delay_alu instid0(VALU_DEP_2) | instskip(NEXT) | instid1(VALU_DEP_2)
	v_add_co_u32 v2, vcc_lo, v2, v35
	v_add_co_ci_u32_e32 v2, vcc_lo, v31, v36, vcc_lo
	v_add_co_ci_u32_e32 v31, vcc_lo, 0, v38, vcc_lo
	s_delay_alu instid0(VALU_DEP_2) | instskip(NEXT) | instid1(VALU_DEP_2)
	v_add_co_u32 v2, vcc_lo, v2, v37
	v_add_co_ci_u32_e32 v35, vcc_lo, 0, v31, vcc_lo
	s_delay_alu instid0(VALU_DEP_2) | instskip(SKIP_1) | instid1(VALU_DEP_3)
	v_mul_lo_u32 v36, s3, v2
	v_mad_u64_u32 v[31:32], null, s2, v2, 0
	v_mul_lo_u32 v37, s2, v35
	s_delay_alu instid0(VALU_DEP_2) | instskip(NEXT) | instid1(VALU_DEP_2)
	v_sub_co_u32 v31, vcc_lo, v40, v31
	v_add3_u32 v32, v32, v37, v36
	s_delay_alu instid0(VALU_DEP_2) | instskip(NEXT) | instid1(VALU_DEP_2)
	v_cmp_le_u32_e64 s1, s2, v31
	v_sub_nc_u32_e32 v36, v42, v32
	s_delay_alu instid0(VALU_DEP_2) | instskip(NEXT) | instid1(VALU_DEP_2)
	v_cndmask_b32_e64 v38, 0, -1, s1
	v_subrev_co_ci_u32_e64 v36, s0, s3, v36, vcc_lo
	v_sub_co_u32 v37, s0, v31, s2
	v_sub_co_ci_u32_e32 v32, vcc_lo, v42, v32, vcc_lo
	s_delay_alu instid0(VALU_DEP_3) | instskip(NEXT) | instid1(VALU_DEP_3)
	v_subrev_co_ci_u32_e64 v36, s0, 0, v36, s0
	v_cmp_le_u32_e32 vcc_lo, s2, v37
	s_delay_alu instid0(VALU_DEP_3) | instskip(SKIP_1) | instid1(VALU_DEP_4)
	v_cmp_le_u32_e64 s2, s3, v32
	v_cmp_eq_u32_e64 s1, s3, v32
	v_cmp_le_u32_e64 s0, s3, v36
	v_cndmask_b32_e64 v31, 0, -1, vcc_lo
	v_cmp_eq_u32_e32 vcc_lo, s3, v36
	v_cndmask_b32_e64 v32, 0, -1, s2
	s_delay_alu instid0(VALU_DEP_4) | instskip(SKIP_1) | instid1(VALU_DEP_1)
	v_cndmask_b32_e64 v36, 0, -1, s0
	v_add_co_u32 v37, s0, v2, 2
	v_add_co_ci_u32_e64 v40, s0, 0, v35, s0
	s_delay_alu instid0(VALU_DEP_3) | instskip(SKIP_1) | instid1(VALU_DEP_2)
	v_cndmask_b32_e32 v31, v36, v31, vcc_lo
	v_add_co_u32 v36, vcc_lo, v2, 1
	v_cmp_ne_u32_e64 s0, 0, v31
	v_cndmask_b32_e64 v31, v32, v38, s1
	v_add_co_ci_u32_e32 v32, vcc_lo, 0, v35, vcc_lo
	s_delay_alu instid0(VALU_DEP_3) | instskip(NEXT) | instid1(VALU_DEP_3)
	v_cndmask_b32_e64 v36, v36, v37, s0
	v_cmp_ne_u32_e32 vcc_lo, 0, v31
	s_delay_alu instid0(VALU_DEP_3) | instskip(SKIP_1) | instid1(VALU_DEP_2)
	v_cndmask_b32_e64 v31, v32, v40, s0
	v_xor_b32_e32 v32, s94, v39
	v_dual_cndmask_b32 v2, v2, v36 :: v_dual_cndmask_b32 v31, v35, v31
	s_delay_alu instid0(VALU_DEP_1) | instskip(NEXT) | instid1(VALU_DEP_2)
	v_xor_b32_e32 v2, v2, v32
	v_xor_b32_e32 v35, v31, v32
	s_delay_alu instid0(VALU_DEP_2) | instskip(NEXT) | instid1(VALU_DEP_2)
	v_sub_co_u32 v31, vcc_lo, v2, v32
	v_sub_co_ci_u32_e32 v32, vcc_lo, v35, v32, vcc_lo
	s_and_not1_saveexec_b32 s0, s70
	s_cbranch_execz .LBB19_50
.LBB19_61:                              ;   in Loop: Header=BB19_4 Depth=1
	v_cvt_f32_u32_e32 v2, s60
	s_sub_i32 s1, 0, s60
	s_delay_alu instid0(VALU_DEP_1) | instskip(SKIP_2) | instid1(VALU_DEP_1)
	v_rcp_iflag_f32_e32 v2, v2
	s_waitcnt_depctr 0xfff
	v_mul_f32_e32 v2, 0x4f7ffffe, v2
	v_cvt_u32_f32_e32 v2, v2
	s_delay_alu instid0(VALU_DEP_1) | instskip(NEXT) | instid1(VALU_DEP_1)
	v_mul_lo_u32 v31, s1, v2
	v_mul_hi_u32 v31, v2, v31
	s_delay_alu instid0(VALU_DEP_1) | instskip(NEXT) | instid1(VALU_DEP_1)
	v_add_nc_u32_e32 v2, v2, v31
	v_mul_hi_u32 v2, v3, v2
	s_delay_alu instid0(VALU_DEP_1) | instskip(SKIP_1) | instid1(VALU_DEP_2)
	v_mul_lo_u32 v31, v2, s60
	v_add_nc_u32_e32 v32, 1, v2
	v_sub_nc_u32_e32 v31, v3, v31
	s_delay_alu instid0(VALU_DEP_1) | instskip(SKIP_1) | instid1(VALU_DEP_1)
	v_cmp_le_u32_e32 vcc_lo, s60, v31
	v_subrev_nc_u32_e32 v35, s60, v31
	v_dual_cndmask_b32 v2, v2, v32 :: v_dual_cndmask_b32 v31, v31, v35
	s_delay_alu instid0(VALU_DEP_1) | instskip(NEXT) | instid1(VALU_DEP_2)
	v_add_nc_u32_e32 v32, 1, v2
	v_cmp_le_u32_e32 vcc_lo, s60, v31
	s_delay_alu instid0(VALU_DEP_2) | instskip(SKIP_1) | instid1(SALU_CYCLE_1)
	v_dual_cndmask_b32 v31, v2, v32 :: v_dual_mov_b32 v32, v1
	s_or_b32 exec_lo, exec_lo, s0
	s_and_not1_b32 vcc_lo, exec_lo, s33
	s_cbranch_vccz .LBB19_51
.LBB19_62:                              ;   in Loop: Header=BB19_4 Depth=1
	v_mov_b32_e32 v35, 0
	v_mov_b32_e32 v36, 0
	s_and_not1_b32 vcc_lo, exec_lo, s96
	s_cbranch_vccz .LBB19_56
.LBB19_63:                              ;   in Loop: Header=BB19_4 Depth=1
	v_mov_b32_e32 v37, 0
	v_mov_b32_e32 v38, 0
	s_branch .LBB19_3
.LBB19_64:
	s_nop 0
	s_sendmsg sendmsg(MSG_DEALLOC_VGPRS)
	s_endpgm
	.section	.rodata,"a",@progbits
	.p2align	6, 0x0
	.amdhsa_kernel _ZN2at6native12_GLOBAL__N_16kernel18lstm_cell_backwardIddlLi2EEEvNS_4cuda6detail10TensorInfoIT_T1_EES9_S9_S9_S9_S9_S9_S8_S8_
		.amdhsa_group_segment_fixed_size 0
		.amdhsa_private_segment_fixed_size 0
		.amdhsa_kernarg_size 3184
		.amdhsa_user_sgpr_count 15
		.amdhsa_user_sgpr_dispatch_ptr 0
		.amdhsa_user_sgpr_queue_ptr 0
		.amdhsa_user_sgpr_kernarg_segment_ptr 1
		.amdhsa_user_sgpr_dispatch_id 0
		.amdhsa_user_sgpr_private_segment_size 0
		.amdhsa_wavefront_size32 1
		.amdhsa_uses_dynamic_stack 0
		.amdhsa_enable_private_segment 0
		.amdhsa_system_sgpr_workgroup_id_x 1
		.amdhsa_system_sgpr_workgroup_id_y 0
		.amdhsa_system_sgpr_workgroup_id_z 0
		.amdhsa_system_sgpr_workgroup_info 0
		.amdhsa_system_vgpr_workitem_id 0
		.amdhsa_next_free_vgpr 59
		.amdhsa_next_free_sgpr 105
		.amdhsa_reserve_vcc 1
		.amdhsa_float_round_mode_32 0
		.amdhsa_float_round_mode_16_64 0
		.amdhsa_float_denorm_mode_32 3
		.amdhsa_float_denorm_mode_16_64 3
		.amdhsa_dx10_clamp 1
		.amdhsa_ieee_mode 1
		.amdhsa_fp16_overflow 0
		.amdhsa_workgroup_processor_mode 1
		.amdhsa_memory_ordered 1
		.amdhsa_forward_progress 0
		.amdhsa_shared_vgpr_count 0
		.amdhsa_exception_fp_ieee_invalid_op 0
		.amdhsa_exception_fp_denorm_src 0
		.amdhsa_exception_fp_ieee_div_zero 0
		.amdhsa_exception_fp_ieee_overflow 0
		.amdhsa_exception_fp_ieee_underflow 0
		.amdhsa_exception_fp_ieee_inexact 0
		.amdhsa_exception_int_div_zero 0
	.end_amdhsa_kernel
	.section	.text._ZN2at6native12_GLOBAL__N_16kernel18lstm_cell_backwardIddlLi2EEEvNS_4cuda6detail10TensorInfoIT_T1_EES9_S9_S9_S9_S9_S9_S8_S8_,"axG",@progbits,_ZN2at6native12_GLOBAL__N_16kernel18lstm_cell_backwardIddlLi2EEEvNS_4cuda6detail10TensorInfoIT_T1_EES9_S9_S9_S9_S9_S9_S8_S8_,comdat
.Lfunc_end19:
	.size	_ZN2at6native12_GLOBAL__N_16kernel18lstm_cell_backwardIddlLi2EEEvNS_4cuda6detail10TensorInfoIT_T1_EES9_S9_S9_S9_S9_S9_S8_S8_, .Lfunc_end19-_ZN2at6native12_GLOBAL__N_16kernel18lstm_cell_backwardIddlLi2EEEvNS_4cuda6detail10TensorInfoIT_T1_EES9_S9_S9_S9_S9_S9_S8_S8_
                                        ; -- End function
	.section	.AMDGPU.csdata,"",@progbits
; Kernel info:
; codeLenInByte = 19340
; NumSgprs: 107
; NumVgprs: 59
; ScratchSize: 0
; MemoryBound: 0
; FloatMode: 240
; IeeeMode: 1
; LDSByteSize: 0 bytes/workgroup (compile time only)
; SGPRBlocks: 13
; VGPRBlocks: 7
; NumSGPRsForWavesPerEU: 107
; NumVGPRsForWavesPerEU: 59
; Occupancy: 16
; WaveLimiterHint : 1
; COMPUTE_PGM_RSRC2:SCRATCH_EN: 0
; COMPUTE_PGM_RSRC2:USER_SGPR: 15
; COMPUTE_PGM_RSRC2:TRAP_HANDLER: 0
; COMPUTE_PGM_RSRC2:TGID_X_EN: 1
; COMPUTE_PGM_RSRC2:TGID_Y_EN: 0
; COMPUTE_PGM_RSRC2:TGID_Z_EN: 0
; COMPUTE_PGM_RSRC2:TIDIG_COMP_CNT: 0
	.section	.text._ZN2at6native12_GLOBAL__N_16kernel18lstm_cell_backwardIffiLi1EEEvNS_4cuda6detail10TensorInfoIT_T1_EES9_S9_S9_S9_S9_S9_S8_S8_,"axG",@progbits,_ZN2at6native12_GLOBAL__N_16kernel18lstm_cell_backwardIffiLi1EEEvNS_4cuda6detail10TensorInfoIT_T1_EES9_S9_S9_S9_S9_S9_S8_S8_,comdat
	.globl	_ZN2at6native12_GLOBAL__N_16kernel18lstm_cell_backwardIffiLi1EEEvNS_4cuda6detail10TensorInfoIT_T1_EES9_S9_S9_S9_S9_S9_S8_S8_ ; -- Begin function _ZN2at6native12_GLOBAL__N_16kernel18lstm_cell_backwardIffiLi1EEEvNS_4cuda6detail10TensorInfoIT_T1_EES9_S9_S9_S9_S9_S9_S8_S8_
	.p2align	8
	.type	_ZN2at6native12_GLOBAL__N_16kernel18lstm_cell_backwardIffiLi1EEEvNS_4cuda6detail10TensorInfoIT_T1_EES9_S9_S9_S9_S9_S9_S8_S8_,@function
_ZN2at6native12_GLOBAL__N_16kernel18lstm_cell_backwardIffiLi1EEEvNS_4cuda6detail10TensorInfoIT_T1_EES9_S9_S9_S9_S9_S9_S8_S8_: ; @_ZN2at6native12_GLOBAL__N_16kernel18lstm_cell_backwardIffiLi1EEEvNS_4cuda6detail10TensorInfoIT_T1_EES9_S9_S9_S9_S9_S9_S8_S8_
; %bb.0:
	s_clause 0x1
	s_load_b32 s4, s[0:1], 0x5fc
	s_load_b64 s[2:3], s[0:1], 0x5e8
	s_add_u32 s8, s0, 0x5f0
	s_addc_u32 s9, s1, 0
	s_waitcnt lgkmcnt(0)
	s_and_b32 s23, s4, 0xffff
	s_mov_b32 s4, exec_lo
	v_mad_u64_u32 v[1:2], null, s15, s23, v[0:1]
	s_delay_alu instid0(VALU_DEP_1)
	v_cmpx_gt_i32_e64 s3, v1
	s_cbranch_execz .LBB20_11
; %bb.1:
	s_clause 0x4
	s_load_b64 s[4:5], s[0:1], 0x360
	s_load_b64 s[6:7], s[0:1], 0x438
	s_load_b32 s28, s[0:1], 0x3cc
	s_load_b32 s29, s[0:1], 0x4a4
	;; [unrolled: 1-line block ×4, first 2 shown]
	s_clause 0x4
	s_load_b32 s26, s[0:1], 0x2f4
	s_load_b32 s27, s[0:1], 0x57c
	s_load_b64 s[8:9], s[0:1], 0x1b0
	s_load_b64 s[10:11], s[0:1], 0x288
	;; [unrolled: 1-line block ×3, first 2 shown]
	s_mul_i32 s22, s2, 3
	s_mov_b32 s30, 0xbbbac73d
	s_waitcnt lgkmcnt(0)
	s_cmp_lg_u64 s[4:5], 0
	v_mul_lo_u32 v2, v1, s24
	s_cselect_b32 s18, -1, 0
	s_cmp_lg_u64 s[6:7], 0
	v_mul_lo_u32 v4, v1, s26
	s_cselect_b32 s19, -1, 0
	s_abs_i32 s20, s2
	v_mul_lo_u32 v6, v1, s27
	v_cvt_f32_u32_e32 v0, s20
	s_sub_i32 s14, 0, s20
	v_mul_lo_u32 v8, v1, s28
	v_mul_lo_u32 v10, v1, s29
	s_mul_i32 s23, s25, s23
	v_rcp_iflag_f32_e32 v0, v0
	s_mul_i32 s24, s23, s24
	s_mul_i32 s25, s23, s26
	;; [unrolled: 1-line block ×3, first 2 shown]
	s_ashr_i32 s27, s2, 31
	s_mul_i32 s28, s23, s28
	s_mul_i32 s29, s23, s29
	s_waitcnt_depctr 0xfff
	v_mul_f32_e32 v0, 0x4f7ffffe, v0
	s_delay_alu instid0(VALU_DEP_1) | instskip(NEXT) | instid1(VALU_DEP_1)
	v_cvt_u32_f32_e32 v0, v0
	v_mul_lo_u32 v3, s14, v0
	s_clause 0x3
	s_load_b64 s[14:15], s[0:1], 0x0
	s_load_b32 s21, s[0:1], 0x6c
	s_load_b64 s[16:17], s[0:1], 0xd8
	s_load_b32 s0, s[0:1], 0x144
	s_mov_b32 s1, 0
	s_delay_alu instid0(VALU_DEP_1) | instskip(NEXT) | instid1(VALU_DEP_1)
	v_mul_hi_u32 v3, v0, v3
	v_add_nc_u32_e32 v0, v0, v3
	s_branch .LBB20_3
.LBB20_2:                               ;   in Loop: Header=BB20_3 Depth=1
	s_or_b32 exec_lo, exec_lo, s31
	v_mul_lo_u32 v12, v12, s0
	v_mul_lo_u32 v20, v7, s0
	v_mul_lo_u32 v22, v15, s0
	v_mul_lo_u32 v24, v13, s0
	v_ashrrev_i32_e32 v7, 31, v6
	v_bfi_b32 v15, 0x7fffffff, v19, v18
	v_add_nc_u32_e32 v1, s23, v1
	v_add_nc_u32_e32 v8, s28, v8
	v_ashrrev_i32_e32 v13, 31, v12
	v_ashrrev_i32_e32 v21, 31, v20
	;; [unrolled: 1-line block ×3, first 2 shown]
	v_fma_f32 v26, -v15, v15, 1.0
	v_ashrrev_i32_e32 v25, 31, v24
	v_lshlrev_b64 v[12:13], 2, v[12:13]
	v_lshlrev_b64 v[20:21], 2, v[20:21]
	;; [unrolled: 1-line block ×3, first 2 shown]
	v_add_nc_u32_e32 v4, s25, v4
	v_lshlrev_b64 v[24:25], 2, v[24:25]
	v_add_nc_u32_e32 v2, s24, v2
	v_add_co_u32 v12, vcc_lo, s16, v12
	v_add_co_ci_u32_e32 v13, vcc_lo, s17, v13, vcc_lo
	v_add_co_u32 v20, vcc_lo, s16, v20
	v_add_co_ci_u32_e32 v21, vcc_lo, s17, v21, vcc_lo
	;; [unrolled: 2-line block ×3, first 2 shown]
	v_lshlrev_b64 v[22:23], 2, v[6:7]
	v_mul_f32_e32 v7, v14, v9
	v_mul_f32_e32 v9, v9, v15
	v_sub_f32_e32 v15, 1.0, v14
	v_add_co_u32 v24, vcc_lo, s16, v24
	s_waitcnt vmcnt(0)
	v_dual_fmac_f32 v11, v7, v26 :: v_dual_sub_f32 v26, 1.0, v3
	v_sub_f32_e32 v27, 1.0, v5
	v_add_co_ci_u32_e32 v25, vcc_lo, s17, v25, vcc_lo
	s_delay_alu instid0(VALU_DEP_3) | instskip(SKIP_3) | instid1(VALU_DEP_3)
	v_mul_f32_e32 v28, v3, v11
	v_mul_f32_e32 v7, v16, v11
	v_dual_mul_f32 v17, v17, v11 :: v_dual_add_nc_u32 v6, s26, v6
	v_add_co_u32 v22, vcc_lo, s12, v22
	v_dual_mul_f32 v7, v26, v7 :: v_dual_add_nc_u32 v10, s29, v10
	v_fma_f32 v16, -v16, v16, 1.0
	v_mul_f32_e32 v9, v15, v9
	v_mul_f32_e32 v17, v27, v17
	v_add_co_ci_u32_e32 v23, vcc_lo, s13, v23, vcc_lo
	v_cmp_le_i32_e32 vcc_lo, s3, v1
	v_mul_f32_e32 v3, v3, v7
	v_mul_f32_e32 v7, v16, v28
	;; [unrolled: 1-line block ×5, first 2 shown]
	s_or_b32 s1, vcc_lo, s1
	s_clause 0x3
	global_store_b32 v[12:13], v3, off
	global_store_b32 v[20:21], v5, off
	;; [unrolled: 1-line block ×5, first 2 shown]
	s_and_not1_b32 exec_lo, exec_lo, s1
	s_cbranch_execz .LBB20_11
.LBB20_3:                               ; =>This Inner Loop Header: Depth=1
	v_sub_nc_u32_e32 v3, 0, v1
	s_delay_alu instid0(VALU_DEP_1) | instskip(NEXT) | instid1(VALU_DEP_1)
	v_max_i32_e32 v3, v1, v3
	v_mul_hi_u32 v5, v3, v0
	s_delay_alu instid0(VALU_DEP_1) | instskip(NEXT) | instid1(VALU_DEP_1)
	v_mul_lo_u32 v7, v5, s20
	v_sub_nc_u32_e32 v3, v3, v7
	v_add_nc_u32_e32 v7, 1, v5
	s_delay_alu instid0(VALU_DEP_2) | instskip(SKIP_1) | instid1(VALU_DEP_3)
	v_subrev_nc_u32_e32 v9, s20, v3
	v_cmp_le_u32_e32 vcc_lo, s20, v3
	v_cndmask_b32_e32 v5, v5, v7, vcc_lo
	s_delay_alu instid0(VALU_DEP_3) | instskip(SKIP_1) | instid1(VALU_DEP_3)
	v_cndmask_b32_e32 v3, v3, v9, vcc_lo
	v_ashrrev_i32_e32 v7, 31, v1
	v_add_nc_u32_e32 v9, 1, v5
	s_delay_alu instid0(VALU_DEP_3) | instskip(NEXT) | instid1(VALU_DEP_3)
	v_cmp_le_u32_e32 vcc_lo, s20, v3
	v_xor_b32_e32 v7, s27, v7
	s_delay_alu instid0(VALU_DEP_3) | instskip(NEXT) | instid1(VALU_DEP_2)
	v_cndmask_b32_e32 v3, v5, v9, vcc_lo
	v_mul_i32_i24_e32 v5, 3, v7
	s_delay_alu instid0(VALU_DEP_2) | instskip(NEXT) | instid1(VALU_DEP_1)
	v_xor_b32_e32 v3, v3, v7
	v_lshl_add_u32 v9, v3, 1, v3
	v_sub_nc_u32_e32 v3, v3, v7
	s_delay_alu instid0(VALU_DEP_2) | instskip(NEXT) | instid1(VALU_DEP_2)
	v_sub_nc_u32_e32 v7, v9, v5
	v_mad_u64_u32 v[12:13], null, s22, v3, v[1:2]
	v_ashrrev_i32_e32 v3, 31, v2
	v_ashrrev_i32_e32 v5, 31, v4
	s_delay_alu instid0(VALU_DEP_4) | instskip(NEXT) | instid1(VALU_DEP_3)
	v_mul_lo_u32 v9, s2, v7
	v_lshlrev_b64 v[17:18], 2, v[2:3]
	v_add_nc_u32_e32 v3, 2, v7
	s_delay_alu instid0(VALU_DEP_4)
	v_lshlrev_b64 v[21:22], 2, v[4:5]
	v_add_nc_u32_e32 v5, 3, v7
	s_waitcnt lgkmcnt(0)
	v_mul_lo_u32 v19, v12, s21
	v_add3_u32 v7, v9, s2, v1
	v_mad_u64_u32 v[15:16], null, s2, v3, v[1:2]
	v_mad_u64_u32 v[13:14], null, s2, v5, v[1:2]
	s_delay_alu instid0(VALU_DEP_3)
	v_mul_lo_u32 v16, v7, s21
	v_add_co_u32 v23, vcc_lo, s8, v17
	v_add_co_ci_u32_e32 v24, vcc_lo, s9, v18, vcc_lo
	v_mul_lo_u32 v18, v15, s21
	v_ashrrev_i32_e32 v20, 31, v19
	v_mul_lo_u32 v25, v13, s21
	v_ashrrev_i32_e32 v17, 31, v16
	v_mov_b32_e32 v9, 0
	s_delay_alu instid0(VALU_DEP_4)
	v_lshlrev_b64 v[27:28], 2, v[19:20]
	v_add_co_u32 v20, vcc_lo, s10, v21
	v_ashrrev_i32_e32 v19, 31, v18
	v_lshlrev_b64 v[16:17], 2, v[16:17]
	v_ashrrev_i32_e32 v26, 31, v25
	v_add_co_ci_u32_e32 v21, vcc_lo, s11, v22, vcc_lo
	v_add_co_u32 v27, vcc_lo, s14, v27
	v_lshlrev_b64 v[18:19], 2, v[18:19]
	v_add_co_ci_u32_e32 v28, vcc_lo, s15, v28, vcc_lo
	v_lshlrev_b64 v[25:26], 2, v[25:26]
	v_add_co_u32 v29, vcc_lo, s14, v16
	v_add_co_ci_u32_e32 v30, vcc_lo, s15, v17, vcc_lo
	v_add_co_u32 v18, vcc_lo, s14, v18
	v_add_co_ci_u32_e32 v19, vcc_lo, s15, v19, vcc_lo
	;; [unrolled: 2-line block ×3, first 2 shown]
	global_load_b32 v17, v[23:24], off
	s_clause 0x3
	global_load_b32 v3, v[27:28], off
	global_load_b32 v5, v[29:30], off
	;; [unrolled: 1-line block ×5, first 2 shown]
	s_and_not1_b32 vcc_lo, exec_lo, s18
	s_cbranch_vccnz .LBB20_5
; %bb.4:                                ;   in Loop: Header=BB20_3 Depth=1
	v_ashrrev_i32_e32 v9, 31, v8
	s_delay_alu instid0(VALU_DEP_1) | instskip(NEXT) | instid1(VALU_DEP_1)
	v_lshlrev_b64 v[19:20], 2, v[8:9]
	v_add_co_u32 v19, vcc_lo, s4, v19
	s_delay_alu instid0(VALU_DEP_2)
	v_add_co_ci_u32_e32 v20, vcc_lo, s5, v20, vcc_lo
	global_load_b32 v9, v[19:20], off
.LBB20_5:                               ;   in Loop: Header=BB20_3 Depth=1
	s_and_not1_b32 vcc_lo, exec_lo, s19
	s_cbranch_vccnz .LBB20_10
; %bb.6:                                ;   in Loop: Header=BB20_3 Depth=1
	v_ashrrev_i32_e32 v11, 31, v10
	s_delay_alu instid0(VALU_DEP_1) | instskip(NEXT) | instid1(VALU_DEP_1)
	v_lshlrev_b64 v[19:20], 2, v[10:11]
	v_add_co_u32 v19, vcc_lo, s6, v19
	s_delay_alu instid0(VALU_DEP_2) | instskip(SKIP_3) | instid1(VALU_DEP_1)
	v_add_co_ci_u32_e32 v20, vcc_lo, s7, v20, vcc_lo
	global_load_b32 v11, v[19:20], off
	s_waitcnt vmcnt(1)
	v_cmp_ngt_f32_e64 s31, 0x3f200000, |v18|
                                        ; implicit-def: $vgpr19
	s_and_saveexec_b32 s33, s31
	s_delay_alu instid0(SALU_CYCLE_1)
	s_xor_b32 s31, exec_lo, s33
	s_cbranch_execz .LBB20_8
.LBB20_7:                               ;   in Loop: Header=BB20_3 Depth=1
	v_add_f32_e64 v19, |v18|, |v18|
	s_delay_alu instid0(VALU_DEP_1) | instskip(SKIP_1) | instid1(VALU_DEP_2)
	v_mul_f32_e32 v20, 0x3fb8aa3b, v19
	v_cmp_ngt_f32_e32 vcc_lo, 0xc2ce8ed0, v19
	v_rndne_f32_e32 v21, v20
	v_fma_f32 v22, 0x3fb8aa3b, v19, -v20
	s_delay_alu instid0(VALU_DEP_2) | instskip(NEXT) | instid1(VALU_DEP_2)
	v_sub_f32_e32 v20, v20, v21
	v_fmac_f32_e32 v22, 0x32a5705f, v19
	v_cvt_i32_f32_e32 v21, v21
	s_delay_alu instid0(VALU_DEP_2) | instskip(NEXT) | instid1(VALU_DEP_1)
	v_add_f32_e32 v20, v20, v22
	v_exp_f32_e32 v20, v20
	s_waitcnt_depctr 0xfff
	v_ldexp_f32 v20, v20, v21
	s_delay_alu instid0(VALU_DEP_1) | instskip(SKIP_1) | instid1(VALU_DEP_2)
	v_cndmask_b32_e32 v20, 0, v20, vcc_lo
	v_cmp_nlt_f32_e32 vcc_lo, 0x42b17218, v19
	v_cndmask_b32_e32 v19, 0x7f800000, v20, vcc_lo
	s_delay_alu instid0(VALU_DEP_1) | instskip(NEXT) | instid1(VALU_DEP_1)
	v_add_f32_e32 v19, 1.0, v19
	v_rcp_f32_e32 v19, v19
	s_waitcnt_depctr 0xfff
	v_fma_f32 v19, v19, -2.0, 1.0
.LBB20_8:                               ;   in Loop: Header=BB20_3 Depth=1
	s_and_not1_saveexec_b32 s31, s31
	s_cbranch_execz .LBB20_2
; %bb.9:                                ;   in Loop: Header=BB20_3 Depth=1
	v_mul_f32_e32 v19, v18, v18
	s_delay_alu instid0(VALU_DEP_1) | instskip(NEXT) | instid1(VALU_DEP_1)
	v_fmaak_f32 v20, s30, v19, 0x3ca908c9
	v_fmaak_f32 v20, v19, v20, 0xbd5c1c4e
	s_delay_alu instid0(VALU_DEP_1) | instskip(NEXT) | instid1(VALU_DEP_1)
	v_fmaak_f32 v20, v19, v20, 0x3e088382
	v_fmaak_f32 v20, v19, v20, 0xbeaaaa99
	s_delay_alu instid0(VALU_DEP_1) | instskip(NEXT) | instid1(VALU_DEP_1)
	v_mul_f32_e64 v20, |v18|, v20
	v_fma_f32 v19, v19, v20, |v18|
	s_branch .LBB20_2
.LBB20_10:                              ;   in Loop: Header=BB20_3 Depth=1
	v_mov_b32_e32 v11, 0
	s_waitcnt vmcnt(0)
	v_cmp_ngt_f32_e64 s31, 0x3f200000, |v18|
                                        ; implicit-def: $vgpr19
	s_delay_alu instid0(VALU_DEP_1) | instskip(NEXT) | instid1(SALU_CYCLE_1)
	s_and_saveexec_b32 s33, s31
	s_xor_b32 s31, exec_lo, s33
	s_cbranch_execz .LBB20_8
	s_branch .LBB20_7
.LBB20_11:
	s_nop 0
	s_sendmsg sendmsg(MSG_DEALLOC_VGPRS)
	s_endpgm
	.section	.rodata,"a",@progbits
	.p2align	6, 0x0
	.amdhsa_kernel _ZN2at6native12_GLOBAL__N_16kernel18lstm_cell_backwardIffiLi1EEEvNS_4cuda6detail10TensorInfoIT_T1_EES9_S9_S9_S9_S9_S9_S8_S8_
		.amdhsa_group_segment_fixed_size 0
		.amdhsa_private_segment_fixed_size 0
		.amdhsa_kernarg_size 1776
		.amdhsa_user_sgpr_count 15
		.amdhsa_user_sgpr_dispatch_ptr 0
		.amdhsa_user_sgpr_queue_ptr 0
		.amdhsa_user_sgpr_kernarg_segment_ptr 1
		.amdhsa_user_sgpr_dispatch_id 0
		.amdhsa_user_sgpr_private_segment_size 0
		.amdhsa_wavefront_size32 1
		.amdhsa_uses_dynamic_stack 0
		.amdhsa_enable_private_segment 0
		.amdhsa_system_sgpr_workgroup_id_x 1
		.amdhsa_system_sgpr_workgroup_id_y 0
		.amdhsa_system_sgpr_workgroup_id_z 0
		.amdhsa_system_sgpr_workgroup_info 0
		.amdhsa_system_vgpr_workitem_id 0
		.amdhsa_next_free_vgpr 31
		.amdhsa_next_free_sgpr 34
		.amdhsa_reserve_vcc 1
		.amdhsa_float_round_mode_32 0
		.amdhsa_float_round_mode_16_64 0
		.amdhsa_float_denorm_mode_32 3
		.amdhsa_float_denorm_mode_16_64 3
		.amdhsa_dx10_clamp 1
		.amdhsa_ieee_mode 1
		.amdhsa_fp16_overflow 0
		.amdhsa_workgroup_processor_mode 1
		.amdhsa_memory_ordered 1
		.amdhsa_forward_progress 0
		.amdhsa_shared_vgpr_count 0
		.amdhsa_exception_fp_ieee_invalid_op 0
		.amdhsa_exception_fp_denorm_src 0
		.amdhsa_exception_fp_ieee_div_zero 0
		.amdhsa_exception_fp_ieee_overflow 0
		.amdhsa_exception_fp_ieee_underflow 0
		.amdhsa_exception_fp_ieee_inexact 0
		.amdhsa_exception_int_div_zero 0
	.end_amdhsa_kernel
	.section	.text._ZN2at6native12_GLOBAL__N_16kernel18lstm_cell_backwardIffiLi1EEEvNS_4cuda6detail10TensorInfoIT_T1_EES9_S9_S9_S9_S9_S9_S8_S8_,"axG",@progbits,_ZN2at6native12_GLOBAL__N_16kernel18lstm_cell_backwardIffiLi1EEEvNS_4cuda6detail10TensorInfoIT_T1_EES9_S9_S9_S9_S9_S9_S8_S8_,comdat
.Lfunc_end20:
	.size	_ZN2at6native12_GLOBAL__N_16kernel18lstm_cell_backwardIffiLi1EEEvNS_4cuda6detail10TensorInfoIT_T1_EES9_S9_S9_S9_S9_S9_S8_S8_, .Lfunc_end20-_ZN2at6native12_GLOBAL__N_16kernel18lstm_cell_backwardIffiLi1EEEvNS_4cuda6detail10TensorInfoIT_T1_EES9_S9_S9_S9_S9_S9_S8_S8_
                                        ; -- End function
	.section	.AMDGPU.csdata,"",@progbits
; Kernel info:
; codeLenInByte = 1532
; NumSgprs: 36
; NumVgprs: 31
; ScratchSize: 0
; MemoryBound: 0
; FloatMode: 240
; IeeeMode: 1
; LDSByteSize: 0 bytes/workgroup (compile time only)
; SGPRBlocks: 4
; VGPRBlocks: 3
; NumSGPRsForWavesPerEU: 36
; NumVGPRsForWavesPerEU: 31
; Occupancy: 16
; WaveLimiterHint : 1
; COMPUTE_PGM_RSRC2:SCRATCH_EN: 0
; COMPUTE_PGM_RSRC2:USER_SGPR: 15
; COMPUTE_PGM_RSRC2:TRAP_HANDLER: 0
; COMPUTE_PGM_RSRC2:TGID_X_EN: 1
; COMPUTE_PGM_RSRC2:TGID_Y_EN: 0
; COMPUTE_PGM_RSRC2:TGID_Z_EN: 0
; COMPUTE_PGM_RSRC2:TIDIG_COMP_CNT: 0
	.section	.text._ZN2at6native12_GLOBAL__N_16kernel18lstm_cell_backwardIffiLi2EEEvNS_4cuda6detail10TensorInfoIT_T1_EES9_S9_S9_S9_S9_S9_S8_S8_,"axG",@progbits,_ZN2at6native12_GLOBAL__N_16kernel18lstm_cell_backwardIffiLi2EEEvNS_4cuda6detail10TensorInfoIT_T1_EES9_S9_S9_S9_S9_S9_S8_S8_,comdat
	.globl	_ZN2at6native12_GLOBAL__N_16kernel18lstm_cell_backwardIffiLi2EEEvNS_4cuda6detail10TensorInfoIT_T1_EES9_S9_S9_S9_S9_S9_S8_S8_ ; -- Begin function _ZN2at6native12_GLOBAL__N_16kernel18lstm_cell_backwardIffiLi2EEEvNS_4cuda6detail10TensorInfoIT_T1_EES9_S9_S9_S9_S9_S9_S8_S8_
	.p2align	8
	.type	_ZN2at6native12_GLOBAL__N_16kernel18lstm_cell_backwardIffiLi2EEEvNS_4cuda6detail10TensorInfoIT_T1_EES9_S9_S9_S9_S9_S9_S8_S8_,@function
_ZN2at6native12_GLOBAL__N_16kernel18lstm_cell_backwardIffiLi2EEEvNS_4cuda6detail10TensorInfoIT_T1_EES9_S9_S9_S9_S9_S9_S8_S8_: ; @_ZN2at6native12_GLOBAL__N_16kernel18lstm_cell_backwardIffiLi2EEEvNS_4cuda6detail10TensorInfoIT_T1_EES9_S9_S9_S9_S9_S9_S8_S8_
; %bb.0:
	s_clause 0x1
	s_load_b32 s4, s[0:1], 0x5fc
	s_load_b64 s[2:3], s[0:1], 0x5e8
	s_add_u32 s16, s0, 0x5f0
	s_addc_u32 s17, s1, 0
	s_waitcnt lgkmcnt(0)
	s_and_b32 s40, s4, 0xffff
	s_mov_b32 s4, exec_lo
	v_mad_u64_u32 v[1:2], null, s15, s40, v[0:1]
	s_delay_alu instid0(VALU_DEP_1)
	v_cmpx_gt_i32_e64 s3, v1
	s_cbranch_execz .LBB21_11
; %bb.1:
	s_clause 0x9
	s_load_b64 s[4:5], s[0:1], 0x360
	s_load_b64 s[6:7], s[0:1], 0x438
	s_load_b32 s59, s[0:1], 0x36c
	s_load_b64 s[8:9], s[0:1], 0x3cc
	s_load_b64 s[10:11], s[0:1], 0x0
	s_load_b32 s33, s[0:1], 0xc
	s_load_b32 s34, s[0:1], 0xe4
	s_load_b64 s[12:13], s[0:1], 0x144
	s_load_b64 s[14:15], s[0:1], 0x1b0
	s_load_b32 s56, s[0:1], 0x1bc
	s_load_b32 s41, s[16:17], 0x0
	s_clause 0xa
	s_load_b64 s[16:17], s[0:1], 0x21c
	s_load_b64 s[18:19], s[0:1], 0x288
	s_load_b32 s57, s[0:1], 0x294
	s_load_b32 s60, s[0:1], 0x444
	s_load_b64 s[20:21], s[0:1], 0x4a4
	s_load_b64 s[22:23], s[0:1], 0x510
	s_load_b32 s58, s[0:1], 0x51c
	s_load_b64 s[24:25], s[0:1], 0x6c
	s_load_b64 s[26:27], s[0:1], 0xd8
	;; [unrolled: 1-line block ×4, first 2 shown]
	s_mov_b32 s39, 0
	s_mul_i32 s55, s2, 3
	s_waitcnt lgkmcnt(0)
	s_cmp_lg_u64 s[4:5], 0
	s_mov_b32 s61, 0xbbbac73d
	s_cselect_b32 s35, -1, 0
	s_cmp_lg_u64 s[6:7], 0
	s_cselect_b32 s36, -1, 0
	s_abs_i32 s37, s2
	s_abs_i32 s42, s34
	v_cvt_f32_u32_e32 v0, s37
	v_cvt_f32_u32_e32 v3, s42
	s_sub_i32 s0, 0, s37
	s_abs_i32 s38, s33
	s_abs_i32 s47, s59
	v_rcp_iflag_f32_e32 v0, v0
	v_rcp_iflag_f32_e32 v3, v3
	v_cvt_f32_u32_e32 v2, s38
	v_cvt_f32_u32_e32 v9, s47
	s_abs_i32 s44, s56
	s_sub_i32 s1, 0, s38
	v_cvt_f32_u32_e32 v4, s44
	v_rcp_iflag_f32_e32 v2, v2
	s_abs_i32 s45, s57
	s_abs_i32 s46, s58
	s_waitcnt_depctr 0xfff
	v_dual_mul_f32 v0, 0x4f7ffffe, v0 :: v_dual_mul_f32 v3, 0x4f7ffffe, v3
	v_cvt_f32_u32_e32 v7, s45
	v_rcp_iflag_f32_e32 v4, v4
	s_abs_i32 s48, s60
	s_delay_alu instid0(VALU_DEP_2)
	v_cvt_u32_f32_e32 v0, v0
	v_cvt_u32_f32_e32 v3, v3
	v_rcp_iflag_f32_e32 v7, v7
	v_cvt_f32_u32_e32 v8, s46
	v_cvt_f32_u32_e32 v10, s48
	v_mul_lo_u32 v5, s0, v0
	s_sub_i32 s0, 0, s42
	s_mul_i32 s40, s41, s40
	v_mul_f32_e32 v12, 0x4f7ffffe, v4
	v_mul_lo_u32 v11, s0, v3
	v_rcp_iflag_f32_e32 v8, v8
	s_sub_i32 s0, 0, s44
	s_ashr_i32 s41, s2, 31
	v_mul_hi_u32 v5, v0, v5
	s_ashr_i32 s43, s33, 31
	s_ashr_i32 s49, s34, 31
	;; [unrolled: 1-line block ×7, first 2 shown]
	v_add_nc_u32_e32 v0, v0, v5
	v_rcp_iflag_f32_e32 v5, v9
	v_mul_f32_e32 v2, 0x4f7ffffe, v2
	v_cvt_u32_f32_e32 v9, v12
	s_sub_i32 s56, 0, s56
	s_sub_i32 s57, 0, s57
	;; [unrolled: 1-line block ×5, first 2 shown]
	s_waitcnt_depctr 0xfff
	v_mul_f32_e32 v5, 0x4f7ffffe, v5
	v_cvt_u32_f32_e32 v2, v2
	s_delay_alu instid0(VALU_DEP_2) | instskip(NEXT) | instid1(VALU_DEP_2)
	v_cvt_u32_f32_e32 v12, v5
	v_mul_lo_u32 v6, s1, v2
	s_sub_i32 s1, 0, s45
	s_delay_alu instid0(VALU_DEP_1) | instskip(NEXT) | instid1(VALU_DEP_1)
	v_mul_hi_u32 v6, v2, v6
	v_add_nc_u32_e32 v4, v2, v6
	v_mul_f32_e32 v2, 0x4f7ffffe, v7
	v_mul_hi_u32 v7, v3, v11
	v_rcp_iflag_f32_e32 v6, v10
	v_mul_lo_u32 v10, s0, v9
	s_sub_i32 s0, 0, s46
	v_cvt_u32_f32_e32 v2, v2
	s_delay_alu instid0(VALU_DEP_3) | instskip(NEXT) | instid1(VALU_DEP_2)
	v_add_nc_u32_e32 v5, v3, v7
	v_mul_lo_u32 v11, s1, v2
	s_sub_i32 s1, 0, s47
	s_waitcnt_depctr 0xfff
	v_mul_f32_e32 v6, 0x4f7ffffe, v6
	v_mul_lo_u32 v14, s1, v12
	v_mul_hi_u32 v10, v9, v10
	s_delay_alu instid0(VALU_DEP_3) | instskip(SKIP_3) | instid1(VALU_DEP_3)
	v_cvt_u32_f32_e32 v13, v6
	v_mul_hi_u32 v11, v2, v11
	v_mul_f32_e32 v8, 0x4f7ffffe, v8
	v_mul_hi_u32 v14, v12, v14
	v_add_nc_u32_e32 v7, v2, v11
	s_delay_alu instid0(VALU_DEP_3) | instskip(NEXT) | instid1(VALU_DEP_1)
	v_cvt_u32_f32_e32 v8, v8
	v_mul_lo_u32 v6, s0, v8
	s_sub_i32 s0, 0, s48
	s_delay_alu instid0(SALU_CYCLE_1) | instskip(NEXT) | instid1(VALU_DEP_2)
	v_mul_lo_u32 v15, s0, v13
	v_mul_hi_u32 v3, v8, v6
	v_add_nc_u32_e32 v6, v9, v10
	v_add_nc_u32_e32 v9, v12, v14
	s_delay_alu instid0(VALU_DEP_4) | instskip(NEXT) | instid1(VALU_DEP_4)
	v_mul_hi_u32 v10, v13, v15
	v_add_nc_u32_e32 v8, v8, v3
	s_delay_alu instid0(VALU_DEP_2)
	v_add_nc_u32_e32 v10, v13, v10
	s_branch .LBB21_3
.LBB21_2:                               ;   in Loop: Header=BB21_3 Depth=1
	s_or_b32 exec_lo, exec_lo, s0
	v_mul_hi_u32 v32, v19, v5
	v_mul_hi_u32 v33, v20, v5
	;; [unrolled: 1-line block ×5, first 2 shown]
	v_xor_b32_e32 v30, s49, v30
	v_xor_b32_e32 v29, s49, v29
	;; [unrolled: 1-line block ×3, first 2 shown]
	v_mul_lo_u32 v35, v32, s42
	v_mul_lo_u32 v39, v33, s42
	;; [unrolled: 1-line block ×5, first 2 shown]
	v_xor_b32_e32 v25, s49, v25
	v_sub_nc_u32_e32 v19, v19, v35
	v_sub_nc_u32_e32 v20, v20, v39
	;; [unrolled: 1-line block ×4, first 2 shown]
	s_delay_alu instid0(VALU_DEP_4) | instskip(SKIP_3) | instid1(VALU_DEP_4)
	v_subrev_nc_u32_e32 v45, s42, v19
	v_cmp_le_u32_e32 vcc_lo, s42, v19
	v_add_nc_u32_e32 v38, 1, v32
	v_subrev_nc_u32_e32 v39, s42, v20
	v_cndmask_b32_e32 v19, v19, v45, vcc_lo
	s_delay_alu instid0(VALU_DEP_3) | instskip(SKIP_2) | instid1(VALU_DEP_4)
	v_dual_cndmask_b32 v32, v32, v38 :: v_dual_add_nc_u32 v43, 1, v36
	v_cmp_le_u32_e32 vcc_lo, s42, v20
	v_add_nc_u32_e32 v35, 1, v34
	v_cmp_le_u32_e64 s0, s42, v19
	s_delay_alu instid0(VALU_DEP_4) | instskip(SKIP_1) | instid1(VALU_DEP_2)
	v_add_nc_u32_e32 v38, 1, v32
	v_cndmask_b32_e32 v20, v20, v39, vcc_lo
	v_cndmask_b32_e64 v19, v32, v38, s0
	v_cmp_le_u32_e64 s0, s42, v21
	s_delay_alu instid0(VALU_DEP_2) | instskip(NEXT) | instid1(VALU_DEP_2)
	v_xor_b32_e32 v19, v19, v30
	v_cndmask_b32_e64 v32, v34, v35, s0
	v_subrev_nc_u32_e32 v34, s42, v21
	v_subrev_nc_u32_e32 v35, s42, v22
	s_delay_alu instid0(VALU_DEP_4) | instskip(NEXT) | instid1(VALU_DEP_3)
	v_sub_nc_u32_e32 v19, v19, v30
	v_cndmask_b32_e64 v21, v21, v34, s0
	v_add_nc_u32_e32 v34, 1, v32
	v_add_nc_u32_e32 v40, 1, v33
	s_delay_alu instid0(VALU_DEP_4) | instskip(NEXT) | instid1(VALU_DEP_2)
	v_mul_lo_u32 v30, v19, s34
	v_cndmask_b32_e32 v33, v33, v40, vcc_lo
	v_cmp_le_u32_e32 vcc_lo, s42, v20
	s_delay_alu instid0(VALU_DEP_3) | instskip(NEXT) | instid1(VALU_DEP_3)
	v_sub_nc_u32_e32 v14, v14, v30
	v_add_nc_u32_e32 v38, 1, v33
	s_delay_alu instid0(VALU_DEP_2) | instskip(NEXT) | instid1(VALU_DEP_2)
	v_add_nc_u32_e32 v14, v1, v14
	v_cndmask_b32_e32 v20, v33, v38, vcc_lo
	v_cmp_le_u32_e32 vcc_lo, s42, v21
	v_sub_nc_u32_e32 v33, v11, v44
	s_delay_alu instid0(VALU_DEP_3) | instskip(SKIP_2) | instid1(VALU_DEP_3)
	v_xor_b32_e32 v11, v20, v29
	v_cndmask_b32_e32 v21, v32, v34, vcc_lo
	v_cmp_le_u32_e32 vcc_lo, s42, v22
	v_sub_nc_u32_e32 v29, v11, v29
	s_delay_alu instid0(VALU_DEP_3) | instskip(SKIP_2) | instid1(VALU_DEP_3)
	v_xor_b32_e32 v20, v21, v28
	v_cndmask_b32_e32 v32, v36, v43, vcc_lo
	v_cndmask_b32_e32 v21, v22, v35, vcc_lo
	v_sub_nc_u32_e32 v28, v20, v28
	s_delay_alu instid0(VALU_DEP_3) | instskip(NEXT) | instid1(VALU_DEP_3)
	v_add_nc_u32_e32 v22, 1, v32
	v_cmp_le_u32_e32 vcc_lo, s42, v21
	v_mul_lo_u32 v20, v29, s34
	v_add_nc_u32_e32 v21, 1, v37
	s_delay_alu instid0(VALU_DEP_4)
	v_cndmask_b32_e32 v11, v32, v22, vcc_lo
	v_mul_lo_u32 v22, v28, s34
	v_cmp_le_u32_e32 vcc_lo, s46, v33
	v_subrev_nc_u32_e32 v32, s46, v33
	v_sub_nc_u32_e32 v2, v2, v20
	v_xor_b32_e32 v30, v11, v25
	v_mul_lo_u32 v11, v14, s13
	v_cndmask_b32_e32 v21, v37, v21, vcc_lo
	v_sub_nc_u32_e32 v20, v13, v22
	s_delay_alu instid0(VALU_DEP_4)
	v_sub_nc_u32_e32 v25, v30, v25
	v_add_nc_u32_e32 v2, v1, v2
	v_mad_u64_u32 v[13:14], null, v19, s12, v[11:12]
	v_dual_cndmask_b32 v11, v33, v32 :: v_dual_add_nc_u32 v14, 1, v21
	v_add_nc_u32_e32 v19, v1, v20
	v_mul_lo_u32 v20, v25, s34
	v_mul_lo_u32 v2, v2, s13
	s_delay_alu instid0(VALU_DEP_4) | instskip(SKIP_4) | instid1(VALU_DEP_2)
	v_cmp_le_u32_e32 vcc_lo, s46, v11
	v_xor_b32_e32 v12, s52, v12
	v_mul_lo_u32 v11, v19, s13
	v_cndmask_b32_e32 v14, v21, v14, vcc_lo
	v_sub_nc_u32_e32 v3, v3, v20
	v_xor_b32_e32 v21, v14, v12
	s_delay_alu instid0(VALU_DEP_2) | instskip(SKIP_2) | instid1(VALU_DEP_4)
	v_mad_u64_u32 v[19:20], null, v29, s12, v[2:3]
	v_add_nc_u32_e32 v20, v1, v3
	v_mad_u64_u32 v[2:3], null, v28, s12, v[11:12]
	v_sub_nc_u32_e32 v30, v21, v12
	v_ashrrev_i32_e32 v14, 31, v13
	s_delay_alu instid0(VALU_DEP_2) | instskip(SKIP_1) | instid1(VALU_DEP_3)
	v_mad_u64_u32 v[11:12], null, s58, v30, v[1:2]
	v_mul_lo_u32 v12, v20, s13
	v_lshlrev_b64 v[13:14], 2, v[13:14]
	v_ashrrev_i32_e32 v20, 31, v19
	v_ashrrev_i32_e32 v3, 31, v2
	v_add_nc_u32_e32 v1, s40, v1
	v_mul_lo_u32 v11, v11, s31
	s_delay_alu instid0(VALU_DEP_4) | instskip(SKIP_4) | instid1(VALU_DEP_3)
	v_lshlrev_b64 v[19:20], 2, v[19:20]
	v_mad_u64_u32 v[21:22], null, v25, s12, v[12:13]
	v_add_co_u32 v12, vcc_lo, s26, v13
	v_add_co_ci_u32_e32 v13, vcc_lo, s27, v14, vcc_lo
	v_mul_f32_e32 v14, v15, v27
	v_mad_u64_u32 v[28:29], null, v30, s30, v[11:12]
	v_bfi_b32 v11, 0x7fffffff, v31, v24
	v_sub_f32_e32 v30, 1.0, v15
	v_ashrrev_i32_e32 v22, 31, v21
	v_lshlrev_b64 v[2:3], 2, v[2:3]
	v_add_co_u32 v19, vcc_lo, s26, v19
	v_ashrrev_i32_e32 v29, 31, v28
	s_delay_alu instid0(VALU_DEP_4) | instskip(SKIP_2) | instid1(VALU_DEP_4)
	v_lshlrev_b64 v[21:22], 2, v[21:22]
	v_add_co_ci_u32_e32 v20, vcc_lo, s27, v20, vcc_lo
	v_add_co_u32 v2, vcc_lo, s26, v2
	v_lshlrev_b64 v[24:25], 2, v[28:29]
	v_fma_f32 v28, -v11, v11, 1.0
	v_mul_f32_e32 v11, v27, v11
	v_sub_f32_e32 v27, 1.0, v16
	v_add_co_ci_u32_e32 v3, vcc_lo, s27, v3, vcc_lo
	v_add_co_u32 v21, vcc_lo, s26, v21
	s_delay_alu instid0(VALU_DEP_4) | instskip(SKIP_3) | instid1(VALU_DEP_3)
	v_mul_f32_e32 v11, v30, v11
	v_fmac_f32_e32 v26, v14, v28
	v_add_co_ci_u32_e32 v22, vcc_lo, s27, v22, vcc_lo
	v_add_co_u32 v24, vcc_lo, s22, v24
	v_dual_mul_f32 v11, v15, v11 :: v_dual_mul_f32 v14, v18, v26
	v_dual_mul_f32 v23, v23, v26 :: v_dual_sub_f32 v28, 1.0, v17
	v_mul_f32_e32 v29, v16, v26
	v_add_co_ci_u32_e32 v25, vcc_lo, s23, v25, vcc_lo
	s_delay_alu instid0(VALU_DEP_3) | instskip(SKIP_3) | instid1(VALU_DEP_4)
	v_dual_mul_f32 v14, v27, v14 :: v_dual_mul_f32 v23, v28, v23
	v_fma_f32 v18, -v18, v18, 1.0
	v_cmp_le_i32_e32 vcc_lo, s3, v1
	v_mul_f32_e32 v26, v17, v26
	v_mul_f32_e32 v14, v16, v14
	s_delay_alu instid0(VALU_DEP_4)
	v_dual_mul_f32 v16, v17, v23 :: v_dual_mul_f32 v17, v18, v29
	s_or_b32 s39, vcc_lo, s39
	s_clause 0x3
	global_store_b32 v[12:13], v14, off
	global_store_b32 v[19:20], v16, off
	;; [unrolled: 1-line block ×5, first 2 shown]
	s_and_not1_b32 exec_lo, exec_lo, s39
	s_cbranch_execz .LBB21_11
.LBB21_3:                               ; =>This Inner Loop Header: Depth=1
	v_sub_nc_u32_e32 v2, 0, v1
	s_delay_alu instid0(VALU_DEP_1) | instskip(NEXT) | instid1(VALU_DEP_1)
	v_max_i32_e32 v11, v1, v2
	v_mul_hi_u32 v2, v11, v0
	v_mul_hi_u32 v13, v11, v6
	;; [unrolled: 1-line block ×3, first 2 shown]
	s_delay_alu instid0(VALU_DEP_3) | instskip(NEXT) | instid1(VALU_DEP_3)
	v_mul_lo_u32 v3, v2, s37
	v_mul_lo_u32 v17, v13, s44
	s_delay_alu instid0(VALU_DEP_3) | instskip(NEXT) | instid1(VALU_DEP_3)
	v_add_nc_u32_e32 v20, 1, v15
	v_sub_nc_u32_e32 v3, v11, v3
	s_delay_alu instid0(VALU_DEP_3) | instskip(SKIP_1) | instid1(VALU_DEP_3)
	v_sub_nc_u32_e32 v17, v11, v17
	v_add_nc_u32_e32 v12, 1, v2
	v_subrev_nc_u32_e32 v14, s37, v3
	v_cmp_le_u32_e32 vcc_lo, s37, v3
	s_delay_alu instid0(VALU_DEP_2) | instskip(SKIP_1) | instid1(VALU_DEP_2)
	v_dual_cndmask_b32 v2, v2, v12 :: v_dual_cndmask_b32 v3, v3, v14
	v_ashrrev_i32_e32 v12, 31, v1
	v_cmp_le_u32_e32 vcc_lo, s37, v3
	v_mul_lo_u32 v3, v15, s45
	s_delay_alu instid0(VALU_DEP_3) | instskip(SKIP_2) | instid1(VALU_DEP_3)
	v_xor_b32_e32 v16, s41, v12
	v_xor_b32_e32 v18, s50, v12
	;; [unrolled: 1-line block ×3, first 2 shown]
	v_mul_i32_i24_e32 v19, 3, v16
	v_sub_nc_u32_e32 v21, v11, v3
	s_delay_alu instid0(VALU_DEP_1) | instskip(NEXT) | instid1(VALU_DEP_1)
	v_cmp_le_u32_e64 s0, s45, v21
	v_cndmask_b32_e64 v15, v15, v20, s0
	v_subrev_nc_u32_e32 v20, s45, v21
	s_delay_alu instid0(VALU_DEP_1) | instskip(NEXT) | instid1(VALU_DEP_3)
	v_cndmask_b32_e64 v20, v21, v20, s0
	v_add_nc_u32_e32 v21, 1, v15
	v_add_nc_u32_e32 v14, 1, v2
	s_delay_alu instid0(VALU_DEP_1) | instskip(SKIP_2) | instid1(VALU_DEP_3)
	v_cndmask_b32_e32 v2, v2, v14, vcc_lo
	v_add_nc_u32_e32 v14, 1, v13
	v_cmp_le_u32_e32 vcc_lo, s44, v17
	v_xor_b32_e32 v2, v2, v16
	s_delay_alu instid0(VALU_DEP_1) | instskip(SKIP_1) | instid1(VALU_DEP_1)
	v_sub_nc_u32_e32 v3, v2, v16
	v_lshl_add_u32 v2, v2, 1, v2
	v_sub_nc_u32_e32 v19, v2, v19
	v_cndmask_b32_e32 v16, v13, v14, vcc_lo
	s_delay_alu instid0(VALU_DEP_4) | instskip(SKIP_1) | instid1(VALU_DEP_4)
	v_mul_lo_u32 v14, s55, v3
	v_subrev_nc_u32_e32 v13, s44, v17
	v_mad_u64_u32 v[2:3], null, s2, v19, s[2:3]
	v_add_nc_u32_e32 v3, 2, v19
	v_add_nc_u32_e32 v19, 3, v19
	s_delay_alu instid0(VALU_DEP_4)
	v_cndmask_b32_e32 v17, v17, v13, vcc_lo
	v_add_nc_u32_e32 v22, v1, v14
	v_add_nc_u32_e32 v24, 1, v16
	v_mul_lo_u32 v13, s2, v3
	v_mul_lo_u32 v3, s2, v19
	v_cmp_le_u32_e32 vcc_lo, s44, v17
	v_ashrrev_i32_e32 v30, 31, v22
	v_add_nc_u32_e32 v22, v1, v2
	v_cndmask_b32_e32 v16, v16, v24, vcc_lo
	v_cmp_le_u32_e32 vcc_lo, s45, v20
	s_delay_alu instid0(VALU_DEP_3)
	v_ashrrev_i32_e32 v29, 31, v22
	v_add_nc_u32_e32 v22, v1, v13
	v_add3_u32 v19, v30, v14, v1
	v_xor_b32_e32 v16, v16, v18
	v_cndmask_b32_e32 v15, v15, v21, vcc_lo
	v_add3_u32 v24, v29, v2, v1
	v_ashrrev_i32_e32 v28, 31, v22
	v_xor_b32_e32 v19, v19, v30
	v_xor_b32_e32 v31, s43, v29
	;; [unrolled: 1-line block ×4, first 2 shown]
	v_add3_u32 v21, v28, v13, v1
	v_xor_b32_e32 v24, s43, v30
	v_xor_b32_e32 v32, s43, v28
	s_delay_alu instid0(VALU_DEP_4) | instskip(NEXT) | instid1(VALU_DEP_4)
	v_mul_hi_u32 v26, v20, v4
	v_xor_b32_e32 v21, v21, v28
	s_delay_alu instid0(VALU_DEP_1) | instskip(NEXT) | instid1(VALU_DEP_3)
	v_mul_hi_u32 v33, v21, v4
	v_mul_lo_u32 v36, v26, s38
	s_delay_alu instid0(VALU_DEP_2) | instskip(SKIP_3) | instid1(VALU_DEP_2)
	v_add_nc_u32_e32 v40, 1, v33
	v_add_nc_u32_e32 v38, 1, v26
	;; [unrolled: 1-line block ×3, first 2 shown]
	v_mul_lo_u32 v39, v33, s38
	v_ashrrev_i32_e32 v25, 31, v17
	v_mul_hi_u32 v17, v19, v4
	s_delay_alu instid0(VALU_DEP_3) | instskip(NEXT) | instid1(VALU_DEP_3)
	v_sub_nc_u32_e32 v39, v21, v39
	v_add3_u32 v22, v25, v3, v1
	v_xor_b32_e32 v34, s43, v25
	s_delay_alu instid0(VALU_DEP_4) | instskip(SKIP_1) | instid1(VALU_DEP_4)
	v_mul_lo_u32 v27, v17, s38
	v_add_nc_u32_e32 v35, 1, v17
	v_xor_b32_e32 v22, v22, v25
	s_delay_alu instid0(VALU_DEP_1) | instskip(NEXT) | instid1(VALU_DEP_4)
	v_mul_hi_u32 v37, v22, v4
	v_sub_nc_u32_e32 v27, v19, v27
	s_delay_alu instid0(VALU_DEP_1) | instskip(SKIP_1) | instid1(VALU_DEP_4)
	v_cmp_le_u32_e32 vcc_lo, s38, v27
	v_subrev_nc_u32_e32 v41, s38, v27
	v_dual_cndmask_b32 v17, v17, v35 :: v_dual_add_nc_u32 v42, 1, v37
	v_sub_nc_u32_e32 v35, v20, v36
	s_delay_alu instid0(VALU_DEP_3) | instskip(SKIP_1) | instid1(VALU_DEP_3)
	v_cndmask_b32_e32 v27, v27, v41, vcc_lo
	v_mul_lo_u32 v36, v37, s38
	v_cmp_le_u32_e32 vcc_lo, s38, v35
	s_delay_alu instid0(VALU_DEP_3) | instskip(SKIP_3) | instid1(VALU_DEP_2)
	v_cmp_le_u32_e64 s0, s38, v27
	v_cndmask_b32_e32 v26, v26, v38, vcc_lo
	v_subrev_nc_u32_e32 v38, s38, v35
	v_sub_nc_u32_e32 v36, v22, v36
	v_cndmask_b32_e32 v27, v35, v38, vcc_lo
	v_cmp_le_u32_e32 vcc_lo, s38, v39
	v_subrev_nc_u32_e32 v38, s38, v39
	v_add_nc_u32_e32 v35, 1, v26
	s_delay_alu instid0(VALU_DEP_4) | instskip(SKIP_1) | instid1(VALU_DEP_4)
	v_cmp_le_u32_e64 s1, s38, v27
	v_cndmask_b32_e32 v33, v33, v40, vcc_lo
	v_cndmask_b32_e32 v27, v39, v38, vcc_lo
	v_subrev_nc_u32_e32 v40, s38, v36
	s_delay_alu instid0(VALU_DEP_4) | instskip(NEXT) | instid1(VALU_DEP_4)
	v_cndmask_b32_e64 v26, v26, v35, s1
	v_add_nc_u32_e32 v35, 1, v33
	s_delay_alu instid0(VALU_DEP_4) | instskip(SKIP_1) | instid1(VALU_DEP_1)
	v_cmp_le_u32_e32 vcc_lo, s38, v27
	v_add_nc_u32_e32 v41, 1, v17
	v_cndmask_b32_e64 v17, v17, v41, s0
	v_cmp_le_u32_e64 s0, s38, v36
	s_delay_alu instid0(VALU_DEP_2) | instskip(NEXT) | instid1(VALU_DEP_2)
	v_xor_b32_e32 v17, v17, v24
	v_cndmask_b32_e64 v37, v37, v42, s0
	v_cndmask_b32_e64 v36, v36, v40, s0
	s_delay_alu instid0(VALU_DEP_3) | instskip(SKIP_1) | instid1(VALU_DEP_4)
	v_sub_nc_u32_e32 v39, v17, v24
	v_cndmask_b32_e32 v24, v33, v35, vcc_lo
	v_add_nc_u32_e32 v38, 1, v37
	s_delay_alu instid0(VALU_DEP_4) | instskip(SKIP_4) | instid1(VALU_DEP_4)
	v_cmp_le_u32_e32 vcc_lo, s38, v36
	v_xor_b32_e32 v17, v26, v31
	v_mul_lo_u32 v27, v39, s33
	v_sub_nc_u32_e32 v35, v15, v23
	v_cndmask_b32_e32 v26, v37, v38, vcc_lo
	v_sub_nc_u32_e32 v33, v17, v31
	v_xor_b32_e32 v17, v24, v32
	s_delay_alu instid0(VALU_DEP_3) | instskip(SKIP_1) | instid1(VALU_DEP_4)
	v_xor_b32_e32 v24, v26, v34
	v_sub_nc_u32_e32 v26, v16, v18
	v_mul_lo_u32 v18, v33, s33
	s_delay_alu instid0(VALU_DEP_4) | instskip(SKIP_3) | instid1(VALU_DEP_4)
	v_sub_nc_u32_e32 v37, v17, v32
	v_sub_nc_u32_e32 v23, v14, v27
	;; [unrolled: 1-line block ×3, first 2 shown]
	v_mad_u64_u32 v[15:16], null, s56, v26, v[1:2]
	v_mul_lo_u32 v24, v37, s33
	v_mad_u64_u32 v[16:17], null, s57, v35, v[1:2]
	s_delay_alu instid0(VALU_DEP_4) | instskip(SKIP_4) | instid1(VALU_DEP_4)
	v_mul_lo_u32 v27, v38, s33
	v_sub_nc_u32_e32 v18, v2, v18
	v_add_nc_u32_e32 v17, v1, v23
	v_mul_lo_u32 v15, v15, s17
	v_sub_nc_u32_e32 v23, v13, v24
	v_add_nc_u32_e32 v18, v1, v18
	s_delay_alu instid0(VALU_DEP_4) | instskip(SKIP_4) | instid1(VALU_DEP_4)
	v_mul_lo_u32 v17, v17, s25
	v_sub_nc_u32_e32 v24, v3, v27
	v_mul_lo_u32 v16, v16, s29
	v_add_nc_u32_e32 v31, v1, v23
	v_mul_lo_u32 v18, v18, s25
	v_add_nc_u32_e32 v32, v1, v24
	s_delay_alu instid0(VALU_DEP_4) | instskip(NEXT) | instid1(VALU_DEP_3)
	v_mad_u64_u32 v[23:24], null, v26, s16, v[15:16]
	v_mad_u64_u32 v[26:27], null, v39, s24, v[17:18]
	v_mul_lo_u32 v15, v31, s25
	s_delay_alu instid0(VALU_DEP_4) | instskip(SKIP_3) | instid1(VALU_DEP_4)
	v_mul_lo_u32 v17, v32, s25
	v_mad_u64_u32 v[31:32], null, v33, s24, v[18:19]
	v_ashrrev_i32_e32 v24, 31, v23
	v_ashrrev_i32_e32 v27, 31, v26
	v_mad_u64_u32 v[33:34], null, v35, s28, v[16:17]
	v_mad_u64_u32 v[35:36], null, v37, s24, v[15:16]
	;; [unrolled: 1-line block ×3, first 2 shown]
	v_ashrrev_i32_e32 v32, 31, v31
	v_lshlrev_b64 v[17:18], 2, v[26:27]
	v_ashrrev_i32_e32 v34, 31, v33
	v_lshlrev_b64 v[23:24], 2, v[23:24]
	;; [unrolled: 2-line block ×3, first 2 shown]
	v_ashrrev_i32_e32 v16, 31, v15
	v_add_co_u32 v17, vcc_lo, s10, v17
	s_delay_alu instid0(VALU_DEP_4) | instskip(SKIP_1) | instid1(VALU_DEP_4)
	v_lshlrev_b64 v[31:32], 2, v[35:36]
	v_add_co_ci_u32_e32 v18, vcc_lo, s11, v18, vcc_lo
	v_lshlrev_b64 v[15:16], 2, v[15:16]
	v_add_co_u32 v26, vcc_lo, s10, v26
	v_add_co_ci_u32_e32 v27, vcc_lo, s11, v27, vcc_lo
	v_add_co_u32 v31, vcc_lo, s10, v31
	v_add_co_ci_u32_e32 v32, vcc_lo, s11, v32, vcc_lo
	;; [unrolled: 2-line block ×3, first 2 shown]
	v_lshlrev_b64 v[15:16], 2, v[33:34]
	v_add_co_u32 v23, vcc_lo, s14, v23
	v_add_co_ci_u32_e32 v24, vcc_lo, s15, v24, vcc_lo
	s_delay_alu instid0(VALU_DEP_3) | instskip(NEXT) | instid1(VALU_DEP_4)
	v_add_co_u32 v33, vcc_lo, s18, v15
	v_add_co_ci_u32_e32 v34, vcc_lo, s19, v16, vcc_lo
	s_clause 0x3
	global_load_b32 v16, v[17:18], off
	global_load_b32 v17, v[26:27], off
	;; [unrolled: 1-line block ×6, first 2 shown]
	v_dual_mov_b32 v26, 0 :: v_dual_mov_b32 v27, 0
	s_and_not1_b32 vcc_lo, exec_lo, s35
	s_cbranch_vccnz .LBB21_5
; %bb.4:                                ;   in Loop: Header=BB21_3 Depth=1
	v_mul_hi_u32 v27, v11, v9
	s_delay_alu instid0(VALU_DEP_1) | instskip(NEXT) | instid1(VALU_DEP_1)
	v_mul_lo_u32 v31, v27, s47
	v_sub_nc_u32_e32 v31, v11, v31
	s_delay_alu instid0(VALU_DEP_1) | instskip(SKIP_1) | instid1(VALU_DEP_2)
	v_subrev_nc_u32_e32 v33, s47, v31
	v_cmp_le_u32_e32 vcc_lo, s47, v31
	v_dual_cndmask_b32 v31, v31, v33 :: v_dual_add_nc_u32 v32, 1, v27
	s_delay_alu instid0(VALU_DEP_1) | instskip(SKIP_1) | instid1(VALU_DEP_3)
	v_cndmask_b32_e32 v27, v27, v32, vcc_lo
	v_xor_b32_e32 v33, s53, v12
	v_cmp_le_u32_e32 vcc_lo, s47, v31
	s_delay_alu instid0(VALU_DEP_3) | instskip(NEXT) | instid1(VALU_DEP_1)
	v_add_nc_u32_e32 v32, 1, v27
	v_cndmask_b32_e32 v27, v27, v32, vcc_lo
	s_delay_alu instid0(VALU_DEP_1) | instskip(NEXT) | instid1(VALU_DEP_1)
	v_xor_b32_e32 v27, v27, v33
	v_sub_nc_u32_e32 v33, v27, v33
	s_delay_alu instid0(VALU_DEP_1) | instskip(NEXT) | instid1(VALU_DEP_1)
	v_mad_u64_u32 v[31:32], null, s59, v33, v[1:2]
	v_mul_lo_u32 v27, v31, s9
	s_delay_alu instid0(VALU_DEP_1) | instskip(NEXT) | instid1(VALU_DEP_1)
	v_mad_u64_u32 v[31:32], null, v33, s8, v[27:28]
	v_ashrrev_i32_e32 v32, 31, v31
	s_delay_alu instid0(VALU_DEP_1) | instskip(NEXT) | instid1(VALU_DEP_1)
	v_lshlrev_b64 v[31:32], 2, v[31:32]
	v_add_co_u32 v31, vcc_lo, s4, v31
	s_delay_alu instid0(VALU_DEP_2)
	v_add_co_ci_u32_e32 v32, vcc_lo, s5, v32, vcc_lo
	global_load_b32 v27, v[31:32], off
.LBB21_5:                               ;   in Loop: Header=BB21_3 Depth=1
	s_and_not1_b32 vcc_lo, exec_lo, s36
	s_cbranch_vccnz .LBB21_7
; %bb.6:                                ;   in Loop: Header=BB21_3 Depth=1
	v_mul_hi_u32 v26, v11, v10
	s_delay_alu instid0(VALU_DEP_1) | instskip(NEXT) | instid1(VALU_DEP_1)
	v_mul_lo_u32 v31, v26, s48
	v_sub_nc_u32_e32 v31, v11, v31
	s_delay_alu instid0(VALU_DEP_1) | instskip(SKIP_1) | instid1(VALU_DEP_2)
	v_subrev_nc_u32_e32 v33, s48, v31
	v_cmp_le_u32_e32 vcc_lo, s48, v31
	v_dual_cndmask_b32 v31, v31, v33 :: v_dual_add_nc_u32 v32, 1, v26
	s_delay_alu instid0(VALU_DEP_1) | instskip(SKIP_1) | instid1(VALU_DEP_3)
	v_cndmask_b32_e32 v26, v26, v32, vcc_lo
	v_xor_b32_e32 v33, s54, v12
	v_cmp_le_u32_e32 vcc_lo, s48, v31
	s_delay_alu instid0(VALU_DEP_3) | instskip(NEXT) | instid1(VALU_DEP_1)
	v_add_nc_u32_e32 v32, 1, v26
	v_cndmask_b32_e32 v26, v26, v32, vcc_lo
	s_delay_alu instid0(VALU_DEP_1) | instskip(NEXT) | instid1(VALU_DEP_1)
	v_xor_b32_e32 v26, v26, v33
	v_sub_nc_u32_e32 v33, v26, v33
	s_delay_alu instid0(VALU_DEP_1) | instskip(NEXT) | instid1(VALU_DEP_1)
	v_mad_u64_u32 v[31:32], null, s60, v33, v[1:2]
	v_mul_lo_u32 v26, v31, s21
	s_waitcnt vmcnt(0)
	s_delay_alu instid0(VALU_DEP_1) | instskip(NEXT) | instid1(VALU_DEP_1)
	v_mad_u64_u32 v[31:32], null, v33, s20, v[26:27]
	v_ashrrev_i32_e32 v32, 31, v31
	s_delay_alu instid0(VALU_DEP_1) | instskip(NEXT) | instid1(VALU_DEP_1)
	v_lshlrev_b64 v[31:32], 2, v[31:32]
	v_add_co_u32 v31, vcc_lo, s6, v31
	s_delay_alu instid0(VALU_DEP_2)
	v_add_co_ci_u32_e32 v32, vcc_lo, s7, v32, vcc_lo
	global_load_b32 v26, v[31:32], off
.LBB21_7:                               ;   in Loop: Header=BB21_3 Depth=1
	s_waitcnt vmcnt(0)
	v_cmp_ngt_f32_e64 s0, 0x3f200000, |v24|
                                        ; implicit-def: $vgpr31
	s_delay_alu instid0(VALU_DEP_1) | instskip(NEXT) | instid1(SALU_CYCLE_1)
	s_and_saveexec_b32 s1, s0
	s_xor_b32 s0, exec_lo, s1
	s_cbranch_execz .LBB21_9
; %bb.8:                                ;   in Loop: Header=BB21_3 Depth=1
	v_add_f32_e64 v31, |v24|, |v24|
	s_delay_alu instid0(VALU_DEP_1) | instskip(SKIP_1) | instid1(VALU_DEP_2)
	v_mul_f32_e32 v32, 0x3fb8aa3b, v31
	v_cmp_ngt_f32_e32 vcc_lo, 0xc2ce8ed0, v31
	v_rndne_f32_e32 v33, v32
	v_fma_f32 v34, 0x3fb8aa3b, v31, -v32
	s_delay_alu instid0(VALU_DEP_2) | instskip(NEXT) | instid1(VALU_DEP_2)
	v_sub_f32_e32 v32, v32, v33
	v_fmac_f32_e32 v34, 0x32a5705f, v31
	v_cvt_i32_f32_e32 v33, v33
	s_delay_alu instid0(VALU_DEP_2) | instskip(NEXT) | instid1(VALU_DEP_1)
	v_add_f32_e32 v32, v32, v34
	v_exp_f32_e32 v32, v32
	s_waitcnt_depctr 0xfff
	v_ldexp_f32 v32, v32, v33
	s_delay_alu instid0(VALU_DEP_1) | instskip(SKIP_1) | instid1(VALU_DEP_2)
	v_cndmask_b32_e32 v32, 0, v32, vcc_lo
	v_cmp_nlt_f32_e32 vcc_lo, 0x42b17218, v31
	v_cndmask_b32_e32 v31, 0x7f800000, v32, vcc_lo
	s_delay_alu instid0(VALU_DEP_1) | instskip(NEXT) | instid1(VALU_DEP_1)
	v_add_f32_e32 v31, 1.0, v31
	v_rcp_f32_e32 v31, v31
	s_waitcnt_depctr 0xfff
	v_fma_f32 v31, v31, -2.0, 1.0
.LBB21_9:                               ;   in Loop: Header=BB21_3 Depth=1
	s_and_not1_saveexec_b32 s0, s0
	s_cbranch_execz .LBB21_2
; %bb.10:                               ;   in Loop: Header=BB21_3 Depth=1
	v_mul_f32_e32 v31, v24, v24
	s_delay_alu instid0(VALU_DEP_1) | instskip(NEXT) | instid1(VALU_DEP_1)
	v_fmaak_f32 v32, s61, v31, 0x3ca908c9
	v_fmaak_f32 v32, v31, v32, 0xbd5c1c4e
	s_delay_alu instid0(VALU_DEP_1) | instskip(NEXT) | instid1(VALU_DEP_1)
	v_fmaak_f32 v32, v31, v32, 0x3e088382
	v_fmaak_f32 v32, v31, v32, 0xbeaaaa99
	s_delay_alu instid0(VALU_DEP_1) | instskip(NEXT) | instid1(VALU_DEP_1)
	v_mul_f32_e64 v32, |v24|, v32
	v_fma_f32 v31, v31, v32, |v24|
	s_branch .LBB21_2
.LBB21_11:
	s_nop 0
	s_sendmsg sendmsg(MSG_DEALLOC_VGPRS)
	s_endpgm
	.section	.rodata,"a",@progbits
	.p2align	6, 0x0
	.amdhsa_kernel _ZN2at6native12_GLOBAL__N_16kernel18lstm_cell_backwardIffiLi2EEEvNS_4cuda6detail10TensorInfoIT_T1_EES9_S9_S9_S9_S9_S9_S8_S8_
		.amdhsa_group_segment_fixed_size 0
		.amdhsa_private_segment_fixed_size 0
		.amdhsa_kernarg_size 1776
		.amdhsa_user_sgpr_count 15
		.amdhsa_user_sgpr_dispatch_ptr 0
		.amdhsa_user_sgpr_queue_ptr 0
		.amdhsa_user_sgpr_kernarg_segment_ptr 1
		.amdhsa_user_sgpr_dispatch_id 0
		.amdhsa_user_sgpr_private_segment_size 0
		.amdhsa_wavefront_size32 1
		.amdhsa_uses_dynamic_stack 0
		.amdhsa_enable_private_segment 0
		.amdhsa_system_sgpr_workgroup_id_x 1
		.amdhsa_system_sgpr_workgroup_id_y 0
		.amdhsa_system_sgpr_workgroup_id_z 0
		.amdhsa_system_sgpr_workgroup_info 0
		.amdhsa_system_vgpr_workitem_id 0
		.amdhsa_next_free_vgpr 46
		.amdhsa_next_free_sgpr 62
		.amdhsa_reserve_vcc 1
		.amdhsa_float_round_mode_32 0
		.amdhsa_float_round_mode_16_64 0
		.amdhsa_float_denorm_mode_32 3
		.amdhsa_float_denorm_mode_16_64 3
		.amdhsa_dx10_clamp 1
		.amdhsa_ieee_mode 1
		.amdhsa_fp16_overflow 0
		.amdhsa_workgroup_processor_mode 1
		.amdhsa_memory_ordered 1
		.amdhsa_forward_progress 0
		.amdhsa_shared_vgpr_count 0
		.amdhsa_exception_fp_ieee_invalid_op 0
		.amdhsa_exception_fp_denorm_src 0
		.amdhsa_exception_fp_ieee_div_zero 0
		.amdhsa_exception_fp_ieee_overflow 0
		.amdhsa_exception_fp_ieee_underflow 0
		.amdhsa_exception_fp_ieee_inexact 0
		.amdhsa_exception_int_div_zero 0
	.end_amdhsa_kernel
	.section	.text._ZN2at6native12_GLOBAL__N_16kernel18lstm_cell_backwardIffiLi2EEEvNS_4cuda6detail10TensorInfoIT_T1_EES9_S9_S9_S9_S9_S9_S8_S8_,"axG",@progbits,_ZN2at6native12_GLOBAL__N_16kernel18lstm_cell_backwardIffiLi2EEEvNS_4cuda6detail10TensorInfoIT_T1_EES9_S9_S9_S9_S9_S9_S8_S8_,comdat
.Lfunc_end21:
	.size	_ZN2at6native12_GLOBAL__N_16kernel18lstm_cell_backwardIffiLi2EEEvNS_4cuda6detail10TensorInfoIT_T1_EES9_S9_S9_S9_S9_S9_S8_S8_, .Lfunc_end21-_ZN2at6native12_GLOBAL__N_16kernel18lstm_cell_backwardIffiLi2EEEvNS_4cuda6detail10TensorInfoIT_T1_EES9_S9_S9_S9_S9_S9_S8_S8_
                                        ; -- End function
	.section	.AMDGPU.csdata,"",@progbits
; Kernel info:
; codeLenInByte = 3388
; NumSgprs: 64
; NumVgprs: 46
; ScratchSize: 0
; MemoryBound: 0
; FloatMode: 240
; IeeeMode: 1
; LDSByteSize: 0 bytes/workgroup (compile time only)
; SGPRBlocks: 7
; VGPRBlocks: 5
; NumSGPRsForWavesPerEU: 64
; NumVGPRsForWavesPerEU: 46
; Occupancy: 16
; WaveLimiterHint : 1
; COMPUTE_PGM_RSRC2:SCRATCH_EN: 0
; COMPUTE_PGM_RSRC2:USER_SGPR: 15
; COMPUTE_PGM_RSRC2:TRAP_HANDLER: 0
; COMPUTE_PGM_RSRC2:TGID_X_EN: 1
; COMPUTE_PGM_RSRC2:TGID_Y_EN: 0
; COMPUTE_PGM_RSRC2:TGID_Z_EN: 0
; COMPUTE_PGM_RSRC2:TIDIG_COMP_CNT: 0
	.section	.text._ZN2at6native12_GLOBAL__N_16kernel18lstm_cell_backwardIfflLi1EEEvNS_4cuda6detail10TensorInfoIT_T1_EES9_S9_S9_S9_S9_S9_S8_S8_,"axG",@progbits,_ZN2at6native12_GLOBAL__N_16kernel18lstm_cell_backwardIfflLi1EEEvNS_4cuda6detail10TensorInfoIT_T1_EES9_S9_S9_S9_S9_S9_S8_S8_,comdat
	.globl	_ZN2at6native12_GLOBAL__N_16kernel18lstm_cell_backwardIfflLi1EEEvNS_4cuda6detail10TensorInfoIT_T1_EES9_S9_S9_S9_S9_S9_S8_S8_ ; -- Begin function _ZN2at6native12_GLOBAL__N_16kernel18lstm_cell_backwardIfflLi1EEEvNS_4cuda6detail10TensorInfoIT_T1_EES9_S9_S9_S9_S9_S9_S8_S8_
	.p2align	8
	.type	_ZN2at6native12_GLOBAL__N_16kernel18lstm_cell_backwardIfflLi1EEEvNS_4cuda6detail10TensorInfoIT_T1_EES9_S9_S9_S9_S9_S9_S8_S8_,@function
_ZN2at6native12_GLOBAL__N_16kernel18lstm_cell_backwardIfflLi1EEEvNS_4cuda6detail10TensorInfoIT_T1_EES9_S9_S9_S9_S9_S9_S8_S8_: ; @_ZN2at6native12_GLOBAL__N_16kernel18lstm_cell_backwardIfflLi1EEEvNS_4cuda6detail10TensorInfoIT_T1_EES9_S9_S9_S9_S9_S9_S8_S8_
; %bb.0:
	s_clause 0x1
	s_load_b32 s8, s[0:1], 0xb7c
	s_load_b128 s[4:7], s[0:1], 0xb60
	v_mov_b32_e32 v1, 0
	s_add_u32 s2, s0, 0xb70
	s_addc_u32 s3, s1, 0
	s_waitcnt lgkmcnt(0)
	s_and_b32 s14, s8, 0xffff
	s_mov_b32 s8, exec_lo
	v_mad_u64_u32 v[3:4], null, s15, s14, v[0:1]
	v_mov_b32_e32 v4, v1
	s_delay_alu instid0(VALU_DEP_1)
	v_cmpx_gt_i64_e64 s[6:7], v[3:4]
	s_cbranch_execz .LBB22_15
; %bb.1:
	s_clause 0x2
	s_load_b64 s[16:17], s[0:1], 0x410
	s_load_b64 s[36:37], s[0:1], 0x340
	;; [unrolled: 1-line block ×3, first 2 shown]
	s_load_b32 s15, s[2:3], 0x0
	s_clause 0xa
	s_load_b64 s[22:23], s[0:1], 0x820
	s_load_b64 s[38:39], s[0:1], 0x4e0
	;; [unrolled: 1-line block ×11, first 2 shown]
	s_mul_i32 s33, s5, 3
	s_mul_hi_u32 s34, s4, 3
	s_mov_b32 s28, 0
	s_waitcnt lgkmcnt(0)
	v_mul_lo_u32 v0, 0, s16
	v_mul_lo_u32 v2, v3, s17
	v_mad_u64_u32 v[5:6], null, v3, s16, 0
	s_cmp_lg_u64 s[20:21], 0
	s_mul_i32 s29, s15, s14
	v_mul_lo_u32 v9, 0, s40
	v_mad_u64_u32 v[7:8], null, v3, s40, 0
	v_mad_u64_u32 v[11:12], null, v3, s26, 0
	s_delay_alu instid0(VALU_DEP_4) | instskip(SKIP_3) | instid1(VALU_DEP_4)
	v_add3_u32 v6, v6, v2, v0
	v_mul_lo_u32 v0, v3, s41
	v_mad_u64_u32 v[13:14], null, v3, s24, 0
	v_mul_lo_u32 v2, v3, s1
	v_lshlrev_b64 v[5:6], 2, v[5:6]
	s_cselect_b32 s30, -1, 0
	s_cmp_lg_u64 s[22:23], 0
	s_mul_i32 s1, s29, s1
	s_delay_alu instid0(VALU_DEP_4) | instskip(SKIP_3) | instid1(VALU_DEP_4)
	v_add3_u32 v8, v8, v0, v9
	v_mul_lo_u32 v0, 0, s0
	v_mad_u64_u32 v[9:10], null, v3, s0, 0
	v_add_co_u32 v5, vcc_lo, s36, v5
	v_lshlrev_b64 v[7:8], 2, v[7:8]
	v_add_co_ci_u32_e32 v6, vcc_lo, s37, v6, vcc_lo
	s_mul_hi_u32 s35, s29, s0
	s_delay_alu instid0(VALU_DEP_4) | instskip(SKIP_3) | instid1(VALU_DEP_4)
	v_add3_u32 v10, v10, v2, v0
	v_mul_lo_u32 v0, 0, s26
	v_mul_lo_u32 v2, v3, s27
	v_add_co_u32 v7, vcc_lo, s38, v7
	v_lshlrev_b64 v[9:10], 2, v[9:10]
	v_add_co_ci_u32_e32 v8, vcc_lo, s39, v8, vcc_lo
	s_cselect_b32 s31, -1, 0
	s_add_i32 s1, s35, s1
	s_delay_alu instid0(VALU_DEP_4) | instskip(SKIP_3) | instid1(VALU_DEP_4)
	v_add3_u32 v12, v12, v2, v0
	v_mul_lo_u32 v0, 0, s24
	v_mul_lo_u32 v2, v3, s25
	v_add_co_u32 v9, vcc_lo, s18, v9
	v_lshlrev_b64 v[11:12], 2, v[11:12]
	v_add_co_ci_u32_e32 v10, vcc_lo, s19, v10, vcc_lo
	s_mul_i32 s0, s29, s0
	s_mul_i32 s14, s29, s17
	s_delay_alu instid0(VALU_DEP_4) | instskip(NEXT) | instid1(VALU_DEP_3)
	v_add3_u32 v14, v14, v2, v0
	v_add_co_u32 v11, vcc_lo, s20, v11
	s_mul_hi_u32 s15, s29, s16
	s_lshl_b64 s[18:19], s[0:1], 2
	s_delay_alu instid0(VALU_DEP_2) | instskip(SKIP_4) | instid1(VALU_DEP_2)
	v_lshlrev_b64 v[13:14], 2, v[13:14]
	s_mul_i32 s0, s29, s27
	s_mul_hi_u32 s1, s29, s26
	v_add_co_ci_u32_e32 v12, vcc_lo, s21, v12, vcc_lo
	s_add_i32 s15, s15, s14
	v_add_co_u32 v13, vcc_lo, s22, v13
	s_mul_i32 s14, s29, s16
	s_mul_i32 s16, s29, s41
	s_mul_hi_u32 s17, s29, s40
	s_add_i32 s1, s1, s0
	s_mul_i32 s0, s29, s26
	s_mul_i32 s25, s29, s25
	s_mul_hi_u32 s26, s29, s24
	v_add_co_ci_u32_e32 v14, vcc_lo, s23, v14, vcc_lo
	s_add_i32 s17, s17, s16
	s_mul_i32 s16, s29, s40
	s_lshl_b64 s[20:21], s[0:1], 2
	s_add_i32 s1, s26, s25
	s_mul_i32 s0, s29, s24
	s_add_i32 s33, s34, s33
	s_mul_i32 s34, s4, 3
	s_lshl_b64 s[14:15], s[14:15], 2
	s_lshl_b64 s[16:17], s[16:17], 2
	;; [unrolled: 1-line block ×3, first 2 shown]
	s_ashr_i32 s24, s5, 31
	s_mov_b32 s1, 0xbbbac73d
	s_branch .LBB22_3
.LBB22_2:                               ;   in Loop: Header=BB22_3 Depth=1
	s_or_b32 exec_lo, exec_lo, s0
	v_mul_lo_u32 v22, v22, s12
	v_mul_lo_u32 v34, v15, s13
	v_mad_u64_u32 v[30:31], null, v15, s12, 0
	v_mul_lo_u32 v15, v28, s12
	v_mul_lo_u32 v28, v18, s13
	v_mad_u64_u32 v[32:33], null, v18, s12, 0
	v_mul_lo_u32 v18, v26, s12
	v_add_co_u32 v13, s0, v13, s22
	v_add3_u32 v31, v31, v34, v22
	v_mul_lo_u32 v22, v20, s13
	v_mad_u64_u32 v[34:35], null, v20, s12, 0
	v_add3_u32 v33, v33, v28, v15
	v_bfi_b32 v28, 0x7fffffff, v29, v27
	v_mul_lo_u32 v20, v16, s13
	v_lshlrev_b64 v[30:31], 2, v[30:31]
	v_mul_f32_e32 v29, v17, v25
	v_lshlrev_b64 v[32:33], 2, v[32:33]
	v_add3_u32 v35, v35, v22, v18
	v_mul_lo_u32 v18, v23, s12
	v_mad_u64_u32 v[22:23], null, v16, s12, 0
	v_add_co_u32 v30, vcc_lo, s10, v30
	s_delay_alu instid0(VALU_DEP_4) | instskip(SKIP_4) | instid1(VALU_DEP_4)
	v_lshlrev_b64 v[15:16], 2, v[34:35]
	v_fma_f32 v34, -v28, v28, 1.0
	v_add_co_ci_u32_e32 v31, vcc_lo, s11, v31, vcc_lo
	v_add3_u32 v23, v23, v20, v18
	v_add_co_u32 v26, vcc_lo, s10, v32
	v_fmac_f32_e32 v21, v29, v34
	v_sub_f32_e32 v29, 1.0, v0
	s_delay_alu instid0(VALU_DEP_4) | instskip(SKIP_1) | instid1(VALU_DEP_4)
	v_lshlrev_b64 v[22:23], 2, v[22:23]
	v_dual_mul_f32 v25, v25, v28 :: v_dual_sub_f32 v28, 1.0, v17
	v_mul_f32_e32 v32, v2, v21
	v_mul_f32_e32 v18, v19, v21
	;; [unrolled: 1-line block ×3, first 2 shown]
	v_sub_f32_e32 v24, 1.0, v2
	v_add_co_ci_u32_e32 v27, vcc_lo, s11, v33, vcc_lo
	v_add_co_u32 v15, vcc_lo, s10, v15
	v_add_co_ci_u32_e32 v16, vcc_lo, s11, v16, vcc_lo
	v_dual_mul_f32 v20, v29, v20 :: v_dual_mul_f32 v25, v28, v25
	v_mul_f32_e32 v24, v24, v18
	v_add_co_u32 v18, vcc_lo, s10, v22
	v_fma_f32 v29, -v19, v19, 1.0
	s_delay_alu instid0(VALU_DEP_4)
	v_mul_f32_e32 v17, v17, v25
	v_add_co_ci_u32_e32 v19, vcc_lo, s11, v23, vcc_lo
	v_add_co_u32 v3, vcc_lo, v3, s29
	v_add_co_ci_u32_e32 v4, vcc_lo, 0, v4, vcc_lo
	v_add_co_u32 v5, vcc_lo, v5, s14
	v_mul_f32_e32 v2, v2, v24
	v_mul_f32_e32 v20, v0, v20
	v_add_co_ci_u32_e32 v6, vcc_lo, s15, v6, vcc_lo
	v_mul_f32_e32 v22, v29, v32
	v_add_co_u32 v7, vcc_lo, v7, s16
	v_mul_f32_e32 v0, v0, v21
	v_add_co_ci_u32_e32 v8, vcc_lo, s17, v8, vcc_lo
	s_clause 0x3
	global_store_b32 v[30:31], v2, off
	global_store_b32 v[26:27], v20, off
	;; [unrolled: 1-line block ×5, first 2 shown]
	v_add_co_u32 v9, vcc_lo, v9, s18
	v_add_co_ci_u32_e32 v10, vcc_lo, s19, v10, vcc_lo
	v_add_co_u32 v11, vcc_lo, v11, s20
	v_add_co_ci_u32_e32 v12, vcc_lo, s21, v12, vcc_lo
	v_cmp_le_i64_e32 vcc_lo, s[6:7], v[3:4]
	v_add_co_ci_u32_e64 v14, s0, s23, v14, s0
	s_or_b32 s28, vcc_lo, s28
	s_delay_alu instid0(SALU_CYCLE_1)
	s_and_not1_b32 exec_lo, exec_lo, s28
	s_cbranch_execz .LBB22_15
.LBB22_3:                               ; =>This Inner Loop Header: Depth=1
	v_or_b32_e32 v2, s5, v4
                                        ; implicit-def: $vgpr17_vgpr18
	s_mov_b32 s0, exec_lo
	s_delay_alu instid0(VALU_DEP_1)
	v_cmpx_ne_u64_e32 0, v[1:2]
	s_xor_b32 s35, exec_lo, s0
	s_cbranch_execz .LBB22_5
; %bb.4:                                ;   in Loop: Header=BB22_3 Depth=1
	s_add_u32 s26, s4, s24
	s_mov_b32 s25, s24
	s_addc_u32 s27, s5, s24
	s_delay_alu instid0(SALU_CYCLE_1) | instskip(NEXT) | instid1(SALU_CYCLE_1)
	s_xor_b64 s[26:27], s[26:27], s[24:25]
	v_cvt_f32_u32_e32 v0, s26
	v_cvt_f32_u32_e32 v2, s27
	s_sub_u32 s0, 0, s26
	s_subb_u32 s25, 0, s27
	s_delay_alu instid0(VALU_DEP_1) | instskip(NEXT) | instid1(VALU_DEP_1)
	v_fmac_f32_e32 v0, 0x4f800000, v2
	v_rcp_f32_e32 v0, v0
	s_waitcnt_depctr 0xfff
	v_mul_f32_e32 v0, 0x5f7ffffc, v0
	s_delay_alu instid0(VALU_DEP_1) | instskip(NEXT) | instid1(VALU_DEP_1)
	v_mul_f32_e32 v2, 0x2f800000, v0
	v_trunc_f32_e32 v2, v2
	s_delay_alu instid0(VALU_DEP_1) | instskip(SKIP_1) | instid1(VALU_DEP_2)
	v_fmac_f32_e32 v0, 0xcf800000, v2
	v_cvt_u32_f32_e32 v2, v2
	v_cvt_u32_f32_e32 v0, v0
	s_delay_alu instid0(VALU_DEP_2) | instskip(NEXT) | instid1(VALU_DEP_2)
	v_mul_lo_u32 v15, s0, v2
	v_mul_hi_u32 v16, s0, v0
	v_mul_lo_u32 v17, s25, v0
	s_delay_alu instid0(VALU_DEP_2) | instskip(SKIP_1) | instid1(VALU_DEP_2)
	v_add_nc_u32_e32 v15, v16, v15
	v_mul_lo_u32 v16, s0, v0
	v_add_nc_u32_e32 v15, v15, v17
	s_delay_alu instid0(VALU_DEP_2) | instskip(NEXT) | instid1(VALU_DEP_2)
	v_mul_hi_u32 v17, v0, v16
	v_mul_lo_u32 v18, v0, v15
	v_mul_hi_u32 v19, v0, v15
	v_mul_hi_u32 v20, v2, v16
	v_mul_lo_u32 v16, v2, v16
	v_mul_hi_u32 v21, v2, v15
	v_mul_lo_u32 v15, v2, v15
	v_add_co_u32 v17, vcc_lo, v17, v18
	v_add_co_ci_u32_e32 v18, vcc_lo, 0, v19, vcc_lo
	s_delay_alu instid0(VALU_DEP_2) | instskip(NEXT) | instid1(VALU_DEP_2)
	v_add_co_u32 v16, vcc_lo, v17, v16
	v_add_co_ci_u32_e32 v16, vcc_lo, v18, v20, vcc_lo
	v_add_co_ci_u32_e32 v17, vcc_lo, 0, v21, vcc_lo
	v_ashrrev_i32_e32 v21, 31, v4
	s_delay_alu instid0(VALU_DEP_3) | instskip(NEXT) | instid1(VALU_DEP_3)
	v_add_co_u32 v15, vcc_lo, v16, v15
	v_add_co_ci_u32_e32 v16, vcc_lo, 0, v17, vcc_lo
	s_delay_alu instid0(VALU_DEP_2) | instskip(NEXT) | instid1(VALU_DEP_2)
	v_add_co_u32 v0, vcc_lo, v0, v15
	v_add_co_ci_u32_e32 v2, vcc_lo, v2, v16, vcc_lo
	s_delay_alu instid0(VALU_DEP_2) | instskip(SKIP_1) | instid1(VALU_DEP_3)
	v_mul_hi_u32 v15, s0, v0
	v_mul_lo_u32 v17, s25, v0
	v_mul_lo_u32 v16, s0, v2
	s_delay_alu instid0(VALU_DEP_1) | instskip(SKIP_1) | instid1(VALU_DEP_2)
	v_add_nc_u32_e32 v15, v15, v16
	v_mul_lo_u32 v16, s0, v0
	v_add_nc_u32_e32 v15, v15, v17
	s_delay_alu instid0(VALU_DEP_2) | instskip(NEXT) | instid1(VALU_DEP_2)
	v_mul_hi_u32 v17, v0, v16
	v_mul_lo_u32 v18, v0, v15
	v_mul_hi_u32 v19, v0, v15
	v_mul_hi_u32 v20, v2, v16
	v_mul_lo_u32 v16, v2, v16
	v_mul_hi_u32 v22, v2, v15
	v_mul_lo_u32 v15, v2, v15
	v_add_co_u32 v17, vcc_lo, v17, v18
	v_add_co_ci_u32_e32 v18, vcc_lo, 0, v19, vcc_lo
	s_delay_alu instid0(VALU_DEP_2) | instskip(NEXT) | instid1(VALU_DEP_2)
	v_add_co_u32 v16, vcc_lo, v17, v16
	v_add_co_ci_u32_e32 v16, vcc_lo, v18, v20, vcc_lo
	v_add_co_ci_u32_e32 v17, vcc_lo, 0, v22, vcc_lo
	v_add_co_u32 v18, vcc_lo, v3, v21
	v_add_co_ci_u32_e32 v19, vcc_lo, v4, v21, vcc_lo
	s_delay_alu instid0(VALU_DEP_4) | instskip(NEXT) | instid1(VALU_DEP_4)
	v_add_co_u32 v15, vcc_lo, v16, v15
	v_add_co_ci_u32_e32 v16, vcc_lo, 0, v17, vcc_lo
	s_delay_alu instid0(VALU_DEP_4) | instskip(NEXT) | instid1(VALU_DEP_3)
	v_xor_b32_e32 v22, v18, v21
	v_add_co_u32 v0, vcc_lo, v0, v15
	s_delay_alu instid0(VALU_DEP_3) | instskip(SKIP_1) | instid1(VALU_DEP_3)
	v_add_co_ci_u32_e32 v2, vcc_lo, v2, v16, vcc_lo
	v_xor_b32_e32 v23, v19, v21
	v_mul_hi_u32 v24, v22, v0
	s_delay_alu instid0(VALU_DEP_3) | instskip(NEXT) | instid1(VALU_DEP_3)
	v_mad_u64_u32 v[15:16], null, v22, v2, 0
	v_mad_u64_u32 v[17:18], null, v23, v0, 0
	;; [unrolled: 1-line block ×3, first 2 shown]
	s_delay_alu instid0(VALU_DEP_3) | instskip(NEXT) | instid1(VALU_DEP_4)
	v_add_co_u32 v0, vcc_lo, v24, v15
	v_add_co_ci_u32_e32 v2, vcc_lo, 0, v16, vcc_lo
	s_delay_alu instid0(VALU_DEP_2) | instskip(NEXT) | instid1(VALU_DEP_2)
	v_add_co_u32 v0, vcc_lo, v0, v17
	v_add_co_ci_u32_e32 v0, vcc_lo, v2, v18, vcc_lo
	v_add_co_ci_u32_e32 v2, vcc_lo, 0, v20, vcc_lo
	s_delay_alu instid0(VALU_DEP_2) | instskip(NEXT) | instid1(VALU_DEP_2)
	v_add_co_u32 v0, vcc_lo, v0, v19
	v_add_co_ci_u32_e32 v2, vcc_lo, 0, v2, vcc_lo
	s_delay_alu instid0(VALU_DEP_2) | instskip(SKIP_1) | instid1(VALU_DEP_3)
	v_mul_lo_u32 v17, s27, v0
	v_mad_u64_u32 v[15:16], null, s26, v0, 0
	v_mul_lo_u32 v18, s26, v2
	s_delay_alu instid0(VALU_DEP_2) | instskip(NEXT) | instid1(VALU_DEP_2)
	v_sub_co_u32 v15, vcc_lo, v22, v15
	v_add3_u32 v16, v16, v18, v17
	s_delay_alu instid0(VALU_DEP_1) | instskip(NEXT) | instid1(VALU_DEP_1)
	v_sub_nc_u32_e32 v17, v23, v16
	v_subrev_co_ci_u32_e64 v17, s0, s27, v17, vcc_lo
	v_add_co_u32 v18, s0, v0, 2
	s_delay_alu instid0(VALU_DEP_1) | instskip(SKIP_3) | instid1(VALU_DEP_3)
	v_add_co_ci_u32_e64 v19, s0, 0, v2, s0
	v_sub_co_u32 v20, s0, v15, s26
	v_sub_co_ci_u32_e32 v16, vcc_lo, v23, v16, vcc_lo
	v_subrev_co_ci_u32_e64 v17, s0, 0, v17, s0
	v_cmp_le_u32_e32 vcc_lo, s26, v20
	s_delay_alu instid0(VALU_DEP_3) | instskip(SKIP_1) | instid1(VALU_DEP_4)
	v_cmp_eq_u32_e64 s0, s27, v16
	v_cndmask_b32_e64 v20, 0, -1, vcc_lo
	v_cmp_le_u32_e32 vcc_lo, s27, v17
	v_cndmask_b32_e64 v22, 0, -1, vcc_lo
	v_cmp_le_u32_e32 vcc_lo, s26, v15
	;; [unrolled: 2-line block ×3, first 2 shown]
	v_cndmask_b32_e64 v23, 0, -1, vcc_lo
	v_cmp_eq_u32_e32 vcc_lo, s27, v17
	s_delay_alu instid0(VALU_DEP_2) | instskip(SKIP_3) | instid1(VALU_DEP_3)
	v_cndmask_b32_e64 v15, v23, v15, s0
	v_cndmask_b32_e32 v17, v22, v20, vcc_lo
	v_add_co_u32 v20, vcc_lo, v0, 1
	v_add_co_ci_u32_e32 v22, vcc_lo, 0, v2, vcc_lo
	v_cmp_ne_u32_e32 vcc_lo, 0, v17
	s_delay_alu instid0(VALU_DEP_2) | instskip(SKIP_2) | instid1(VALU_DEP_3)
	v_dual_cndmask_b32 v16, v22, v19 :: v_dual_cndmask_b32 v17, v20, v18
	v_cmp_ne_u32_e32 vcc_lo, 0, v15
	v_xor_b32_e32 v15, s24, v21
	v_cndmask_b32_e32 v0, v0, v17, vcc_lo
	s_delay_alu instid0(VALU_DEP_4) | instskip(NEXT) | instid1(VALU_DEP_2)
	v_cndmask_b32_e32 v2, v2, v16, vcc_lo
	v_xor_b32_e32 v0, v0, v15
	s_delay_alu instid0(VALU_DEP_2) | instskip(NEXT) | instid1(VALU_DEP_2)
	v_xor_b32_e32 v2, v2, v15
	v_sub_co_u32 v17, vcc_lo, v0, v15
	s_delay_alu instid0(VALU_DEP_2)
	v_sub_co_ci_u32_e32 v18, vcc_lo, v2, v15, vcc_lo
.LBB22_5:                               ;   in Loop: Header=BB22_3 Depth=1
	s_and_not1_saveexec_b32 s0, s35
	s_cbranch_execz .LBB22_7
; %bb.6:                                ;   in Loop: Header=BB22_3 Depth=1
	v_cvt_f32_u32_e32 v0, s4
	s_sub_i32 s25, 0, s4
	v_mov_b32_e32 v18, v1
	s_delay_alu instid0(VALU_DEP_2) | instskip(SKIP_2) | instid1(VALU_DEP_1)
	v_rcp_iflag_f32_e32 v0, v0
	s_waitcnt_depctr 0xfff
	v_mul_f32_e32 v0, 0x4f7ffffe, v0
	v_cvt_u32_f32_e32 v0, v0
	s_delay_alu instid0(VALU_DEP_1) | instskip(NEXT) | instid1(VALU_DEP_1)
	v_mul_lo_u32 v2, s25, v0
	v_mul_hi_u32 v2, v0, v2
	s_delay_alu instid0(VALU_DEP_1) | instskip(NEXT) | instid1(VALU_DEP_1)
	v_add_nc_u32_e32 v0, v0, v2
	v_mul_hi_u32 v0, v3, v0
	s_delay_alu instid0(VALU_DEP_1) | instskip(SKIP_1) | instid1(VALU_DEP_2)
	v_mul_lo_u32 v2, v0, s4
	v_add_nc_u32_e32 v15, 1, v0
	v_sub_nc_u32_e32 v2, v3, v2
	s_delay_alu instid0(VALU_DEP_1) | instskip(SKIP_1) | instid1(VALU_DEP_4)
	v_cmp_le_u32_e32 vcc_lo, s4, v2
	v_subrev_nc_u32_e32 v16, s4, v2
	v_cndmask_b32_e32 v0, v0, v15, vcc_lo
	s_delay_alu instid0(VALU_DEP_1) | instskip(NEXT) | instid1(VALU_DEP_3)
	v_add_nc_u32_e32 v15, 1, v0
	v_cndmask_b32_e32 v2, v2, v16, vcc_lo
	s_delay_alu instid0(VALU_DEP_1) | instskip(NEXT) | instid1(VALU_DEP_3)
	v_cmp_le_u32_e32 vcc_lo, s4, v2
	v_cndmask_b32_e32 v17, v0, v15, vcc_lo
.LBB22_7:                               ;   in Loop: Header=BB22_3 Depth=1
	s_or_b32 exec_lo, exec_lo, s0
	s_delay_alu instid0(VALU_DEP_1) | instskip(SKIP_3) | instid1(VALU_DEP_4)
	v_mad_u64_u32 v[20:21], null, v17, 3, 0
	v_mad_u64_u32 v[15:16], null, s34, v17, v[3:4]
	v_mul_lo_u32 v2, s34, v18
	v_mul_lo_u32 v17, s33, v17
	v_mov_b32_e32 v0, v21
	s_delay_alu instid0(VALU_DEP_4) | instskip(NEXT) | instid1(VALU_DEP_3)
	v_mad_u64_u32 v[23:24], null, v15, s8, 0
	v_add3_u32 v22, v17, v16, v2
	s_delay_alu instid0(VALU_DEP_3) | instskip(SKIP_2) | instid1(VALU_DEP_4)
	v_mad_u64_u32 v[16:17], null, v18, 3, v[0:1]
	v_mul_lo_u32 v0, v15, s9
	v_add_co_u32 v17, vcc_lo, v20, 1
	v_mul_lo_u32 v2, v22, s8
	s_delay_alu instid0(VALU_DEP_2) | instskip(NEXT) | instid1(VALU_DEP_2)
	v_mad_u64_u32 v[18:19], null, s4, v17, v[3:4]
	v_add3_u32 v24, v24, v0, v2
	v_add_co_ci_u32_e32 v0, vcc_lo, 0, v16, vcc_lo
	v_add_co_u32 v25, vcc_lo, v20, 2
	v_mul_lo_u32 v2, s5, v17
	v_add_co_ci_u32_e32 v17, vcc_lo, 0, v16, vcc_lo
	s_delay_alu instid0(VALU_DEP_4)
	v_mul_lo_u32 v0, s4, v0
	v_add_co_u32 v27, vcc_lo, v20, 3
	v_mul_lo_u32 v26, s5, v25
	v_mad_u64_u32 v[20:21], null, s4, v25, v[3:4]
	v_add_co_ci_u32_e32 v25, vcc_lo, 0, v16, vcc_lo
	v_mul_lo_u32 v31, s4, v17
	v_mul_lo_u32 v33, s5, v27
	v_mad_u64_u32 v[16:17], null, s4, v27, v[3:4]
	v_add3_u32 v28, v2, v19, v0
	v_mul_lo_u32 v0, s4, v25
	v_mul_lo_u32 v2, v18, s9
	v_mad_u64_u32 v[29:30], null, v18, s8, 0
	s_delay_alu instid0(VALU_DEP_4)
	v_mul_lo_u32 v19, v28, s8
	v_add3_u32 v26, v26, v21, v31
	v_lshlrev_b64 v[24:25], 2, v[23:24]
	v_mul_lo_u32 v21, v20, s9
	v_add3_u32 v23, v33, v17, v0
	v_mad_u64_u32 v[31:32], null, v20, s8, 0
	v_mul_lo_u32 v27, v26, s8
	v_add3_u32 v30, v30, v2, v19
	v_mul_lo_u32 v0, v16, s9
	v_mad_u64_u32 v[33:34], null, v16, s8, 0
	v_mul_lo_u32 v2, v23, s8
	s_delay_alu instid0(VALU_DEP_4)
	v_lshlrev_b64 v[29:30], 2, v[29:30]
	v_add_co_u32 v24, vcc_lo, s2, v24
	v_add3_u32 v32, v32, v21, v27
	v_mov_b32_e32 v21, 0
	v_add_co_ci_u32_e32 v25, vcc_lo, s3, v25, vcc_lo
	v_add3_u32 v34, v34, v0, v2
	s_delay_alu instid0(VALU_DEP_4) | instskip(SKIP_2) | instid1(VALU_DEP_4)
	v_lshlrev_b64 v[31:32], 2, v[31:32]
	v_add_co_u32 v29, vcc_lo, s2, v29
	v_add_co_ci_u32_e32 v30, vcc_lo, s3, v30, vcc_lo
	v_lshlrev_b64 v[33:34], 2, v[33:34]
	s_delay_alu instid0(VALU_DEP_4) | instskip(SKIP_1) | instid1(VALU_DEP_3)
	v_add_co_u32 v31, vcc_lo, s2, v31
	v_add_co_ci_u32_e32 v32, vcc_lo, s3, v32, vcc_lo
	v_add_co_u32 v33, vcc_lo, s2, v33
	s_delay_alu instid0(VALU_DEP_4)
	v_add_co_ci_u32_e32 v34, vcc_lo, s3, v34, vcc_lo
	s_clause 0x3
	global_load_b32 v2, v[24:25], off
	global_load_b32 v0, v[29:30], off
	global_load_b32 v19, v[31:32], off
	global_load_b32 v17, v[33:34], off
	global_load_b32 v24, v[5:6], off
	global_load_b32 v27, v[7:8], off
	v_mov_b32_e32 v25, 0
	s_and_not1_b32 vcc_lo, exec_lo, s30
	s_cbranch_vccnz .LBB22_9
; %bb.8:                                ;   in Loop: Header=BB22_3 Depth=1
	global_load_b32 v25, v[11:12], off
.LBB22_9:                               ;   in Loop: Header=BB22_3 Depth=1
	s_and_not1_b32 vcc_lo, exec_lo, s31
	s_cbranch_vccnz .LBB22_11
; %bb.10:                               ;   in Loop: Header=BB22_3 Depth=1
	global_load_b32 v21, v[13:14], off
.LBB22_11:                              ;   in Loop: Header=BB22_3 Depth=1
	s_waitcnt vmcnt(0)
	v_cmp_ngt_f32_e64 s0, 0x3f200000, |v27|
                                        ; implicit-def: $vgpr29
	s_delay_alu instid0(VALU_DEP_1) | instskip(NEXT) | instid1(SALU_CYCLE_1)
	s_and_saveexec_b32 s25, s0
	s_xor_b32 s0, exec_lo, s25
	s_cbranch_execz .LBB22_13
; %bb.12:                               ;   in Loop: Header=BB22_3 Depth=1
	v_add_f32_e64 v29, |v27|, |v27|
	s_delay_alu instid0(VALU_DEP_1) | instskip(SKIP_1) | instid1(VALU_DEP_2)
	v_mul_f32_e32 v30, 0x3fb8aa3b, v29
	v_cmp_ngt_f32_e32 vcc_lo, 0xc2ce8ed0, v29
	v_rndne_f32_e32 v31, v30
	v_fma_f32 v32, 0x3fb8aa3b, v29, -v30
	s_delay_alu instid0(VALU_DEP_2) | instskip(NEXT) | instid1(VALU_DEP_2)
	v_sub_f32_e32 v30, v30, v31
	v_fmac_f32_e32 v32, 0x32a5705f, v29
	v_cvt_i32_f32_e32 v31, v31
	s_delay_alu instid0(VALU_DEP_2) | instskip(NEXT) | instid1(VALU_DEP_1)
	v_add_f32_e32 v30, v30, v32
	v_exp_f32_e32 v30, v30
	s_waitcnt_depctr 0xfff
	v_ldexp_f32 v30, v30, v31
	s_delay_alu instid0(VALU_DEP_1) | instskip(SKIP_1) | instid1(VALU_DEP_2)
	v_cndmask_b32_e32 v30, 0, v30, vcc_lo
	v_cmp_nlt_f32_e32 vcc_lo, 0x42b17218, v29
	v_cndmask_b32_e32 v29, 0x7f800000, v30, vcc_lo
	s_delay_alu instid0(VALU_DEP_1) | instskip(NEXT) | instid1(VALU_DEP_1)
	v_add_f32_e32 v29, 1.0, v29
	v_rcp_f32_e32 v29, v29
	s_waitcnt_depctr 0xfff
	v_fma_f32 v29, v29, -2.0, 1.0
.LBB22_13:                              ;   in Loop: Header=BB22_3 Depth=1
	s_and_not1_saveexec_b32 s0, s0
	s_cbranch_execz .LBB22_2
; %bb.14:                               ;   in Loop: Header=BB22_3 Depth=1
	v_mul_f32_e32 v29, v27, v27
	s_delay_alu instid0(VALU_DEP_1) | instskip(NEXT) | instid1(VALU_DEP_1)
	v_fmaak_f32 v30, s1, v29, 0x3ca908c9
	v_fmaak_f32 v30, v29, v30, 0xbd5c1c4e
	s_delay_alu instid0(VALU_DEP_1) | instskip(NEXT) | instid1(VALU_DEP_1)
	v_fmaak_f32 v30, v29, v30, 0x3e088382
	v_fmaak_f32 v30, v29, v30, 0xbeaaaa99
	s_delay_alu instid0(VALU_DEP_1) | instskip(NEXT) | instid1(VALU_DEP_1)
	v_mul_f32_e64 v30, |v27|, v30
	v_fma_f32 v29, v29, v30, |v27|
	s_branch .LBB22_2
.LBB22_15:
	s_nop 0
	s_sendmsg sendmsg(MSG_DEALLOC_VGPRS)
	s_endpgm
	.section	.rodata,"a",@progbits
	.p2align	6, 0x0
	.amdhsa_kernel _ZN2at6native12_GLOBAL__N_16kernel18lstm_cell_backwardIfflLi1EEEvNS_4cuda6detail10TensorInfoIT_T1_EES9_S9_S9_S9_S9_S9_S8_S8_
		.amdhsa_group_segment_fixed_size 0
		.amdhsa_private_segment_fixed_size 0
		.amdhsa_kernarg_size 3184
		.amdhsa_user_sgpr_count 15
		.amdhsa_user_sgpr_dispatch_ptr 0
		.amdhsa_user_sgpr_queue_ptr 0
		.amdhsa_user_sgpr_kernarg_segment_ptr 1
		.amdhsa_user_sgpr_dispatch_id 0
		.amdhsa_user_sgpr_private_segment_size 0
		.amdhsa_wavefront_size32 1
		.amdhsa_uses_dynamic_stack 0
		.amdhsa_enable_private_segment 0
		.amdhsa_system_sgpr_workgroup_id_x 1
		.amdhsa_system_sgpr_workgroup_id_y 0
		.amdhsa_system_sgpr_workgroup_id_z 0
		.amdhsa_system_sgpr_workgroup_info 0
		.amdhsa_system_vgpr_workitem_id 0
		.amdhsa_next_free_vgpr 36
		.amdhsa_next_free_sgpr 42
		.amdhsa_reserve_vcc 1
		.amdhsa_float_round_mode_32 0
		.amdhsa_float_round_mode_16_64 0
		.amdhsa_float_denorm_mode_32 3
		.amdhsa_float_denorm_mode_16_64 3
		.amdhsa_dx10_clamp 1
		.amdhsa_ieee_mode 1
		.amdhsa_fp16_overflow 0
		.amdhsa_workgroup_processor_mode 1
		.amdhsa_memory_ordered 1
		.amdhsa_forward_progress 0
		.amdhsa_shared_vgpr_count 0
		.amdhsa_exception_fp_ieee_invalid_op 0
		.amdhsa_exception_fp_denorm_src 0
		.amdhsa_exception_fp_ieee_div_zero 0
		.amdhsa_exception_fp_ieee_overflow 0
		.amdhsa_exception_fp_ieee_underflow 0
		.amdhsa_exception_fp_ieee_inexact 0
		.amdhsa_exception_int_div_zero 0
	.end_amdhsa_kernel
	.section	.text._ZN2at6native12_GLOBAL__N_16kernel18lstm_cell_backwardIfflLi1EEEvNS_4cuda6detail10TensorInfoIT_T1_EES9_S9_S9_S9_S9_S9_S8_S8_,"axG",@progbits,_ZN2at6native12_GLOBAL__N_16kernel18lstm_cell_backwardIfflLi1EEEvNS_4cuda6detail10TensorInfoIT_T1_EES9_S9_S9_S9_S9_S9_S8_S8_,comdat
.Lfunc_end22:
	.size	_ZN2at6native12_GLOBAL__N_16kernel18lstm_cell_backwardIfflLi1EEEvNS_4cuda6detail10TensorInfoIT_T1_EES9_S9_S9_S9_S9_S9_S8_S8_, .Lfunc_end22-_ZN2at6native12_GLOBAL__N_16kernel18lstm_cell_backwardIfflLi1EEEvNS_4cuda6detail10TensorInfoIT_T1_EES9_S9_S9_S9_S9_S9_S8_S8_
                                        ; -- End function
	.section	.AMDGPU.csdata,"",@progbits
; Kernel info:
; codeLenInByte = 2880
; NumSgprs: 44
; NumVgprs: 36
; ScratchSize: 0
; MemoryBound: 0
; FloatMode: 240
; IeeeMode: 1
; LDSByteSize: 0 bytes/workgroup (compile time only)
; SGPRBlocks: 5
; VGPRBlocks: 4
; NumSGPRsForWavesPerEU: 44
; NumVGPRsForWavesPerEU: 36
; Occupancy: 16
; WaveLimiterHint : 1
; COMPUTE_PGM_RSRC2:SCRATCH_EN: 0
; COMPUTE_PGM_RSRC2:USER_SGPR: 15
; COMPUTE_PGM_RSRC2:TRAP_HANDLER: 0
; COMPUTE_PGM_RSRC2:TGID_X_EN: 1
; COMPUTE_PGM_RSRC2:TGID_Y_EN: 0
; COMPUTE_PGM_RSRC2:TGID_Z_EN: 0
; COMPUTE_PGM_RSRC2:TIDIG_COMP_CNT: 0
	.section	.text._ZN2at6native12_GLOBAL__N_16kernel18lstm_cell_backwardIfflLi2EEEvNS_4cuda6detail10TensorInfoIT_T1_EES9_S9_S9_S9_S9_S9_S8_S8_,"axG",@progbits,_ZN2at6native12_GLOBAL__N_16kernel18lstm_cell_backwardIfflLi2EEEvNS_4cuda6detail10TensorInfoIT_T1_EES9_S9_S9_S9_S9_S9_S8_S8_,comdat
	.globl	_ZN2at6native12_GLOBAL__N_16kernel18lstm_cell_backwardIfflLi2EEEvNS_4cuda6detail10TensorInfoIT_T1_EES9_S9_S9_S9_S9_S9_S8_S8_ ; -- Begin function _ZN2at6native12_GLOBAL__N_16kernel18lstm_cell_backwardIfflLi2EEEvNS_4cuda6detail10TensorInfoIT_T1_EES9_S9_S9_S9_S9_S9_S8_S8_
	.p2align	8
	.type	_ZN2at6native12_GLOBAL__N_16kernel18lstm_cell_backwardIfflLi2EEEvNS_4cuda6detail10TensorInfoIT_T1_EES9_S9_S9_S9_S9_S9_S8_S8_,@function
_ZN2at6native12_GLOBAL__N_16kernel18lstm_cell_backwardIfflLi2EEEvNS_4cuda6detail10TensorInfoIT_T1_EES9_S9_S9_S9_S9_S9_S8_S8_: ; @_ZN2at6native12_GLOBAL__N_16kernel18lstm_cell_backwardIfflLi2EEEvNS_4cuda6detail10TensorInfoIT_T1_EES9_S9_S9_S9_S9_S9_S8_S8_
; %bb.0:
	s_clause 0x1
	s_load_b32 s2, s[0:1], 0xb7c
	s_load_b128 s[4:7], s[0:1], 0xb60
	v_mov_b32_e32 v1, 0
	s_add_u32 s16, s0, 0xb70
	s_addc_u32 s17, s1, 0
	s_waitcnt lgkmcnt(0)
	s_and_b32 s64, s2, 0xffff
	s_mov_b32 s2, exec_lo
	v_mad_u64_u32 v[3:4], null, s15, s64, v[0:1]
	v_mov_b32_e32 v4, v1
	s_delay_alu instid0(VALU_DEP_1)
	v_cmpx_gt_i64_e64 s[6:7], v[3:4]
	s_cbranch_execz .LBB23_67
; %bb.1:
	s_clause 0x6
	s_load_b64 s[2:3], s[0:1], 0x680
	s_load_b64 s[34:35], s[0:1], 0x0
	;; [unrolled: 1-line block ×3, first 2 shown]
	s_load_b128 s[8:11], s[0:1], 0x750
	s_load_b64 s[42:43], s[0:1], 0x820
	s_load_b128 s[12:15], s[0:1], 0xd0
	s_load_b64 s[44:45], s[0:1], 0x1a0
	s_load_b32 s65, s[16:17], 0x0
	s_clause 0xa
	s_load_b64 s[46:47], s[0:1], 0x1b0
	s_load_b128 s[16:19], s[0:1], 0x270
	s_load_b64 s[48:49], s[0:1], 0x340
	s_load_b64 s[50:51], s[0:1], 0x350
	s_load_b128 s[20:23], s[0:1], 0x410
	s_load_b64 s[52:53], s[0:1], 0x4e0
	s_load_b64 s[54:55], s[0:1], 0x4f0
	s_load_b128 s[24:27], s[0:1], 0x5b0
	s_load_b64 s[56:57], s[0:1], 0x690
	s_load_b64 s[58:59], s[0:1], 0x9c0
	s_load_b64 s[60:61], s[0:1], 0x9d0
	v_cvt_f32_u32_e32 v0, s4
	s_clause 0x2
	s_load_b64 s[62:63], s[0:1], 0x830
	s_load_b128 s[28:31], s[0:1], 0x8f0
	s_load_b128 s[36:39], s[0:1], 0xa90
	s_waitcnt lgkmcnt(0)
	s_cmp_lg_u64 s[2:3], 0
	s_mul_i32 s0, s5, 3
	v_rcp_iflag_f32_e32 v0, v0
	s_cselect_b32 s33, -1, 0
	s_cmp_lg_u64 s[42:43], 0
	s_mul_i32 s68, s65, s64
	s_mul_hi_u32 s64, s4, 3
	s_cselect_b32 s1, -1, 0
	s_add_i32 s70, s64, s0
	s_sub_u32 s72, 0, s50
	s_subb_u32 s73, 0, s51
	s_mov_b32 s69, 0
	s_waitcnt_depctr 0xfff
	v_mul_f32_e32 v0, 0x4f7ffffe, v0
	s_sub_u32 s74, 0, s54
	s_subb_u32 s75, 0, s55
	s_mul_i32 s71, s4, 3
	s_sub_u32 s76, 0, s60
	s_subb_u32 s77, 0, s61
	s_sub_u32 s78, 0, s56
	v_cvt_u32_f32_e32 v0, v0
	s_subb_u32 s79, 0, s57
	s_sub_u32 s80, 0, s62
	s_subb_u32 s81, 0, s63
	s_mov_b32 s82, 0xbbbac73d
	s_branch .LBB23_3
.LBB23_2:                               ;   in Loop: Header=BB23_3 Depth=1
	s_or_b32 exec_lo, exec_lo, s0
	v_mad_u64_u32 v[32:33], null, s76, v21, v[3:4]
	v_mul_lo_u32 v24, s76, v22
	v_mul_lo_u32 v34, s77, v21
	;; [unrolled: 1-line block ×6, first 2 shown]
	v_mad_u64_u32 v[35:36], null, v32, s38, 0
	v_add3_u32 v22, v34, v33, v24
	v_mad_u64_u32 v[33:34], null, v21, s36, 0
	v_mul_lo_u32 v24, v20, s46
	s_delay_alu instid0(VALU_DEP_3) | instskip(SKIP_1) | instid1(VALU_DEP_4)
	v_mul_lo_u32 v41, v22, s38
	v_mad_u64_u32 v[21:22], null, v19, s46, 0
	v_add3_u32 v34, v34, v38, v37
	v_mul_lo_u32 v38, v18, s46
	s_delay_alu instid0(VALU_DEP_4) | instskip(NEXT) | instid1(VALU_DEP_4)
	v_add3_u32 v36, v36, v40, v41
	v_add3_u32 v22, v22, v39, v24
	s_delay_alu instid0(VALU_DEP_4) | instskip(SKIP_2) | instid1(VALU_DEP_4)
	v_lshlrev_b64 v[32:33], 2, v[33:34]
	v_sub_co_u32 v11, vcc_lo, v11, v21
	v_mul_lo_u32 v39, v17, s47
	v_sub_co_ci_u32_e32 v12, vcc_lo, v12, v22, vcc_lo
	s_delay_alu instid0(VALU_DEP_4) | instskip(SKIP_2) | instid1(VALU_DEP_4)
	v_add_co_u32 v24, vcc_lo, s58, v32
	v_add_co_ci_u32_e32 v34, vcc_lo, s59, v33, vcc_lo
	v_add_co_u32 v37, vcc_lo, v3, v11
	v_add_co_ci_u32_e32 v32, vcc_lo, v4, v12, vcc_lo
	v_mad_u64_u32 v[11:12], null, v17, s46, 0
	v_lshlrev_b64 v[21:22], 2, v[35:36]
	s_delay_alu instid0(VALU_DEP_3)
	v_mul_lo_u32 v35, v32, s18
	v_mul_lo_u32 v40, v20, s16
	;; [unrolled: 1-line block ×3, first 2 shown]
	v_mad_u64_u32 v[32:33], null, v19, s16, 0
	v_add3_u32 v12, v12, v39, v38
	v_mul_lo_u32 v36, v37, s19
	v_mad_u64_u32 v[19:20], null, v37, s18, 0
	v_sub_co_u32 v9, vcc_lo, v9, v11
	v_add3_u32 v33, v33, v41, v40
	v_sub_co_ci_u32_e32 v10, vcc_lo, v10, v12, vcc_lo
	s_delay_alu instid0(VALU_DEP_3) | instskip(NEXT) | instid1(VALU_DEP_3)
	v_add_co_u32 v37, vcc_lo, v3, v9
	v_lshlrev_b64 v[11:12], 2, v[32:33]
	s_delay_alu instid0(VALU_DEP_3)
	v_add_co_ci_u32_e32 v38, vcc_lo, v4, v10, vcc_lo
	v_add_co_u32 v9, vcc_lo, v24, v21
	v_add3_u32 v20, v20, v36, v35
	v_mul_lo_u32 v35, v16, s46
	v_mul_lo_u32 v36, v15, s47
	v_mad_u64_u32 v[32:33], null, v15, s46, 0
	v_add_co_ci_u32_e32 v10, vcc_lo, v34, v22, vcc_lo
	v_mul_lo_u32 v34, v37, s19
	v_mad_u64_u32 v[21:22], null, v37, s18, 0
	v_add_co_u32 v37, vcc_lo, s44, v11
	v_mul_lo_u32 v24, v38, s18
	v_add_co_ci_u32_e32 v38, vcc_lo, s45, v12, vcc_lo
	v_mul_lo_u32 v39, v18, s16
	v_mul_lo_u32 v40, v17, s17
	v_mad_u64_u32 v[11:12], null, v17, s16, 0
	v_lshlrev_b64 v[17:18], 2, v[19:20]
	v_add3_u32 v19, v33, v36, v35
	v_sub_co_u32 v7, vcc_lo, v7, v32
	v_add3_u32 v22, v22, v34, v24
	v_mul_lo_u32 v34, v15, s17
	s_delay_alu instid0(VALU_DEP_4) | instskip(SKIP_2) | instid1(VALU_DEP_3)
	v_sub_co_ci_u32_e32 v8, vcc_lo, v8, v19, vcc_lo
	v_add3_u32 v12, v12, v40, v39
	v_add_co_u32 v24, vcc_lo, v3, v7
	v_add_co_ci_u32_e32 v19, vcc_lo, v4, v8, vcc_lo
	s_delay_alu instid0(VALU_DEP_3)
	v_lshlrev_b64 v[11:12], 2, v[11:12]
	v_add_co_u32 v7, vcc_lo, v37, v17
	v_add_co_ci_u32_e32 v8, vcc_lo, v38, v18, vcc_lo
	v_lshlrev_b64 v[17:18], 2, v[21:22]
	v_mul_lo_u32 v32, v19, s18
	v_mul_lo_u32 v33, v24, s19
	v_mad_u64_u32 v[19:20], null, v24, s18, 0
	v_mul_lo_u32 v24, v16, s16
	v_mad_u64_u32 v[21:22], null, v15, s16, 0
	v_mul_lo_u32 v35, v14, s46
	v_mul_lo_u32 v36, v13, s47
	v_mad_u64_u32 v[15:16], null, v13, s46, 0
	v_add_co_u32 v11, vcc_lo, s44, v11
	v_add_co_ci_u32_e32 v12, vcc_lo, s45, v12, vcc_lo
	v_add3_u32 v22, v22, v34, v24
	s_delay_alu instid0(VALU_DEP_3) | instskip(NEXT) | instid1(VALU_DEP_3)
	v_add_co_u32 v11, vcc_lo, v11, v17
	v_add_co_ci_u32_e32 v12, vcc_lo, v12, v18, vcc_lo
	v_add3_u32 v18, v16, v36, v35
	v_sub_co_u32 v15, vcc_lo, v5, v15
	v_lshlrev_b64 v[16:17], 2, v[21:22]
	v_mul_lo_u32 v21, v14, s16
	s_delay_alu instid0(VALU_DEP_4)
	v_sub_co_ci_u32_e32 v18, vcc_lo, v6, v18, vcc_lo
	v_mul_lo_u32 v22, v13, s17
	v_mad_u64_u32 v[5:6], null, v13, s16, 0
	v_add_co_u32 v24, vcc_lo, v3, v15
	v_add3_u32 v20, v20, v33, v32
	v_add_co_ci_u32_e32 v15, vcc_lo, v4, v18, vcc_lo
	v_add_co_u32 v18, vcc_lo, s44, v16
	s_delay_alu instid0(VALU_DEP_3) | instskip(NEXT) | instid1(VALU_DEP_3)
	v_lshlrev_b64 v[13:14], 2, v[19:20]
	v_mul_lo_u32 v19, v15, s18
	v_add3_u32 v6, v6, v22, v21
	v_mul_lo_u32 v20, v24, s19
	v_mad_u64_u32 v[15:16], null, v24, s18, 0
	v_bfi_b32 v21, 0x7fffffff, v23, v30
	v_add_co_ci_u32_e32 v17, vcc_lo, s45, v17, vcc_lo
	v_lshlrev_b64 v[5:6], 2, v[5:6]
	v_mul_f32_e32 v22, v28, v31
	s_delay_alu instid0(VALU_DEP_4)
	v_fma_f32 v23, -v21, v21, 1.0
	v_add_co_u32 v13, vcc_lo, v18, v13
	v_add3_u32 v16, v16, v20, v19
	v_add_co_ci_u32_e32 v14, vcc_lo, v17, v14, vcc_lo
	v_add_co_u32 v17, vcc_lo, s44, v5
	s_waitcnt vmcnt(0)
	v_dual_fmac_f32 v2, v22, v23 :: v_dual_sub_f32 v19, 1.0, v25
	v_add_co_ci_u32_e32 v18, vcc_lo, s45, v6, vcc_lo
	v_lshlrev_b64 v[5:6], 2, v[15:16]
	s_delay_alu instid0(VALU_DEP_3) | instskip(SKIP_1) | instid1(VALU_DEP_2)
	v_mul_f32_e32 v15, v27, v2
	v_mul_f32_e32 v16, v29, v2
	v_dual_sub_f32 v20, 1.0, v26 :: v_dual_mul_f32 v15, v19, v15
	s_delay_alu instid0(VALU_DEP_4) | instskip(SKIP_1) | instid1(VALU_DEP_3)
	v_add_co_u32 v5, vcc_lo, v17, v5
	v_add_co_ci_u32_e32 v6, vcc_lo, v18, v6, vcc_lo
	v_dual_mul_f32 v17, v31, v21 :: v_dual_mul_f32 v16, v20, v16
	s_delay_alu instid0(VALU_DEP_4) | instskip(SKIP_2) | instid1(VALU_DEP_3)
	v_dual_mul_f32 v15, v25, v15 :: v_dual_sub_f32 v20, 1.0, v28
	v_add_co_u32 v3, vcc_lo, v3, s68
	v_add_co_ci_u32_e32 v4, vcc_lo, 0, v4, vcc_lo
	v_dual_mul_f32 v18, v25, v2 :: v_dual_mul_f32 v17, v20, v17
	v_fma_f32 v19, -v27, v27, 1.0
	s_delay_alu instid0(VALU_DEP_3) | instskip(SKIP_1) | instid1(VALU_DEP_4)
	v_cmp_le_i64_e32 vcc_lo, s[6:7], v[3:4]
	v_mul_f32_e32 v16, v26, v16
	v_dual_mul_f32 v2, v26, v2 :: v_dual_mul_f32 v17, v28, v17
	s_delay_alu instid0(VALU_DEP_4)
	v_mul_f32_e32 v18, v19, v18
	s_clause 0x2
	global_store_b32 v[5:6], v15, off
	global_store_b32 v[13:14], v16, off
	;; [unrolled: 1-line block ×3, first 2 shown]
	s_or_b32 s69, vcc_lo, s69
	global_store_b32 v[7:8], v17, off
	global_store_b32 v[9:10], v2, off
	s_and_not1_b32 exec_lo, exec_lo, s69
	s_cbranch_execz .LBB23_67
.LBB23_3:                               ; =>This Inner Loop Header: Depth=1
	v_or_b32_e32 v2, s5, v4
                                        ; implicit-def: $vgpr7_vgpr8
	s_mov_b32 s0, exec_lo
	s_delay_alu instid0(VALU_DEP_1)
	v_cmpx_ne_u64_e32 0, v[1:2]
	s_xor_b32 s83, exec_lo, s0
	s_cbranch_execz .LBB23_5
; %bb.4:                                ;   in Loop: Header=BB23_3 Depth=1
	s_ashr_i32 s64, s5, 31
	s_delay_alu instid0(SALU_CYCLE_1) | instskip(SKIP_2) | instid1(SALU_CYCLE_1)
	s_add_u32 s66, s4, s64
	s_mov_b32 s65, s64
	s_addc_u32 s67, s5, s64
	s_xor_b64 s[66:67], s[66:67], s[64:65]
	s_delay_alu instid0(SALU_CYCLE_1) | instskip(SKIP_3) | instid1(VALU_DEP_1)
	v_cvt_f32_u32_e32 v2, s66
	v_cvt_f32_u32_e32 v5, s67
	s_sub_u32 s0, 0, s66
	s_subb_u32 s65, 0, s67
	v_fmac_f32_e32 v2, 0x4f800000, v5
	s_delay_alu instid0(VALU_DEP_1) | instskip(SKIP_2) | instid1(VALU_DEP_1)
	v_rcp_f32_e32 v2, v2
	s_waitcnt_depctr 0xfff
	v_mul_f32_e32 v2, 0x5f7ffffc, v2
	v_mul_f32_e32 v5, 0x2f800000, v2
	s_delay_alu instid0(VALU_DEP_1) | instskip(NEXT) | instid1(VALU_DEP_1)
	v_trunc_f32_e32 v5, v5
	v_fmac_f32_e32 v2, 0xcf800000, v5
	v_cvt_u32_f32_e32 v5, v5
	s_delay_alu instid0(VALU_DEP_2) | instskip(NEXT) | instid1(VALU_DEP_2)
	v_cvt_u32_f32_e32 v2, v2
	v_mul_lo_u32 v6, s0, v5
	s_delay_alu instid0(VALU_DEP_2) | instskip(SKIP_1) | instid1(VALU_DEP_2)
	v_mul_hi_u32 v7, s0, v2
	v_mul_lo_u32 v8, s65, v2
	v_add_nc_u32_e32 v6, v7, v6
	v_mul_lo_u32 v7, s0, v2
	s_delay_alu instid0(VALU_DEP_2) | instskip(NEXT) | instid1(VALU_DEP_2)
	v_add_nc_u32_e32 v6, v6, v8
	v_mul_hi_u32 v8, v2, v7
	s_delay_alu instid0(VALU_DEP_2)
	v_mul_lo_u32 v9, v2, v6
	v_mul_hi_u32 v10, v2, v6
	v_mul_hi_u32 v11, v5, v7
	v_mul_lo_u32 v7, v5, v7
	v_mul_hi_u32 v12, v5, v6
	v_mul_lo_u32 v6, v5, v6
	v_add_co_u32 v8, vcc_lo, v8, v9
	v_add_co_ci_u32_e32 v9, vcc_lo, 0, v10, vcc_lo
	s_delay_alu instid0(VALU_DEP_2) | instskip(NEXT) | instid1(VALU_DEP_2)
	v_add_co_u32 v7, vcc_lo, v8, v7
	v_add_co_ci_u32_e32 v7, vcc_lo, v9, v11, vcc_lo
	v_add_co_ci_u32_e32 v8, vcc_lo, 0, v12, vcc_lo
	v_ashrrev_i32_e32 v11, 31, v4
	s_delay_alu instid0(VALU_DEP_3) | instskip(NEXT) | instid1(VALU_DEP_3)
	v_add_co_u32 v6, vcc_lo, v7, v6
	v_add_co_ci_u32_e32 v7, vcc_lo, 0, v8, vcc_lo
	s_delay_alu instid0(VALU_DEP_2) | instskip(NEXT) | instid1(VALU_DEP_2)
	v_add_co_u32 v2, vcc_lo, v2, v6
	v_add_co_ci_u32_e32 v5, vcc_lo, v5, v7, vcc_lo
	s_delay_alu instid0(VALU_DEP_2) | instskip(SKIP_1) | instid1(VALU_DEP_3)
	v_mul_hi_u32 v6, s0, v2
	v_mul_lo_u32 v8, s65, v2
	v_mul_lo_u32 v7, s0, v5
	s_delay_alu instid0(VALU_DEP_1) | instskip(SKIP_1) | instid1(VALU_DEP_2)
	v_add_nc_u32_e32 v6, v6, v7
	v_mul_lo_u32 v7, s0, v2
	v_add_nc_u32_e32 v6, v6, v8
	s_delay_alu instid0(VALU_DEP_2) | instskip(NEXT) | instid1(VALU_DEP_2)
	v_mul_hi_u32 v8, v2, v7
	v_mul_lo_u32 v9, v2, v6
	v_mul_hi_u32 v10, v2, v6
	v_mul_hi_u32 v12, v5, v7
	v_mul_lo_u32 v7, v5, v7
	v_mul_hi_u32 v13, v5, v6
	v_mul_lo_u32 v6, v5, v6
	v_add_co_u32 v8, vcc_lo, v8, v9
	v_add_co_ci_u32_e32 v9, vcc_lo, 0, v10, vcc_lo
	s_delay_alu instid0(VALU_DEP_2) | instskip(NEXT) | instid1(VALU_DEP_2)
	v_add_co_u32 v7, vcc_lo, v8, v7
	v_add_co_ci_u32_e32 v7, vcc_lo, v9, v12, vcc_lo
	v_add_co_ci_u32_e32 v8, vcc_lo, 0, v13, vcc_lo
	v_add_co_u32 v9, vcc_lo, v3, v11
	v_add_co_ci_u32_e32 v10, vcc_lo, v4, v11, vcc_lo
	s_delay_alu instid0(VALU_DEP_4) | instskip(NEXT) | instid1(VALU_DEP_4)
	v_add_co_u32 v6, vcc_lo, v7, v6
	v_add_co_ci_u32_e32 v7, vcc_lo, 0, v8, vcc_lo
	s_delay_alu instid0(VALU_DEP_4) | instskip(NEXT) | instid1(VALU_DEP_3)
	v_xor_b32_e32 v12, v9, v11
	v_add_co_u32 v2, vcc_lo, v2, v6
	s_delay_alu instid0(VALU_DEP_3) | instskip(SKIP_1) | instid1(VALU_DEP_3)
	v_add_co_ci_u32_e32 v13, vcc_lo, v5, v7, vcc_lo
	v_xor_b32_e32 v14, v10, v11
	v_mul_hi_u32 v15, v12, v2
	s_delay_alu instid0(VALU_DEP_3) | instskip(NEXT) | instid1(VALU_DEP_3)
	v_mad_u64_u32 v[5:6], null, v12, v13, 0
	v_mad_u64_u32 v[7:8], null, v14, v2, 0
	;; [unrolled: 1-line block ×3, first 2 shown]
	s_delay_alu instid0(VALU_DEP_3) | instskip(NEXT) | instid1(VALU_DEP_4)
	v_add_co_u32 v2, vcc_lo, v15, v5
	v_add_co_ci_u32_e32 v5, vcc_lo, 0, v6, vcc_lo
	s_delay_alu instid0(VALU_DEP_2) | instskip(NEXT) | instid1(VALU_DEP_2)
	v_add_co_u32 v2, vcc_lo, v2, v7
	v_add_co_ci_u32_e32 v2, vcc_lo, v5, v8, vcc_lo
	v_add_co_ci_u32_e32 v5, vcc_lo, 0, v10, vcc_lo
	s_delay_alu instid0(VALU_DEP_2) | instskip(NEXT) | instid1(VALU_DEP_2)
	v_add_co_u32 v2, vcc_lo, v2, v9
	v_add_co_ci_u32_e32 v7, vcc_lo, 0, v5, vcc_lo
	s_delay_alu instid0(VALU_DEP_2) | instskip(SKIP_1) | instid1(VALU_DEP_3)
	v_mul_lo_u32 v8, s67, v2
	v_mad_u64_u32 v[5:6], null, s66, v2, 0
	v_mul_lo_u32 v9, s66, v7
	s_delay_alu instid0(VALU_DEP_2) | instskip(NEXT) | instid1(VALU_DEP_2)
	v_sub_co_u32 v5, vcc_lo, v12, v5
	v_add3_u32 v6, v6, v9, v8
	s_delay_alu instid0(VALU_DEP_1) | instskip(NEXT) | instid1(VALU_DEP_1)
	v_sub_nc_u32_e32 v8, v14, v6
	v_subrev_co_ci_u32_e64 v8, s0, s67, v8, vcc_lo
	v_add_co_u32 v9, s0, v2, 2
	s_delay_alu instid0(VALU_DEP_1) | instskip(SKIP_3) | instid1(VALU_DEP_3)
	v_add_co_ci_u32_e64 v10, s0, 0, v7, s0
	v_sub_co_u32 v12, s0, v5, s66
	v_sub_co_ci_u32_e32 v6, vcc_lo, v14, v6, vcc_lo
	v_subrev_co_ci_u32_e64 v8, s0, 0, v8, s0
	v_cmp_le_u32_e32 vcc_lo, s66, v12
	s_delay_alu instid0(VALU_DEP_3) | instskip(SKIP_1) | instid1(VALU_DEP_4)
	v_cmp_eq_u32_e64 s0, s67, v6
	v_cndmask_b32_e64 v12, 0, -1, vcc_lo
	v_cmp_le_u32_e32 vcc_lo, s67, v8
	v_cndmask_b32_e64 v13, 0, -1, vcc_lo
	v_cmp_le_u32_e32 vcc_lo, s66, v5
	;; [unrolled: 2-line block ×3, first 2 shown]
	v_cndmask_b32_e64 v14, 0, -1, vcc_lo
	v_cmp_eq_u32_e32 vcc_lo, s67, v8
	s_delay_alu instid0(VALU_DEP_2) | instskip(SKIP_3) | instid1(VALU_DEP_3)
	v_cndmask_b32_e64 v5, v14, v5, s0
	v_cndmask_b32_e32 v8, v13, v12, vcc_lo
	v_add_co_u32 v12, vcc_lo, v2, 1
	v_add_co_ci_u32_e32 v13, vcc_lo, 0, v7, vcc_lo
	v_cmp_ne_u32_e32 vcc_lo, 0, v8
	s_delay_alu instid0(VALU_DEP_2) | instskip(NEXT) | instid1(VALU_DEP_4)
	v_cndmask_b32_e32 v6, v13, v10, vcc_lo
	v_cndmask_b32_e32 v8, v12, v9, vcc_lo
	v_cmp_ne_u32_e32 vcc_lo, 0, v5
	v_xor_b32_e32 v5, s64, v11
	s_delay_alu instid0(VALU_DEP_3) | instskip(SKIP_1) | instid1(VALU_DEP_2)
	v_cndmask_b32_e32 v2, v2, v8, vcc_lo
	v_cndmask_b32_e32 v6, v7, v6, vcc_lo
	v_xor_b32_e32 v2, v2, v5
	s_delay_alu instid0(VALU_DEP_2) | instskip(NEXT) | instid1(VALU_DEP_2)
	v_xor_b32_e32 v6, v6, v5
	v_sub_co_u32 v7, vcc_lo, v2, v5
	s_delay_alu instid0(VALU_DEP_2)
	v_sub_co_ci_u32_e32 v8, vcc_lo, v6, v5, vcc_lo
.LBB23_5:                               ;   in Loop: Header=BB23_3 Depth=1
	s_and_not1_saveexec_b32 s0, s83
	s_cbranch_execz .LBB23_7
; %bb.6:                                ;   in Loop: Header=BB23_3 Depth=1
	s_sub_i32 s64, 0, s4
	v_mov_b32_e32 v8, v1
	v_mul_lo_u32 v2, s64, v0
	s_delay_alu instid0(VALU_DEP_1) | instskip(NEXT) | instid1(VALU_DEP_1)
	v_mul_hi_u32 v2, v0, v2
	v_add_nc_u32_e32 v2, v0, v2
	s_delay_alu instid0(VALU_DEP_1) | instskip(NEXT) | instid1(VALU_DEP_1)
	v_mul_hi_u32 v2, v3, v2
	v_mul_lo_u32 v5, v2, s4
	v_add_nc_u32_e32 v6, 1, v2
	s_delay_alu instid0(VALU_DEP_2) | instskip(NEXT) | instid1(VALU_DEP_1)
	v_sub_nc_u32_e32 v5, v3, v5
	v_subrev_nc_u32_e32 v7, s4, v5
	v_cmp_le_u32_e32 vcc_lo, s4, v5
	s_delay_alu instid0(VALU_DEP_2) | instskip(NEXT) | instid1(VALU_DEP_1)
	v_dual_cndmask_b32 v5, v5, v7 :: v_dual_cndmask_b32 v2, v2, v6
	v_cmp_le_u32_e32 vcc_lo, s4, v5
	s_delay_alu instid0(VALU_DEP_2) | instskip(NEXT) | instid1(VALU_DEP_1)
	v_add_nc_u32_e32 v6, 1, v2
	v_cndmask_b32_e32 v7, v2, v6, vcc_lo
.LBB23_7:                               ;   in Loop: Header=BB23_3 Depth=1
	s_or_b32 exec_lo, exec_lo, s0
	s_delay_alu instid0(VALU_DEP_1) | instskip(SKIP_3) | instid1(VALU_DEP_1)
	v_mul_lo_u32 v2, s70, v7
	v_mul_lo_u32 v9, s71, v8
	v_mad_u64_u32 v[5:6], null, s71, v7, 0
	s_mov_b32 s0, exec_lo
	v_add3_u32 v6, v6, v9, v2
	s_delay_alu instid0(VALU_DEP_2) | instskip(NEXT) | instid1(VALU_DEP_2)
	v_add_co_u32 v16, vcc_lo, v3, v5
                                        ; implicit-def: $vgpr9_vgpr10
	v_add_co_ci_u32_e32 v18, vcc_lo, v4, v6, vcc_lo
	s_delay_alu instid0(VALU_DEP_1) | instskip(SKIP_1) | instid1(VALU_DEP_2)
	v_or_b32_e32 v2, s41, v18
	v_ashrrev_i32_e32 v15, 31, v18
	v_cmpx_ne_u64_e32 0, v[1:2]
	s_xor_b32 s83, exec_lo, s0
	s_cbranch_execz .LBB23_9
; %bb.8:                                ;   in Loop: Header=BB23_3 Depth=1
	s_ashr_i32 s64, s41, 31
	s_delay_alu instid0(SALU_CYCLE_1) | instskip(SKIP_2) | instid1(SALU_CYCLE_1)
	s_add_u32 s66, s40, s64
	s_mov_b32 s65, s64
	s_addc_u32 s67, s41, s64
	s_xor_b64 s[66:67], s[66:67], s[64:65]
	s_delay_alu instid0(SALU_CYCLE_1) | instskip(SKIP_3) | instid1(VALU_DEP_1)
	v_cvt_f32_u32_e32 v2, s66
	v_cvt_f32_u32_e32 v9, s67
	s_sub_u32 s0, 0, s66
	s_subb_u32 s65, 0, s67
	v_fmac_f32_e32 v2, 0x4f800000, v9
	s_delay_alu instid0(VALU_DEP_1) | instskip(SKIP_2) | instid1(VALU_DEP_1)
	v_rcp_f32_e32 v2, v2
	s_waitcnt_depctr 0xfff
	v_mul_f32_e32 v2, 0x5f7ffffc, v2
	v_mul_f32_e32 v9, 0x2f800000, v2
	s_delay_alu instid0(VALU_DEP_1) | instskip(NEXT) | instid1(VALU_DEP_1)
	v_trunc_f32_e32 v9, v9
	v_fmac_f32_e32 v2, 0xcf800000, v9
	v_cvt_u32_f32_e32 v9, v9
	s_delay_alu instid0(VALU_DEP_2) | instskip(NEXT) | instid1(VALU_DEP_2)
	v_cvt_u32_f32_e32 v2, v2
	v_mul_lo_u32 v10, s0, v9
	s_delay_alu instid0(VALU_DEP_2) | instskip(SKIP_1) | instid1(VALU_DEP_2)
	v_mul_hi_u32 v11, s0, v2
	v_mul_lo_u32 v12, s65, v2
	v_add_nc_u32_e32 v10, v11, v10
	v_mul_lo_u32 v11, s0, v2
	s_delay_alu instid0(VALU_DEP_2) | instskip(NEXT) | instid1(VALU_DEP_2)
	v_add_nc_u32_e32 v10, v10, v12
	v_mul_hi_u32 v12, v2, v11
	s_delay_alu instid0(VALU_DEP_2)
	v_mul_lo_u32 v13, v2, v10
	v_mul_hi_u32 v14, v2, v10
	v_mul_hi_u32 v17, v9, v11
	v_mul_lo_u32 v11, v9, v11
	v_mul_hi_u32 v19, v9, v10
	v_mul_lo_u32 v10, v9, v10
	v_add_co_u32 v12, vcc_lo, v12, v13
	v_add_co_ci_u32_e32 v13, vcc_lo, 0, v14, vcc_lo
	s_delay_alu instid0(VALU_DEP_2) | instskip(NEXT) | instid1(VALU_DEP_2)
	v_add_co_u32 v11, vcc_lo, v12, v11
	v_add_co_ci_u32_e32 v11, vcc_lo, v13, v17, vcc_lo
	v_add_co_ci_u32_e32 v12, vcc_lo, 0, v19, vcc_lo
	s_delay_alu instid0(VALU_DEP_2) | instskip(NEXT) | instid1(VALU_DEP_2)
	v_add_co_u32 v10, vcc_lo, v11, v10
	v_add_co_ci_u32_e32 v11, vcc_lo, 0, v12, vcc_lo
	s_delay_alu instid0(VALU_DEP_2) | instskip(NEXT) | instid1(VALU_DEP_2)
	v_add_co_u32 v2, vcc_lo, v2, v10
	v_add_co_ci_u32_e32 v9, vcc_lo, v9, v11, vcc_lo
	s_delay_alu instid0(VALU_DEP_2) | instskip(SKIP_1) | instid1(VALU_DEP_3)
	v_mul_hi_u32 v10, s0, v2
	v_mul_lo_u32 v12, s65, v2
	v_mul_lo_u32 v11, s0, v9
	s_delay_alu instid0(VALU_DEP_1) | instskip(SKIP_1) | instid1(VALU_DEP_2)
	v_add_nc_u32_e32 v10, v10, v11
	v_mul_lo_u32 v11, s0, v2
	v_add_nc_u32_e32 v10, v10, v12
	s_delay_alu instid0(VALU_DEP_2) | instskip(NEXT) | instid1(VALU_DEP_2)
	v_mul_hi_u32 v12, v2, v11
	v_mul_lo_u32 v13, v2, v10
	v_mul_hi_u32 v14, v2, v10
	v_mul_hi_u32 v17, v9, v11
	v_mul_lo_u32 v11, v9, v11
	v_mul_hi_u32 v19, v9, v10
	v_mul_lo_u32 v10, v9, v10
	v_add_co_u32 v12, vcc_lo, v12, v13
	v_add_co_ci_u32_e32 v13, vcc_lo, 0, v14, vcc_lo
	s_delay_alu instid0(VALU_DEP_2) | instskip(NEXT) | instid1(VALU_DEP_2)
	v_add_co_u32 v11, vcc_lo, v12, v11
	v_add_co_ci_u32_e32 v11, vcc_lo, v13, v17, vcc_lo
	v_add_co_ci_u32_e32 v12, vcc_lo, 0, v19, vcc_lo
	v_add_co_u32 v13, vcc_lo, v16, v15
	v_add_co_ci_u32_e32 v14, vcc_lo, v18, v15, vcc_lo
	s_delay_alu instid0(VALU_DEP_4) | instskip(NEXT) | instid1(VALU_DEP_4)
	v_add_co_u32 v10, vcc_lo, v11, v10
	v_add_co_ci_u32_e32 v11, vcc_lo, 0, v12, vcc_lo
	s_delay_alu instid0(VALU_DEP_4) | instskip(NEXT) | instid1(VALU_DEP_3)
	v_xor_b32_e32 v17, v13, v15
	v_add_co_u32 v2, vcc_lo, v2, v10
	s_delay_alu instid0(VALU_DEP_3) | instskip(SKIP_1) | instid1(VALU_DEP_3)
	v_add_co_ci_u32_e32 v19, vcc_lo, v9, v11, vcc_lo
	v_xor_b32_e32 v20, v14, v15
	v_mul_hi_u32 v21, v17, v2
	s_delay_alu instid0(VALU_DEP_3) | instskip(NEXT) | instid1(VALU_DEP_3)
	v_mad_u64_u32 v[9:10], null, v17, v19, 0
	v_mad_u64_u32 v[11:12], null, v20, v2, 0
	;; [unrolled: 1-line block ×3, first 2 shown]
	s_delay_alu instid0(VALU_DEP_3) | instskip(NEXT) | instid1(VALU_DEP_4)
	v_add_co_u32 v2, vcc_lo, v21, v9
	v_add_co_ci_u32_e32 v9, vcc_lo, 0, v10, vcc_lo
	s_delay_alu instid0(VALU_DEP_2) | instskip(NEXT) | instid1(VALU_DEP_2)
	v_add_co_u32 v2, vcc_lo, v2, v11
	v_add_co_ci_u32_e32 v2, vcc_lo, v9, v12, vcc_lo
	v_add_co_ci_u32_e32 v9, vcc_lo, 0, v14, vcc_lo
	s_delay_alu instid0(VALU_DEP_2) | instskip(NEXT) | instid1(VALU_DEP_2)
	v_add_co_u32 v2, vcc_lo, v2, v13
	v_add_co_ci_u32_e32 v11, vcc_lo, 0, v9, vcc_lo
	s_delay_alu instid0(VALU_DEP_2) | instskip(SKIP_1) | instid1(VALU_DEP_3)
	v_mul_lo_u32 v12, s67, v2
	v_mad_u64_u32 v[9:10], null, s66, v2, 0
	v_mul_lo_u32 v13, s66, v11
	s_delay_alu instid0(VALU_DEP_2) | instskip(NEXT) | instid1(VALU_DEP_2)
	v_sub_co_u32 v9, vcc_lo, v17, v9
	v_add3_u32 v10, v10, v13, v12
	s_delay_alu instid0(VALU_DEP_1) | instskip(NEXT) | instid1(VALU_DEP_1)
	v_sub_nc_u32_e32 v12, v20, v10
	v_subrev_co_ci_u32_e64 v12, s0, s67, v12, vcc_lo
	v_add_co_u32 v13, s0, v2, 2
	s_delay_alu instid0(VALU_DEP_1) | instskip(SKIP_3) | instid1(VALU_DEP_3)
	v_add_co_ci_u32_e64 v14, s0, 0, v11, s0
	v_sub_co_u32 v17, s0, v9, s66
	v_sub_co_ci_u32_e32 v10, vcc_lo, v20, v10, vcc_lo
	v_subrev_co_ci_u32_e64 v12, s0, 0, v12, s0
	v_cmp_le_u32_e32 vcc_lo, s66, v17
	s_delay_alu instid0(VALU_DEP_3) | instskip(SKIP_1) | instid1(VALU_DEP_4)
	v_cmp_eq_u32_e64 s0, s67, v10
	v_cndmask_b32_e64 v17, 0, -1, vcc_lo
	v_cmp_le_u32_e32 vcc_lo, s67, v12
	v_cndmask_b32_e64 v19, 0, -1, vcc_lo
	v_cmp_le_u32_e32 vcc_lo, s66, v9
	;; [unrolled: 2-line block ×3, first 2 shown]
	v_cndmask_b32_e64 v20, 0, -1, vcc_lo
	v_cmp_eq_u32_e32 vcc_lo, s67, v12
	s_delay_alu instid0(VALU_DEP_2) | instskip(SKIP_3) | instid1(VALU_DEP_3)
	v_cndmask_b32_e64 v9, v20, v9, s0
	v_cndmask_b32_e32 v12, v19, v17, vcc_lo
	v_add_co_u32 v17, vcc_lo, v2, 1
	v_add_co_ci_u32_e32 v19, vcc_lo, 0, v11, vcc_lo
	v_cmp_ne_u32_e32 vcc_lo, 0, v12
	s_delay_alu instid0(VALU_DEP_2) | instskip(NEXT) | instid1(VALU_DEP_4)
	v_cndmask_b32_e32 v10, v19, v14, vcc_lo
	v_cndmask_b32_e32 v12, v17, v13, vcc_lo
	v_cmp_ne_u32_e32 vcc_lo, 0, v9
	v_xor_b32_e32 v13, s64, v15
	s_delay_alu instid0(VALU_DEP_3) | instskip(NEXT) | instid1(VALU_DEP_1)
	v_dual_cndmask_b32 v2, v2, v12 :: v_dual_cndmask_b32 v9, v11, v10
	v_xor_b32_e32 v2, v2, v13
	s_delay_alu instid0(VALU_DEP_2) | instskip(NEXT) | instid1(VALU_DEP_2)
	v_xor_b32_e32 v10, v9, v13
	v_sub_co_u32 v9, vcc_lo, v2, v13
	s_delay_alu instid0(VALU_DEP_2)
	v_sub_co_ci_u32_e32 v10, vcc_lo, v10, v13, vcc_lo
.LBB23_9:                               ;   in Loop: Header=BB23_3 Depth=1
	s_or_saveexec_b32 s0, s83
	v_cvt_f32_u32_e32 v28, s40
	s_xor_b32 exec_lo, exec_lo, s0
	s_cbranch_execz .LBB23_11
; %bb.10:                               ;   in Loop: Header=BB23_3 Depth=1
	s_delay_alu instid0(VALU_DEP_1) | instskip(SKIP_3) | instid1(VALU_DEP_1)
	v_rcp_iflag_f32_e32 v2, v28
	s_sub_i32 s64, 0, s40
	s_waitcnt_depctr 0xfff
	v_mul_f32_e32 v2, 0x4f7ffffe, v2
	v_cvt_u32_f32_e32 v2, v2
	s_delay_alu instid0(VALU_DEP_1) | instskip(NEXT) | instid1(VALU_DEP_1)
	v_mul_lo_u32 v9, s64, v2
	v_mul_hi_u32 v9, v2, v9
	s_delay_alu instid0(VALU_DEP_1) | instskip(NEXT) | instid1(VALU_DEP_1)
	v_add_nc_u32_e32 v2, v2, v9
	v_mul_hi_u32 v2, v16, v2
	s_delay_alu instid0(VALU_DEP_1) | instskip(SKIP_1) | instid1(VALU_DEP_2)
	v_mul_lo_u32 v9, v2, s40
	v_add_nc_u32_e32 v10, 1, v2
	v_sub_nc_u32_e32 v9, v16, v9
	s_delay_alu instid0(VALU_DEP_1) | instskip(SKIP_1) | instid1(VALU_DEP_2)
	v_subrev_nc_u32_e32 v11, s40, v9
	v_cmp_le_u32_e32 vcc_lo, s40, v9
	v_dual_cndmask_b32 v9, v9, v11 :: v_dual_cndmask_b32 v2, v2, v10
	s_delay_alu instid0(VALU_DEP_1) | instskip(NEXT) | instid1(VALU_DEP_2)
	v_cmp_le_u32_e32 vcc_lo, s40, v9
	v_add_nc_u32_e32 v10, 1, v2
	s_delay_alu instid0(VALU_DEP_1)
	v_dual_cndmask_b32 v9, v2, v10 :: v_dual_mov_b32 v10, v1
.LBB23_11:                              ;   in Loop: Header=BB23_3 Depth=1
	s_or_b32 exec_lo, exec_lo, s0
	s_delay_alu instid0(VALU_DEP_1) | instskip(NEXT) | instid1(VALU_DEP_2)
	v_mul_lo_u32 v2, v10, s40
	v_mul_lo_u32 v13, v9, s41
	v_mad_u64_u32 v[11:12], null, v9, s40, 0
	v_mul_lo_u32 v14, v10, s12
	v_mul_lo_u32 v17, v9, s13
	s_mov_b32 s0, exec_lo
	s_delay_alu instid0(VALU_DEP_3) | instskip(NEXT) | instid1(VALU_DEP_4)
	v_add3_u32 v2, v12, v13, v2
	v_sub_co_u32 v10, vcc_lo, v5, v11
	s_delay_alu instid0(VALU_DEP_2) | instskip(NEXT) | instid1(VALU_DEP_2)
	v_sub_co_ci_u32_e32 v2, vcc_lo, v6, v2, vcc_lo
	v_add_co_u32 v19, vcc_lo, v3, v10
	v_mad_u64_u32 v[10:11], null, v9, s12, 0
	s_delay_alu instid0(VALU_DEP_3) | instskip(NEXT) | instid1(VALU_DEP_3)
	v_add_co_ci_u32_e32 v2, vcc_lo, v4, v2, vcc_lo
	v_mul_lo_u32 v9, v19, s15
	v_mad_u64_u32 v[12:13], null, v19, s14, 0
	s_delay_alu instid0(VALU_DEP_3) | instskip(SKIP_1) | instid1(VALU_DEP_2)
	v_mul_lo_u32 v2, v2, s14
	v_add3_u32 v11, v11, v17, v14
	v_add3_u32 v13, v13, v9, v2
	s_delay_alu instid0(VALU_DEP_2) | instskip(NEXT) | instid1(VALU_DEP_2)
	v_lshlrev_b64 v[9:10], 2, v[10:11]
	v_lshlrev_b64 v[11:12], 2, v[12:13]
	s_delay_alu instid0(VALU_DEP_2) | instskip(NEXT) | instid1(VALU_DEP_3)
	v_add_co_u32 v2, vcc_lo, s34, v9
	v_add_co_ci_u32_e32 v10, vcc_lo, s35, v10, vcc_lo
	s_delay_alu instid0(VALU_DEP_2) | instskip(NEXT) | instid1(VALU_DEP_2)
	v_add_co_u32 v9, vcc_lo, v2, v11
	v_add_co_ci_u32_e32 v10, vcc_lo, v10, v12, vcc_lo
	v_mad_u64_u32 v[11:12], null, v7, 3, 0
	global_load_b32 v25, v[9:10], off
	v_mov_b32_e32 v2, v12
                                        ; implicit-def: $vgpr12_vgpr13
	s_delay_alu instid0(VALU_DEP_1) | instskip(SKIP_2) | instid1(VALU_DEP_3)
	v_mad_u64_u32 v[9:10], null, v8, 3, v[2:3]
	v_mul_lo_u32 v2, s5, v11
	v_mad_u64_u32 v[7:8], null, s4, v11, s[4:5]
	v_mul_lo_u32 v10, s4, v9
	s_delay_alu instid0(VALU_DEP_2) | instskip(NEXT) | instid1(VALU_DEP_2)
	v_add_co_u32 v19, vcc_lo, v3, v7
	v_add3_u32 v8, v2, v8, v10
	s_delay_alu instid0(VALU_DEP_1) | instskip(NEXT) | instid1(VALU_DEP_1)
	v_add_co_ci_u32_e32 v21, vcc_lo, v4, v8, vcc_lo
	v_or_b32_e32 v2, s41, v21
	v_ashrrev_i32_e32 v17, 31, v21
	s_delay_alu instid0(VALU_DEP_2)
	v_cmpx_ne_u64_e32 0, v[1:2]
	s_xor_b32 s83, exec_lo, s0
	s_cbranch_execz .LBB23_13
; %bb.12:                               ;   in Loop: Header=BB23_3 Depth=1
	s_ashr_i32 s64, s41, 31
	s_delay_alu instid0(SALU_CYCLE_1) | instskip(SKIP_2) | instid1(SALU_CYCLE_1)
	s_add_u32 s66, s40, s64
	s_mov_b32 s65, s64
	s_addc_u32 s67, s41, s64
	s_xor_b64 s[66:67], s[66:67], s[64:65]
	s_delay_alu instid0(SALU_CYCLE_1) | instskip(SKIP_3) | instid1(VALU_DEP_1)
	v_cvt_f32_u32_e32 v2, s66
	v_cvt_f32_u32_e32 v10, s67
	s_sub_u32 s0, 0, s66
	s_subb_u32 s65, 0, s67
	v_fmac_f32_e32 v2, 0x4f800000, v10
	s_delay_alu instid0(VALU_DEP_1) | instskip(SKIP_2) | instid1(VALU_DEP_1)
	v_rcp_f32_e32 v2, v2
	s_waitcnt_depctr 0xfff
	v_mul_f32_e32 v2, 0x5f7ffffc, v2
	v_mul_f32_e32 v10, 0x2f800000, v2
	s_delay_alu instid0(VALU_DEP_1) | instskip(NEXT) | instid1(VALU_DEP_1)
	v_trunc_f32_e32 v10, v10
	v_fmac_f32_e32 v2, 0xcf800000, v10
	v_cvt_u32_f32_e32 v10, v10
	s_delay_alu instid0(VALU_DEP_2) | instskip(NEXT) | instid1(VALU_DEP_2)
	v_cvt_u32_f32_e32 v2, v2
	v_mul_lo_u32 v12, s0, v10
	s_delay_alu instid0(VALU_DEP_2) | instskip(SKIP_1) | instid1(VALU_DEP_2)
	v_mul_hi_u32 v13, s0, v2
	v_mul_lo_u32 v14, s65, v2
	v_add_nc_u32_e32 v12, v13, v12
	v_mul_lo_u32 v13, s0, v2
	s_delay_alu instid0(VALU_DEP_2) | instskip(NEXT) | instid1(VALU_DEP_2)
	v_add_nc_u32_e32 v12, v12, v14
	v_mul_hi_u32 v14, v2, v13
	s_delay_alu instid0(VALU_DEP_2)
	v_mul_lo_u32 v20, v2, v12
	v_mul_hi_u32 v22, v2, v12
	v_mul_hi_u32 v23, v10, v13
	v_mul_lo_u32 v13, v10, v13
	v_mul_hi_u32 v24, v10, v12
	v_mul_lo_u32 v12, v10, v12
	v_add_co_u32 v14, vcc_lo, v14, v20
	v_add_co_ci_u32_e32 v20, vcc_lo, 0, v22, vcc_lo
	s_delay_alu instid0(VALU_DEP_2) | instskip(NEXT) | instid1(VALU_DEP_2)
	v_add_co_u32 v13, vcc_lo, v14, v13
	v_add_co_ci_u32_e32 v13, vcc_lo, v20, v23, vcc_lo
	v_add_co_ci_u32_e32 v14, vcc_lo, 0, v24, vcc_lo
	s_delay_alu instid0(VALU_DEP_2) | instskip(NEXT) | instid1(VALU_DEP_2)
	v_add_co_u32 v12, vcc_lo, v13, v12
	v_add_co_ci_u32_e32 v13, vcc_lo, 0, v14, vcc_lo
	s_delay_alu instid0(VALU_DEP_2) | instskip(NEXT) | instid1(VALU_DEP_2)
	v_add_co_u32 v2, vcc_lo, v2, v12
	v_add_co_ci_u32_e32 v10, vcc_lo, v10, v13, vcc_lo
	s_delay_alu instid0(VALU_DEP_2) | instskip(SKIP_1) | instid1(VALU_DEP_3)
	v_mul_hi_u32 v12, s0, v2
	v_mul_lo_u32 v14, s65, v2
	v_mul_lo_u32 v13, s0, v10
	s_delay_alu instid0(VALU_DEP_1) | instskip(SKIP_1) | instid1(VALU_DEP_2)
	v_add_nc_u32_e32 v12, v12, v13
	v_mul_lo_u32 v13, s0, v2
	v_add_nc_u32_e32 v12, v12, v14
	s_delay_alu instid0(VALU_DEP_2) | instskip(NEXT) | instid1(VALU_DEP_2)
	v_mul_hi_u32 v14, v2, v13
	v_mul_lo_u32 v20, v2, v12
	v_mul_hi_u32 v22, v2, v12
	v_mul_hi_u32 v23, v10, v13
	v_mul_lo_u32 v13, v10, v13
	v_mul_hi_u32 v24, v10, v12
	v_mul_lo_u32 v12, v10, v12
	v_add_co_u32 v14, vcc_lo, v14, v20
	v_add_co_ci_u32_e32 v20, vcc_lo, 0, v22, vcc_lo
	s_delay_alu instid0(VALU_DEP_2) | instskip(NEXT) | instid1(VALU_DEP_2)
	v_add_co_u32 v13, vcc_lo, v14, v13
	v_add_co_ci_u32_e32 v13, vcc_lo, v20, v23, vcc_lo
	v_add_co_ci_u32_e32 v14, vcc_lo, 0, v24, vcc_lo
	v_add_co_u32 v20, vcc_lo, v19, v17
	v_add_co_ci_u32_e32 v22, vcc_lo, v21, v17, vcc_lo
	s_delay_alu instid0(VALU_DEP_4) | instskip(NEXT) | instid1(VALU_DEP_4)
	v_add_co_u32 v12, vcc_lo, v13, v12
	v_add_co_ci_u32_e32 v13, vcc_lo, 0, v14, vcc_lo
	s_delay_alu instid0(VALU_DEP_4) | instskip(NEXT) | instid1(VALU_DEP_3)
	v_xor_b32_e32 v14, v20, v17
	v_add_co_u32 v2, vcc_lo, v2, v12
	s_delay_alu instid0(VALU_DEP_3) | instskip(SKIP_1) | instid1(VALU_DEP_3)
	v_add_co_ci_u32_e32 v10, vcc_lo, v10, v13, vcc_lo
	v_xor_b32_e32 v20, v22, v17
	v_mul_hi_u32 v24, v14, v2
	s_delay_alu instid0(VALU_DEP_3) | instskip(NEXT) | instid1(VALU_DEP_3)
	v_mad_u64_u32 v[12:13], null, v14, v10, 0
	v_mad_u64_u32 v[22:23], null, v20, v2, 0
	;; [unrolled: 1-line block ×3, first 2 shown]
	s_delay_alu instid0(VALU_DEP_3) | instskip(NEXT) | instid1(VALU_DEP_4)
	v_add_co_u32 v2, vcc_lo, v24, v12
	v_add_co_ci_u32_e32 v10, vcc_lo, 0, v13, vcc_lo
	s_delay_alu instid0(VALU_DEP_2) | instskip(NEXT) | instid1(VALU_DEP_2)
	v_add_co_u32 v2, vcc_lo, v2, v22
	v_add_co_ci_u32_e32 v2, vcc_lo, v10, v23, vcc_lo
	v_add_co_ci_u32_e32 v10, vcc_lo, 0, v27, vcc_lo
	s_delay_alu instid0(VALU_DEP_2) | instskip(NEXT) | instid1(VALU_DEP_2)
	v_add_co_u32 v2, vcc_lo, v2, v26
	v_add_co_ci_u32_e32 v10, vcc_lo, 0, v10, vcc_lo
	s_delay_alu instid0(VALU_DEP_2) | instskip(SKIP_1) | instid1(VALU_DEP_3)
	v_mul_lo_u32 v22, s67, v2
	v_mad_u64_u32 v[12:13], null, s66, v2, 0
	v_mul_lo_u32 v23, s66, v10
	s_delay_alu instid0(VALU_DEP_2) | instskip(NEXT) | instid1(VALU_DEP_2)
	v_sub_co_u32 v12, vcc_lo, v14, v12
	v_add3_u32 v13, v13, v23, v22
	s_delay_alu instid0(VALU_DEP_1) | instskip(NEXT) | instid1(VALU_DEP_1)
	v_sub_nc_u32_e32 v22, v20, v13
	v_subrev_co_ci_u32_e64 v14, s0, s67, v22, vcc_lo
	v_add_co_u32 v22, s0, v2, 2
	s_delay_alu instid0(VALU_DEP_1) | instskip(SKIP_3) | instid1(VALU_DEP_3)
	v_add_co_ci_u32_e64 v23, s0, 0, v10, s0
	v_sub_co_u32 v24, s0, v12, s66
	v_sub_co_ci_u32_e32 v13, vcc_lo, v20, v13, vcc_lo
	v_subrev_co_ci_u32_e64 v14, s0, 0, v14, s0
	v_cmp_le_u32_e32 vcc_lo, s66, v24
	s_delay_alu instid0(VALU_DEP_3) | instskip(SKIP_1) | instid1(VALU_DEP_4)
	v_cmp_eq_u32_e64 s0, s67, v13
	v_cndmask_b32_e64 v20, 0, -1, vcc_lo
	v_cmp_le_u32_e32 vcc_lo, s67, v14
	v_cndmask_b32_e64 v24, 0, -1, vcc_lo
	v_cmp_le_u32_e32 vcc_lo, s66, v12
	;; [unrolled: 2-line block ×3, first 2 shown]
	v_cndmask_b32_e64 v26, 0, -1, vcc_lo
	v_cmp_eq_u32_e32 vcc_lo, s67, v14
	s_delay_alu instid0(VALU_DEP_2) | instskip(SKIP_3) | instid1(VALU_DEP_3)
	v_cndmask_b32_e64 v12, v26, v12, s0
	v_cndmask_b32_e32 v14, v24, v20, vcc_lo
	v_add_co_u32 v20, vcc_lo, v2, 1
	v_add_co_ci_u32_e32 v24, vcc_lo, 0, v10, vcc_lo
	v_cmp_ne_u32_e32 vcc_lo, 0, v14
	s_delay_alu instid0(VALU_DEP_2) | instskip(NEXT) | instid1(VALU_DEP_4)
	v_cndmask_b32_e32 v13, v24, v23, vcc_lo
	v_cndmask_b32_e32 v14, v20, v22, vcc_lo
	v_cmp_ne_u32_e32 vcc_lo, 0, v12
	v_xor_b32_e32 v20, s64, v17
	s_delay_alu instid0(VALU_DEP_3) | instskip(SKIP_1) | instid1(VALU_DEP_2)
	v_cndmask_b32_e32 v2, v2, v14, vcc_lo
	v_cndmask_b32_e32 v10, v10, v13, vcc_lo
	v_xor_b32_e32 v2, v2, v20
	s_delay_alu instid0(VALU_DEP_2) | instskip(NEXT) | instid1(VALU_DEP_2)
	v_xor_b32_e32 v10, v10, v20
	v_sub_co_u32 v12, vcc_lo, v2, v20
	s_delay_alu instid0(VALU_DEP_2)
	v_sub_co_ci_u32_e32 v13, vcc_lo, v10, v20, vcc_lo
.LBB23_13:                              ;   in Loop: Header=BB23_3 Depth=1
	s_and_not1_saveexec_b32 s0, s83
	s_cbranch_execz .LBB23_15
; %bb.14:                               ;   in Loop: Header=BB23_3 Depth=1
	v_rcp_iflag_f32_e32 v2, v28
	s_sub_i32 s64, 0, s40
	s_waitcnt_depctr 0xfff
	v_mul_f32_e32 v2, 0x4f7ffffe, v2
	s_delay_alu instid0(VALU_DEP_1) | instskip(NEXT) | instid1(VALU_DEP_1)
	v_cvt_u32_f32_e32 v2, v2
	v_mul_lo_u32 v10, s64, v2
	s_delay_alu instid0(VALU_DEP_1) | instskip(NEXT) | instid1(VALU_DEP_1)
	v_mul_hi_u32 v10, v2, v10
	v_add_nc_u32_e32 v2, v2, v10
	s_delay_alu instid0(VALU_DEP_1) | instskip(NEXT) | instid1(VALU_DEP_1)
	v_mul_hi_u32 v2, v19, v2
	v_mul_lo_u32 v10, v2, s40
	v_add_nc_u32_e32 v12, 1, v2
	s_delay_alu instid0(VALU_DEP_2) | instskip(NEXT) | instid1(VALU_DEP_1)
	v_sub_nc_u32_e32 v10, v19, v10
	v_subrev_nc_u32_e32 v13, s40, v10
	v_cmp_le_u32_e32 vcc_lo, s40, v10
	s_delay_alu instid0(VALU_DEP_2) | instskip(SKIP_1) | instid1(VALU_DEP_2)
	v_dual_cndmask_b32 v10, v10, v13 :: v_dual_mov_b32 v13, v1
	v_cndmask_b32_e32 v2, v2, v12, vcc_lo
	v_cmp_le_u32_e32 vcc_lo, s40, v10
	s_delay_alu instid0(VALU_DEP_2) | instskip(NEXT) | instid1(VALU_DEP_1)
	v_add_nc_u32_e32 v12, 1, v2
	v_cndmask_b32_e32 v12, v2, v12, vcc_lo
.LBB23_15:                              ;   in Loop: Header=BB23_3 Depth=1
	s_or_b32 exec_lo, exec_lo, s0
	s_delay_alu instid0(VALU_DEP_1) | instskip(NEXT) | instid1(VALU_DEP_2)
	v_mul_lo_u32 v2, v13, s40
	v_mul_lo_u32 v10, v12, s41
	v_mad_u64_u32 v[22:23], null, v12, s40, 0
	v_mul_lo_u32 v20, v12, s13
	s_mov_b32 s0, exec_lo
	s_delay_alu instid0(VALU_DEP_2) | instskip(SKIP_1) | instid1(VALU_DEP_4)
	v_add3_u32 v2, v23, v10, v2
	v_mul_lo_u32 v10, v13, s12
	v_sub_co_u32 v13, vcc_lo, v7, v22
	s_delay_alu instid0(VALU_DEP_3) | instskip(NEXT) | instid1(VALU_DEP_2)
	v_sub_co_ci_u32_e32 v2, vcc_lo, v8, v2, vcc_lo
	v_add_co_u32 v24, vcc_lo, v3, v13
	v_mad_u64_u32 v[13:14], null, v12, s12, 0
	s_delay_alu instid0(VALU_DEP_3) | instskip(NEXT) | instid1(VALU_DEP_3)
	v_add_co_ci_u32_e32 v2, vcc_lo, v4, v2, vcc_lo
	v_mul_lo_u32 v12, v24, s15
	v_mad_u64_u32 v[22:23], null, v24, s14, 0
	s_delay_alu instid0(VALU_DEP_3) | instskip(SKIP_1) | instid1(VALU_DEP_2)
	v_mul_lo_u32 v2, v2, s14
	v_add3_u32 v14, v14, v20, v10
	v_add3_u32 v23, v23, v12, v2
	s_delay_alu instid0(VALU_DEP_2) | instskip(SKIP_1) | instid1(VALU_DEP_3)
	v_lshlrev_b64 v[12:13], 2, v[13:14]
	v_mov_b32_e32 v14, v9
	v_lshlrev_b64 v[22:23], 2, v[22:23]
	s_delay_alu instid0(VALU_DEP_3) | instskip(NEXT) | instid1(VALU_DEP_4)
	v_add_co_u32 v2, vcc_lo, s34, v12
	v_add_co_ci_u32_e32 v10, vcc_lo, s35, v13, vcc_lo
	s_delay_alu instid0(VALU_DEP_2) | instskip(NEXT) | instid1(VALU_DEP_2)
	v_add_co_u32 v12, vcc_lo, v2, v22
	v_add_co_ci_u32_e32 v13, vcc_lo, v10, v23, vcc_lo
	v_add_co_u32 v2, vcc_lo, v11, 2
	v_add_co_ci_u32_e32 v9, vcc_lo, 0, v14, vcc_lo
	global_load_b32 v26, v[12:13], off
	v_mul_lo_u32 v12, s5, v2
	v_mul_lo_u32 v13, s4, v9
	v_mad_u64_u32 v[9:10], null, s4, v2, 0
	s_delay_alu instid0(VALU_DEP_1) | instskip(NEXT) | instid1(VALU_DEP_2)
	v_add3_u32 v10, v10, v13, v12
	v_add_co_u32 v23, vcc_lo, v3, v9
                                        ; implicit-def: $vgpr12_vgpr13
	s_delay_alu instid0(VALU_DEP_2) | instskip(NEXT) | instid1(VALU_DEP_1)
	v_add_co_ci_u32_e32 v24, vcc_lo, v4, v10, vcc_lo
	v_or_b32_e32 v2, s41, v24
	v_ashrrev_i32_e32 v20, 31, v24
	s_delay_alu instid0(VALU_DEP_2)
	v_cmpx_ne_u64_e32 0, v[1:2]
	s_xor_b32 s83, exec_lo, s0
	s_cbranch_execz .LBB23_17
; %bb.16:                               ;   in Loop: Header=BB23_3 Depth=1
	s_ashr_i32 s64, s41, 31
	s_delay_alu instid0(SALU_CYCLE_1) | instskip(SKIP_2) | instid1(SALU_CYCLE_1)
	s_add_u32 s66, s40, s64
	s_mov_b32 s65, s64
	s_addc_u32 s67, s41, s64
	s_xor_b64 s[66:67], s[66:67], s[64:65]
	s_delay_alu instid0(SALU_CYCLE_1) | instskip(SKIP_3) | instid1(VALU_DEP_1)
	v_cvt_f32_u32_e32 v2, s66
	v_cvt_f32_u32_e32 v12, s67
	s_sub_u32 s0, 0, s66
	s_subb_u32 s65, 0, s67
	v_fmac_f32_e32 v2, 0x4f800000, v12
	s_delay_alu instid0(VALU_DEP_1) | instskip(SKIP_2) | instid1(VALU_DEP_1)
	v_rcp_f32_e32 v2, v2
	s_waitcnt_depctr 0xfff
	v_mul_f32_e32 v2, 0x5f7ffffc, v2
	v_mul_f32_e32 v12, 0x2f800000, v2
	s_delay_alu instid0(VALU_DEP_1) | instskip(NEXT) | instid1(VALU_DEP_1)
	v_trunc_f32_e32 v12, v12
	v_fmac_f32_e32 v2, 0xcf800000, v12
	v_cvt_u32_f32_e32 v12, v12
	s_delay_alu instid0(VALU_DEP_2) | instskip(NEXT) | instid1(VALU_DEP_2)
	v_cvt_u32_f32_e32 v2, v2
	v_mul_lo_u32 v13, s0, v12
	s_delay_alu instid0(VALU_DEP_2) | instskip(SKIP_1) | instid1(VALU_DEP_2)
	v_mul_hi_u32 v22, s0, v2
	v_mul_lo_u32 v27, s65, v2
	v_add_nc_u32_e32 v13, v22, v13
	v_mul_lo_u32 v22, s0, v2
	s_delay_alu instid0(VALU_DEP_2) | instskip(NEXT) | instid1(VALU_DEP_2)
	v_add_nc_u32_e32 v13, v13, v27
	v_mul_hi_u32 v27, v2, v22
	s_delay_alu instid0(VALU_DEP_2)
	v_mul_lo_u32 v29, v2, v13
	v_mul_hi_u32 v30, v2, v13
	v_mul_hi_u32 v31, v12, v22
	v_mul_lo_u32 v22, v12, v22
	v_mul_hi_u32 v32, v12, v13
	v_mul_lo_u32 v13, v12, v13
	v_add_co_u32 v27, vcc_lo, v27, v29
	v_add_co_ci_u32_e32 v29, vcc_lo, 0, v30, vcc_lo
	s_delay_alu instid0(VALU_DEP_2) | instskip(NEXT) | instid1(VALU_DEP_2)
	v_add_co_u32 v22, vcc_lo, v27, v22
	v_add_co_ci_u32_e32 v22, vcc_lo, v29, v31, vcc_lo
	v_add_co_ci_u32_e32 v27, vcc_lo, 0, v32, vcc_lo
	s_delay_alu instid0(VALU_DEP_2) | instskip(NEXT) | instid1(VALU_DEP_2)
	v_add_co_u32 v13, vcc_lo, v22, v13
	v_add_co_ci_u32_e32 v22, vcc_lo, 0, v27, vcc_lo
	s_delay_alu instid0(VALU_DEP_2) | instskip(NEXT) | instid1(VALU_DEP_2)
	v_add_co_u32 v2, vcc_lo, v2, v13
	v_add_co_ci_u32_e32 v12, vcc_lo, v12, v22, vcc_lo
	s_delay_alu instid0(VALU_DEP_2) | instskip(SKIP_1) | instid1(VALU_DEP_3)
	v_mul_hi_u32 v13, s0, v2
	v_mul_lo_u32 v27, s65, v2
	v_mul_lo_u32 v22, s0, v12
	s_delay_alu instid0(VALU_DEP_1) | instskip(SKIP_1) | instid1(VALU_DEP_2)
	v_add_nc_u32_e32 v13, v13, v22
	v_mul_lo_u32 v22, s0, v2
	v_add_nc_u32_e32 v13, v13, v27
	s_delay_alu instid0(VALU_DEP_2) | instskip(NEXT) | instid1(VALU_DEP_2)
	v_mul_hi_u32 v27, v2, v22
	v_mul_lo_u32 v29, v2, v13
	v_mul_hi_u32 v30, v2, v13
	v_mul_hi_u32 v31, v12, v22
	v_mul_lo_u32 v22, v12, v22
	v_mul_hi_u32 v32, v12, v13
	v_mul_lo_u32 v13, v12, v13
	v_add_co_u32 v27, vcc_lo, v27, v29
	v_add_co_ci_u32_e32 v29, vcc_lo, 0, v30, vcc_lo
	s_delay_alu instid0(VALU_DEP_2) | instskip(NEXT) | instid1(VALU_DEP_2)
	v_add_co_u32 v22, vcc_lo, v27, v22
	v_add_co_ci_u32_e32 v22, vcc_lo, v29, v31, vcc_lo
	v_add_co_ci_u32_e32 v27, vcc_lo, 0, v32, vcc_lo
	v_add_co_u32 v29, vcc_lo, v23, v20
	v_add_co_ci_u32_e32 v30, vcc_lo, v24, v20, vcc_lo
	s_delay_alu instid0(VALU_DEP_4) | instskip(NEXT) | instid1(VALU_DEP_4)
	v_add_co_u32 v13, vcc_lo, v22, v13
	v_add_co_ci_u32_e32 v22, vcc_lo, 0, v27, vcc_lo
	s_delay_alu instid0(VALU_DEP_4) | instskip(NEXT) | instid1(VALU_DEP_3)
	v_xor_b32_e32 v27, v29, v20
	v_add_co_u32 v2, vcc_lo, v2, v13
	s_delay_alu instid0(VALU_DEP_3) | instskip(SKIP_1) | instid1(VALU_DEP_3)
	v_add_co_ci_u32_e32 v22, vcc_lo, v12, v22, vcc_lo
	v_xor_b32_e32 v33, v30, v20
	v_mul_hi_u32 v34, v27, v2
	s_delay_alu instid0(VALU_DEP_3) | instskip(NEXT) | instid1(VALU_DEP_3)
	v_mad_u64_u32 v[12:13], null, v27, v22, 0
	v_mad_u64_u32 v[29:30], null, v33, v2, 0
	;; [unrolled: 1-line block ×3, first 2 shown]
	s_delay_alu instid0(VALU_DEP_3) | instskip(NEXT) | instid1(VALU_DEP_4)
	v_add_co_u32 v2, vcc_lo, v34, v12
	v_add_co_ci_u32_e32 v12, vcc_lo, 0, v13, vcc_lo
	s_delay_alu instid0(VALU_DEP_2) | instskip(NEXT) | instid1(VALU_DEP_2)
	v_add_co_u32 v2, vcc_lo, v2, v29
	v_add_co_ci_u32_e32 v2, vcc_lo, v12, v30, vcc_lo
	v_add_co_ci_u32_e32 v12, vcc_lo, 0, v32, vcc_lo
	s_delay_alu instid0(VALU_DEP_2) | instskip(NEXT) | instid1(VALU_DEP_2)
	v_add_co_u32 v2, vcc_lo, v2, v31
	v_add_co_ci_u32_e32 v22, vcc_lo, 0, v12, vcc_lo
	s_delay_alu instid0(VALU_DEP_2) | instskip(SKIP_1) | instid1(VALU_DEP_3)
	v_mul_lo_u32 v29, s67, v2
	v_mad_u64_u32 v[12:13], null, s66, v2, 0
	v_mul_lo_u32 v30, s66, v22
	s_delay_alu instid0(VALU_DEP_2) | instskip(NEXT) | instid1(VALU_DEP_2)
	v_sub_co_u32 v12, vcc_lo, v27, v12
	v_add3_u32 v13, v13, v30, v29
	s_delay_alu instid0(VALU_DEP_1) | instskip(NEXT) | instid1(VALU_DEP_1)
	v_sub_nc_u32_e32 v29, v33, v13
	v_subrev_co_ci_u32_e64 v27, s0, s67, v29, vcc_lo
	v_add_co_u32 v29, s0, v2, 2
	s_delay_alu instid0(VALU_DEP_1) | instskip(SKIP_3) | instid1(VALU_DEP_3)
	v_add_co_ci_u32_e64 v30, s0, 0, v22, s0
	v_sub_co_u32 v31, s0, v12, s66
	v_sub_co_ci_u32_e32 v13, vcc_lo, v33, v13, vcc_lo
	v_subrev_co_ci_u32_e64 v27, s0, 0, v27, s0
	v_cmp_le_u32_e32 vcc_lo, s66, v31
	s_delay_alu instid0(VALU_DEP_3) | instskip(SKIP_1) | instid1(VALU_DEP_4)
	v_cmp_eq_u32_e64 s0, s67, v13
	v_cndmask_b32_e64 v31, 0, -1, vcc_lo
	v_cmp_le_u32_e32 vcc_lo, s67, v27
	v_cndmask_b32_e64 v32, 0, -1, vcc_lo
	v_cmp_le_u32_e32 vcc_lo, s66, v12
	;; [unrolled: 2-line block ×3, first 2 shown]
	v_cndmask_b32_e64 v33, 0, -1, vcc_lo
	v_cmp_eq_u32_e32 vcc_lo, s67, v27
	s_delay_alu instid0(VALU_DEP_2) | instskip(SKIP_3) | instid1(VALU_DEP_3)
	v_cndmask_b32_e64 v12, v33, v12, s0
	v_cndmask_b32_e32 v27, v32, v31, vcc_lo
	v_add_co_u32 v31, vcc_lo, v2, 1
	v_add_co_ci_u32_e32 v32, vcc_lo, 0, v22, vcc_lo
	v_cmp_ne_u32_e32 vcc_lo, 0, v27
	s_delay_alu instid0(VALU_DEP_3) | instskip(NEXT) | instid1(VALU_DEP_3)
	v_cndmask_b32_e32 v27, v31, v29, vcc_lo
	v_cndmask_b32_e32 v13, v32, v30, vcc_lo
	v_cmp_ne_u32_e32 vcc_lo, 0, v12
	v_xor_b32_e32 v29, s64, v20
	s_delay_alu instid0(VALU_DEP_4) | instskip(NEXT) | instid1(VALU_DEP_4)
	v_cndmask_b32_e32 v2, v2, v27, vcc_lo
	v_cndmask_b32_e32 v12, v22, v13, vcc_lo
	s_delay_alu instid0(VALU_DEP_2) | instskip(NEXT) | instid1(VALU_DEP_2)
	v_xor_b32_e32 v2, v2, v29
	v_xor_b32_e32 v13, v12, v29
	s_delay_alu instid0(VALU_DEP_2) | instskip(NEXT) | instid1(VALU_DEP_2)
	v_sub_co_u32 v12, vcc_lo, v2, v29
	v_sub_co_ci_u32_e32 v13, vcc_lo, v13, v29, vcc_lo
.LBB23_17:                              ;   in Loop: Header=BB23_3 Depth=1
	s_and_not1_saveexec_b32 s0, s83
	s_cbranch_execz .LBB23_19
; %bb.18:                               ;   in Loop: Header=BB23_3 Depth=1
	v_rcp_iflag_f32_e32 v2, v28
	s_sub_i32 s64, 0, s40
	s_waitcnt_depctr 0xfff
	v_mul_f32_e32 v2, 0x4f7ffffe, v2
	s_delay_alu instid0(VALU_DEP_1) | instskip(NEXT) | instid1(VALU_DEP_1)
	v_cvt_u32_f32_e32 v2, v2
	v_mul_lo_u32 v12, s64, v2
	s_delay_alu instid0(VALU_DEP_1) | instskip(NEXT) | instid1(VALU_DEP_1)
	v_mul_hi_u32 v12, v2, v12
	v_add_nc_u32_e32 v2, v2, v12
	s_delay_alu instid0(VALU_DEP_1) | instskip(NEXT) | instid1(VALU_DEP_1)
	v_mul_hi_u32 v2, v23, v2
	v_mul_lo_u32 v12, v2, s40
	v_add_nc_u32_e32 v13, 1, v2
	s_delay_alu instid0(VALU_DEP_2) | instskip(NEXT) | instid1(VALU_DEP_1)
	v_sub_nc_u32_e32 v12, v23, v12
	v_subrev_nc_u32_e32 v22, s40, v12
	v_cmp_le_u32_e32 vcc_lo, s40, v12
	s_delay_alu instid0(VALU_DEP_2) | instskip(SKIP_1) | instid1(VALU_DEP_2)
	v_cndmask_b32_e32 v12, v12, v22, vcc_lo
	v_cndmask_b32_e32 v2, v2, v13, vcc_lo
	v_cmp_le_u32_e32 vcc_lo, s40, v12
	s_delay_alu instid0(VALU_DEP_2) | instskip(NEXT) | instid1(VALU_DEP_1)
	v_add_nc_u32_e32 v13, 1, v2
	v_dual_cndmask_b32 v12, v2, v13 :: v_dual_mov_b32 v13, v1
.LBB23_19:                              ;   in Loop: Header=BB23_3 Depth=1
	s_or_b32 exec_lo, exec_lo, s0
	s_delay_alu instid0(VALU_DEP_1) | instskip(NEXT) | instid1(VALU_DEP_2)
	v_mul_lo_u32 v2, v13, s40
	v_mul_lo_u32 v22, v12, s41
	v_mad_u64_u32 v[29:30], null, v12, s40, 0
	v_mul_lo_u32 v27, v12, s13
	s_mov_b32 s0, exec_lo
	s_delay_alu instid0(VALU_DEP_2) | instskip(SKIP_1) | instid1(VALU_DEP_4)
	v_add3_u32 v2, v30, v22, v2
	v_mul_lo_u32 v22, v13, s12
	v_sub_co_u32 v13, vcc_lo, v9, v29
	v_mad_u64_u32 v[29:30], null, v12, s12, 0
	s_delay_alu instid0(VALU_DEP_4) | instskip(NEXT) | instid1(VALU_DEP_3)
	v_sub_co_ci_u32_e32 v2, vcc_lo, v10, v2, vcc_lo
	v_add_co_u32 v31, vcc_lo, v3, v13
	s_delay_alu instid0(VALU_DEP_2) | instskip(NEXT) | instid1(VALU_DEP_2)
	v_add_co_ci_u32_e32 v2, vcc_lo, v4, v2, vcc_lo
	v_mul_lo_u32 v32, v31, s15
	v_mad_u64_u32 v[12:13], null, v31, s14, 0
	s_delay_alu instid0(VALU_DEP_3) | instskip(SKIP_1) | instid1(VALU_DEP_1)
	v_mul_lo_u32 v2, v2, s14
	v_add3_u32 v30, v30, v27, v22
	v_lshlrev_b64 v[29:30], 2, v[29:30]
	s_delay_alu instid0(VALU_DEP_3) | instskip(NEXT) | instid1(VALU_DEP_2)
	v_add3_u32 v13, v13, v32, v2
	v_add_co_u32 v2, vcc_lo, s34, v29
	s_delay_alu instid0(VALU_DEP_2) | instskip(NEXT) | instid1(VALU_DEP_4)
	v_lshlrev_b64 v[12:13], 2, v[12:13]
	v_add_co_ci_u32_e32 v22, vcc_lo, s35, v30, vcc_lo
	s_delay_alu instid0(VALU_DEP_2) | instskip(NEXT) | instid1(VALU_DEP_2)
	v_add_co_u32 v12, vcc_lo, v2, v12
	v_add_co_ci_u32_e32 v13, vcc_lo, v22, v13, vcc_lo
	v_add_co_u32 v2, vcc_lo, v11, 3
	v_add_co_ci_u32_e32 v11, vcc_lo, 0, v14, vcc_lo
	global_load_b32 v27, v[12:13], off
	v_mul_lo_u32 v13, s5, v2
	v_mul_lo_u32 v14, s4, v11
	v_mad_u64_u32 v[11:12], null, s4, v2, 0
	s_delay_alu instid0(VALU_DEP_1) | instskip(NEXT) | instid1(VALU_DEP_2)
	v_add3_u32 v12, v12, v14, v13
	v_add_co_u32 v29, vcc_lo, v3, v11
                                        ; implicit-def: $vgpr13_vgpr14
	s_delay_alu instid0(VALU_DEP_2) | instskip(NEXT) | instid1(VALU_DEP_1)
	v_add_co_ci_u32_e32 v30, vcc_lo, v4, v12, vcc_lo
	v_or_b32_e32 v2, s41, v30
	v_ashrrev_i32_e32 v22, 31, v30
	s_delay_alu instid0(VALU_DEP_2)
	v_cmpx_ne_u64_e32 0, v[1:2]
	s_xor_b32 s83, exec_lo, s0
	s_cbranch_execz .LBB23_21
; %bb.20:                               ;   in Loop: Header=BB23_3 Depth=1
	s_ashr_i32 s64, s41, 31
	s_delay_alu instid0(SALU_CYCLE_1) | instskip(SKIP_2) | instid1(SALU_CYCLE_1)
	s_add_u32 s66, s40, s64
	s_mov_b32 s65, s64
	s_addc_u32 s67, s41, s64
	s_xor_b64 s[66:67], s[66:67], s[64:65]
	s_delay_alu instid0(SALU_CYCLE_1) | instskip(SKIP_3) | instid1(VALU_DEP_1)
	v_cvt_f32_u32_e32 v2, s66
	v_cvt_f32_u32_e32 v13, s67
	s_sub_u32 s0, 0, s66
	s_subb_u32 s65, 0, s67
	v_fmac_f32_e32 v2, 0x4f800000, v13
	s_delay_alu instid0(VALU_DEP_1) | instskip(SKIP_2) | instid1(VALU_DEP_1)
	v_rcp_f32_e32 v2, v2
	s_waitcnt_depctr 0xfff
	v_mul_f32_e32 v2, 0x5f7ffffc, v2
	v_mul_f32_e32 v13, 0x2f800000, v2
	s_delay_alu instid0(VALU_DEP_1) | instskip(NEXT) | instid1(VALU_DEP_1)
	v_trunc_f32_e32 v13, v13
	v_fmac_f32_e32 v2, 0xcf800000, v13
	v_cvt_u32_f32_e32 v13, v13
	s_delay_alu instid0(VALU_DEP_2) | instskip(NEXT) | instid1(VALU_DEP_2)
	v_cvt_u32_f32_e32 v2, v2
	v_mul_lo_u32 v14, s0, v13
	s_delay_alu instid0(VALU_DEP_2) | instskip(SKIP_1) | instid1(VALU_DEP_2)
	v_mul_hi_u32 v28, s0, v2
	v_mul_lo_u32 v31, s65, v2
	v_add_nc_u32_e32 v14, v28, v14
	v_mul_lo_u32 v28, s0, v2
	s_delay_alu instid0(VALU_DEP_2) | instskip(NEXT) | instid1(VALU_DEP_2)
	v_add_nc_u32_e32 v14, v14, v31
	v_mul_hi_u32 v31, v2, v28
	s_delay_alu instid0(VALU_DEP_2)
	v_mul_lo_u32 v32, v2, v14
	v_mul_hi_u32 v33, v2, v14
	v_mul_hi_u32 v34, v13, v28
	v_mul_lo_u32 v28, v13, v28
	v_mul_hi_u32 v35, v13, v14
	v_mul_lo_u32 v14, v13, v14
	v_add_co_u32 v31, vcc_lo, v31, v32
	v_add_co_ci_u32_e32 v32, vcc_lo, 0, v33, vcc_lo
	s_delay_alu instid0(VALU_DEP_2) | instskip(NEXT) | instid1(VALU_DEP_2)
	v_add_co_u32 v28, vcc_lo, v31, v28
	v_add_co_ci_u32_e32 v28, vcc_lo, v32, v34, vcc_lo
	v_add_co_ci_u32_e32 v31, vcc_lo, 0, v35, vcc_lo
	s_delay_alu instid0(VALU_DEP_2) | instskip(NEXT) | instid1(VALU_DEP_2)
	v_add_co_u32 v14, vcc_lo, v28, v14
	v_add_co_ci_u32_e32 v28, vcc_lo, 0, v31, vcc_lo
	s_delay_alu instid0(VALU_DEP_2) | instskip(NEXT) | instid1(VALU_DEP_2)
	v_add_co_u32 v2, vcc_lo, v2, v14
	v_add_co_ci_u32_e32 v13, vcc_lo, v13, v28, vcc_lo
	s_delay_alu instid0(VALU_DEP_2) | instskip(SKIP_1) | instid1(VALU_DEP_3)
	v_mul_hi_u32 v14, s0, v2
	v_mul_lo_u32 v31, s65, v2
	v_mul_lo_u32 v28, s0, v13
	s_delay_alu instid0(VALU_DEP_1) | instskip(SKIP_1) | instid1(VALU_DEP_2)
	v_add_nc_u32_e32 v14, v14, v28
	v_mul_lo_u32 v28, s0, v2
	v_add_nc_u32_e32 v14, v14, v31
	s_delay_alu instid0(VALU_DEP_2) | instskip(NEXT) | instid1(VALU_DEP_2)
	v_mul_hi_u32 v31, v2, v28
	v_mul_lo_u32 v32, v2, v14
	v_mul_hi_u32 v33, v2, v14
	v_mul_hi_u32 v34, v13, v28
	v_mul_lo_u32 v28, v13, v28
	v_mul_hi_u32 v35, v13, v14
	v_mul_lo_u32 v14, v13, v14
	v_add_co_u32 v31, vcc_lo, v31, v32
	v_add_co_ci_u32_e32 v32, vcc_lo, 0, v33, vcc_lo
	s_delay_alu instid0(VALU_DEP_2) | instskip(NEXT) | instid1(VALU_DEP_2)
	v_add_co_u32 v28, vcc_lo, v31, v28
	v_add_co_ci_u32_e32 v28, vcc_lo, v32, v34, vcc_lo
	v_add_co_ci_u32_e32 v31, vcc_lo, 0, v35, vcc_lo
	v_add_co_u32 v32, vcc_lo, v29, v22
	v_add_co_ci_u32_e32 v33, vcc_lo, v30, v22, vcc_lo
	s_delay_alu instid0(VALU_DEP_4) | instskip(NEXT) | instid1(VALU_DEP_4)
	v_add_co_u32 v14, vcc_lo, v28, v14
	v_add_co_ci_u32_e32 v28, vcc_lo, 0, v31, vcc_lo
	s_delay_alu instid0(VALU_DEP_4) | instskip(NEXT) | instid1(VALU_DEP_3)
	v_xor_b32_e32 v35, v32, v22
	v_add_co_u32 v2, vcc_lo, v2, v14
	s_delay_alu instid0(VALU_DEP_3) | instskip(SKIP_1) | instid1(VALU_DEP_3)
	v_add_co_ci_u32_e32 v28, vcc_lo, v13, v28, vcc_lo
	v_xor_b32_e32 v36, v33, v22
	v_mul_hi_u32 v37, v35, v2
	s_delay_alu instid0(VALU_DEP_3) | instskip(NEXT) | instid1(VALU_DEP_3)
	v_mad_u64_u32 v[13:14], null, v35, v28, 0
	v_mad_u64_u32 v[31:32], null, v36, v2, 0
	;; [unrolled: 1-line block ×3, first 2 shown]
	s_delay_alu instid0(VALU_DEP_3) | instskip(NEXT) | instid1(VALU_DEP_4)
	v_add_co_u32 v2, vcc_lo, v37, v13
	v_add_co_ci_u32_e32 v13, vcc_lo, 0, v14, vcc_lo
	s_delay_alu instid0(VALU_DEP_2) | instskip(NEXT) | instid1(VALU_DEP_2)
	v_add_co_u32 v2, vcc_lo, v2, v31
	v_add_co_ci_u32_e32 v2, vcc_lo, v13, v32, vcc_lo
	v_add_co_ci_u32_e32 v13, vcc_lo, 0, v34, vcc_lo
	s_delay_alu instid0(VALU_DEP_2) | instskip(NEXT) | instid1(VALU_DEP_2)
	v_add_co_u32 v2, vcc_lo, v2, v33
	v_add_co_ci_u32_e32 v28, vcc_lo, 0, v13, vcc_lo
	s_delay_alu instid0(VALU_DEP_2) | instskip(SKIP_1) | instid1(VALU_DEP_3)
	v_mul_lo_u32 v31, s67, v2
	v_mad_u64_u32 v[13:14], null, s66, v2, 0
	v_mul_lo_u32 v32, s66, v28
	s_delay_alu instid0(VALU_DEP_2) | instskip(NEXT) | instid1(VALU_DEP_2)
	v_sub_co_u32 v13, vcc_lo, v35, v13
	v_add3_u32 v14, v14, v32, v31
	s_delay_alu instid0(VALU_DEP_1) | instskip(NEXT) | instid1(VALU_DEP_1)
	v_sub_nc_u32_e32 v31, v36, v14
	v_subrev_co_ci_u32_e64 v31, s0, s67, v31, vcc_lo
	v_add_co_u32 v32, s0, v2, 2
	s_delay_alu instid0(VALU_DEP_1) | instskip(SKIP_3) | instid1(VALU_DEP_3)
	v_add_co_ci_u32_e64 v33, s0, 0, v28, s0
	v_sub_co_u32 v34, s0, v13, s66
	v_sub_co_ci_u32_e32 v14, vcc_lo, v36, v14, vcc_lo
	v_subrev_co_ci_u32_e64 v31, s0, 0, v31, s0
	v_cmp_le_u32_e32 vcc_lo, s66, v34
	s_delay_alu instid0(VALU_DEP_3) | instskip(SKIP_1) | instid1(VALU_DEP_4)
	v_cmp_eq_u32_e64 s0, s67, v14
	v_cndmask_b32_e64 v34, 0, -1, vcc_lo
	v_cmp_le_u32_e32 vcc_lo, s67, v31
	v_cndmask_b32_e64 v35, 0, -1, vcc_lo
	v_cmp_le_u32_e32 vcc_lo, s66, v13
	;; [unrolled: 2-line block ×3, first 2 shown]
	v_cndmask_b32_e64 v36, 0, -1, vcc_lo
	v_cmp_eq_u32_e32 vcc_lo, s67, v31
	s_delay_alu instid0(VALU_DEP_2) | instskip(SKIP_3) | instid1(VALU_DEP_3)
	v_cndmask_b32_e64 v13, v36, v13, s0
	v_cndmask_b32_e32 v31, v35, v34, vcc_lo
	v_add_co_u32 v34, vcc_lo, v2, 1
	v_add_co_ci_u32_e32 v35, vcc_lo, 0, v28, vcc_lo
	v_cmp_ne_u32_e32 vcc_lo, 0, v31
	s_delay_alu instid0(VALU_DEP_2) | instskip(SKIP_2) | instid1(VALU_DEP_3)
	v_dual_cndmask_b32 v14, v35, v33 :: v_dual_cndmask_b32 v31, v34, v32
	v_cmp_ne_u32_e32 vcc_lo, 0, v13
	v_xor_b32_e32 v32, s64, v22
	v_dual_cndmask_b32 v13, v28, v14 :: v_dual_cndmask_b32 v2, v2, v31
                                        ; implicit-def: $vgpr28
	s_delay_alu instid0(VALU_DEP_1) | instskip(NEXT) | instid1(VALU_DEP_2)
	v_xor_b32_e32 v14, v13, v32
	v_xor_b32_e32 v2, v2, v32
	s_delay_alu instid0(VALU_DEP_1) | instskip(NEXT) | instid1(VALU_DEP_3)
	v_sub_co_u32 v13, vcc_lo, v2, v32
	v_sub_co_ci_u32_e32 v14, vcc_lo, v14, v32, vcc_lo
.LBB23_21:                              ;   in Loop: Header=BB23_3 Depth=1
	s_and_not1_saveexec_b32 s0, s83
	s_cbranch_execz .LBB23_23
; %bb.22:                               ;   in Loop: Header=BB23_3 Depth=1
	v_rcp_iflag_f32_e32 v2, v28
	s_sub_i32 s64, 0, s40
	s_waitcnt_depctr 0xfff
	v_mul_f32_e32 v2, 0x4f7ffffe, v2
	s_delay_alu instid0(VALU_DEP_1) | instskip(NEXT) | instid1(VALU_DEP_1)
	v_cvt_u32_f32_e32 v2, v2
	v_mul_lo_u32 v13, s64, v2
	s_delay_alu instid0(VALU_DEP_1) | instskip(NEXT) | instid1(VALU_DEP_1)
	v_mul_hi_u32 v13, v2, v13
	v_add_nc_u32_e32 v2, v2, v13
	s_delay_alu instid0(VALU_DEP_1) | instskip(NEXT) | instid1(VALU_DEP_1)
	v_mul_hi_u32 v2, v29, v2
	v_mul_lo_u32 v13, v2, s40
	v_add_nc_u32_e32 v14, 1, v2
	s_delay_alu instid0(VALU_DEP_2) | instskip(NEXT) | instid1(VALU_DEP_1)
	v_sub_nc_u32_e32 v13, v29, v13
	v_subrev_nc_u32_e32 v28, s40, v13
	v_cmp_le_u32_e32 vcc_lo, s40, v13
	s_delay_alu instid0(VALU_DEP_2) | instskip(NEXT) | instid1(VALU_DEP_1)
	v_dual_cndmask_b32 v13, v13, v28 :: v_dual_cndmask_b32 v2, v2, v14
	v_cmp_le_u32_e32 vcc_lo, s40, v13
	s_delay_alu instid0(VALU_DEP_2) | instskip(NEXT) | instid1(VALU_DEP_1)
	v_add_nc_u32_e32 v14, 1, v2
	v_dual_cndmask_b32 v13, v2, v14 :: v_dual_mov_b32 v14, v1
.LBB23_23:                              ;   in Loop: Header=BB23_3 Depth=1
	s_or_b32 exec_lo, exec_lo, s0
	s_delay_alu instid0(VALU_DEP_1) | instskip(NEXT) | instid1(VALU_DEP_2)
	v_mul_lo_u32 v2, v14, s40
	v_mul_lo_u32 v28, v13, s41
	v_mad_u64_u32 v[31:32], null, v13, s40, 0
	v_mul_lo_u32 v33, v13, s13
	s_mov_b32 s0, exec_lo
	s_delay_alu instid0(VALU_DEP_2) | instskip(SKIP_1) | instid1(VALU_DEP_4)
	v_add3_u32 v2, v32, v28, v2
	v_mul_lo_u32 v28, v14, s12
	v_sub_co_u32 v14, vcc_lo, v11, v31
	v_mad_u64_u32 v[31:32], null, v13, s12, 0
	s_delay_alu instid0(VALU_DEP_4) | instskip(NEXT) | instid1(VALU_DEP_3)
	v_sub_co_ci_u32_e32 v2, vcc_lo, v12, v2, vcc_lo
	v_add_co_u32 v34, vcc_lo, v3, v14
	s_delay_alu instid0(VALU_DEP_2) | instskip(NEXT) | instid1(VALU_DEP_2)
	v_add_co_ci_u32_e32 v2, vcc_lo, v4, v2, vcc_lo
	v_mul_lo_u32 v35, v34, s15
	v_mad_u64_u32 v[13:14], null, v34, s14, 0
	s_delay_alu instid0(VALU_DEP_3) | instskip(SKIP_1) | instid1(VALU_DEP_1)
	v_mul_lo_u32 v2, v2, s14
	v_add3_u32 v32, v32, v33, v28
	v_lshlrev_b64 v[31:32], 2, v[31:32]
	s_delay_alu instid0(VALU_DEP_3) | instskip(NEXT) | instid1(VALU_DEP_2)
	v_add3_u32 v14, v14, v35, v2
	v_add_co_u32 v2, vcc_lo, s34, v31
	s_delay_alu instid0(VALU_DEP_2) | instskip(NEXT) | instid1(VALU_DEP_4)
	v_lshlrev_b64 v[13:14], 2, v[13:14]
	v_add_co_ci_u32_e32 v28, vcc_lo, s35, v32, vcc_lo
	s_delay_alu instid0(VALU_DEP_2) | instskip(NEXT) | instid1(VALU_DEP_2)
	v_add_co_u32 v13, vcc_lo, v2, v13
	v_add_co_ci_u32_e32 v14, vcc_lo, v28, v14, vcc_lo
	v_or_b32_e32 v2, s47, v18
	global_load_b32 v28, v[13:14], off
                                        ; implicit-def: $vgpr13_vgpr14
	v_cmpx_ne_u64_e32 0, v[1:2]
	s_xor_b32 s83, exec_lo, s0
	s_cbranch_execz .LBB23_25
; %bb.24:                               ;   in Loop: Header=BB23_3 Depth=1
	s_ashr_i32 s64, s47, 31
	s_delay_alu instid0(SALU_CYCLE_1) | instskip(SKIP_2) | instid1(SALU_CYCLE_1)
	s_add_u32 s66, s46, s64
	s_mov_b32 s65, s64
	s_addc_u32 s67, s47, s64
	s_xor_b64 s[66:67], s[66:67], s[64:65]
	s_delay_alu instid0(SALU_CYCLE_1) | instskip(SKIP_3) | instid1(VALU_DEP_1)
	v_cvt_f32_u32_e32 v2, s66
	v_cvt_f32_u32_e32 v13, s67
	s_sub_u32 s0, 0, s66
	s_subb_u32 s65, 0, s67
	v_fmac_f32_e32 v2, 0x4f800000, v13
	s_delay_alu instid0(VALU_DEP_1) | instskip(SKIP_2) | instid1(VALU_DEP_1)
	v_rcp_f32_e32 v2, v2
	s_waitcnt_depctr 0xfff
	v_mul_f32_e32 v2, 0x5f7ffffc, v2
	v_mul_f32_e32 v13, 0x2f800000, v2
	s_delay_alu instid0(VALU_DEP_1) | instskip(NEXT) | instid1(VALU_DEP_1)
	v_trunc_f32_e32 v13, v13
	v_fmac_f32_e32 v2, 0xcf800000, v13
	v_cvt_u32_f32_e32 v13, v13
	s_delay_alu instid0(VALU_DEP_2) | instskip(NEXT) | instid1(VALU_DEP_2)
	v_cvt_u32_f32_e32 v2, v2
	v_mul_lo_u32 v14, s0, v13
	s_delay_alu instid0(VALU_DEP_2) | instskip(SKIP_1) | instid1(VALU_DEP_2)
	v_mul_hi_u32 v31, s0, v2
	v_mul_lo_u32 v32, s65, v2
	v_add_nc_u32_e32 v14, v31, v14
	v_mul_lo_u32 v31, s0, v2
	s_delay_alu instid0(VALU_DEP_2) | instskip(NEXT) | instid1(VALU_DEP_2)
	v_add_nc_u32_e32 v14, v14, v32
	v_mul_hi_u32 v32, v2, v31
	s_delay_alu instid0(VALU_DEP_2)
	v_mul_lo_u32 v33, v2, v14
	v_mul_hi_u32 v34, v2, v14
	v_mul_hi_u32 v35, v13, v31
	v_mul_lo_u32 v31, v13, v31
	v_mul_hi_u32 v36, v13, v14
	v_mul_lo_u32 v14, v13, v14
	v_add_co_u32 v32, vcc_lo, v32, v33
	v_add_co_ci_u32_e32 v33, vcc_lo, 0, v34, vcc_lo
	s_delay_alu instid0(VALU_DEP_2) | instskip(NEXT) | instid1(VALU_DEP_2)
	v_add_co_u32 v31, vcc_lo, v32, v31
	v_add_co_ci_u32_e32 v31, vcc_lo, v33, v35, vcc_lo
	v_add_co_ci_u32_e32 v32, vcc_lo, 0, v36, vcc_lo
	s_delay_alu instid0(VALU_DEP_2) | instskip(NEXT) | instid1(VALU_DEP_2)
	v_add_co_u32 v14, vcc_lo, v31, v14
	v_add_co_ci_u32_e32 v31, vcc_lo, 0, v32, vcc_lo
	s_delay_alu instid0(VALU_DEP_2) | instskip(NEXT) | instid1(VALU_DEP_2)
	v_add_co_u32 v2, vcc_lo, v2, v14
	v_add_co_ci_u32_e32 v13, vcc_lo, v13, v31, vcc_lo
	s_delay_alu instid0(VALU_DEP_2) | instskip(SKIP_1) | instid1(VALU_DEP_3)
	v_mul_hi_u32 v14, s0, v2
	v_mul_lo_u32 v32, s65, v2
	v_mul_lo_u32 v31, s0, v13
	s_delay_alu instid0(VALU_DEP_1) | instskip(SKIP_1) | instid1(VALU_DEP_2)
	v_add_nc_u32_e32 v14, v14, v31
	v_mul_lo_u32 v31, s0, v2
	v_add_nc_u32_e32 v14, v14, v32
	s_delay_alu instid0(VALU_DEP_2) | instskip(NEXT) | instid1(VALU_DEP_2)
	v_mul_hi_u32 v32, v2, v31
	v_mul_lo_u32 v33, v2, v14
	v_mul_hi_u32 v34, v2, v14
	v_mul_hi_u32 v35, v13, v31
	v_mul_lo_u32 v31, v13, v31
	v_mul_hi_u32 v36, v13, v14
	v_mul_lo_u32 v14, v13, v14
	v_add_co_u32 v32, vcc_lo, v32, v33
	v_add_co_ci_u32_e32 v33, vcc_lo, 0, v34, vcc_lo
	s_delay_alu instid0(VALU_DEP_2) | instskip(NEXT) | instid1(VALU_DEP_2)
	v_add_co_u32 v31, vcc_lo, v32, v31
	v_add_co_ci_u32_e32 v31, vcc_lo, v33, v35, vcc_lo
	v_add_co_ci_u32_e32 v32, vcc_lo, 0, v36, vcc_lo
	v_add_co_u32 v16, vcc_lo, v16, v15
	v_add_co_ci_u32_e32 v18, vcc_lo, v18, v15, vcc_lo
	s_delay_alu instid0(VALU_DEP_4) | instskip(NEXT) | instid1(VALU_DEP_4)
	v_add_co_u32 v14, vcc_lo, v31, v14
	v_add_co_ci_u32_e32 v31, vcc_lo, 0, v32, vcc_lo
	s_delay_alu instid0(VALU_DEP_4) | instskip(NEXT) | instid1(VALU_DEP_3)
	v_xor_b32_e32 v16, v16, v15
	v_add_co_u32 v2, vcc_lo, v2, v14
	s_delay_alu instid0(VALU_DEP_3) | instskip(SKIP_1) | instid1(VALU_DEP_3)
	v_add_co_ci_u32_e32 v35, vcc_lo, v13, v31, vcc_lo
	v_xor_b32_e32 v18, v18, v15
	v_mul_hi_u32 v36, v16, v2
	v_xor_b32_e32 v15, s64, v15
	s_delay_alu instid0(VALU_DEP_4) | instskip(NEXT) | instid1(VALU_DEP_4)
	v_mad_u64_u32 v[13:14], null, v16, v35, 0
	v_mad_u64_u32 v[31:32], null, v18, v2, 0
	;; [unrolled: 1-line block ×3, first 2 shown]
	s_delay_alu instid0(VALU_DEP_3) | instskip(NEXT) | instid1(VALU_DEP_4)
	v_add_co_u32 v2, vcc_lo, v36, v13
	v_add_co_ci_u32_e32 v13, vcc_lo, 0, v14, vcc_lo
	s_delay_alu instid0(VALU_DEP_2) | instskip(NEXT) | instid1(VALU_DEP_2)
	v_add_co_u32 v2, vcc_lo, v2, v31
	v_add_co_ci_u32_e32 v2, vcc_lo, v13, v32, vcc_lo
	v_add_co_ci_u32_e32 v13, vcc_lo, 0, v34, vcc_lo
	s_delay_alu instid0(VALU_DEP_2) | instskip(NEXT) | instid1(VALU_DEP_2)
	v_add_co_u32 v2, vcc_lo, v2, v33
	v_add_co_ci_u32_e32 v31, vcc_lo, 0, v13, vcc_lo
	s_delay_alu instid0(VALU_DEP_2) | instskip(SKIP_1) | instid1(VALU_DEP_3)
	v_mul_lo_u32 v32, s67, v2
	v_mad_u64_u32 v[13:14], null, s66, v2, 0
	v_mul_lo_u32 v33, s66, v31
	s_delay_alu instid0(VALU_DEP_2) | instskip(NEXT) | instid1(VALU_DEP_2)
	v_sub_co_u32 v13, vcc_lo, v16, v13
	v_add3_u32 v14, v14, v33, v32
	s_delay_alu instid0(VALU_DEP_1) | instskip(NEXT) | instid1(VALU_DEP_1)
	v_sub_nc_u32_e32 v32, v18, v14
	v_subrev_co_ci_u32_e64 v16, s0, s67, v32, vcc_lo
	v_add_co_u32 v32, s0, v2, 2
	s_delay_alu instid0(VALU_DEP_1) | instskip(SKIP_3) | instid1(VALU_DEP_3)
	v_add_co_ci_u32_e64 v33, s0, 0, v31, s0
	v_sub_co_u32 v34, s0, v13, s66
	v_sub_co_ci_u32_e32 v14, vcc_lo, v18, v14, vcc_lo
	v_subrev_co_ci_u32_e64 v16, s0, 0, v16, s0
	v_cmp_le_u32_e32 vcc_lo, s66, v34
	s_delay_alu instid0(VALU_DEP_3) | instskip(SKIP_1) | instid1(VALU_DEP_4)
	v_cmp_eq_u32_e64 s0, s67, v14
	v_cndmask_b32_e64 v18, 0, -1, vcc_lo
	v_cmp_le_u32_e32 vcc_lo, s67, v16
	v_cndmask_b32_e64 v34, 0, -1, vcc_lo
	v_cmp_le_u32_e32 vcc_lo, s66, v13
	;; [unrolled: 2-line block ×3, first 2 shown]
	v_cndmask_b32_e64 v35, 0, -1, vcc_lo
	v_cmp_eq_u32_e32 vcc_lo, s67, v16
	s_delay_alu instid0(VALU_DEP_2) | instskip(SKIP_3) | instid1(VALU_DEP_3)
	v_cndmask_b32_e64 v13, v35, v13, s0
	v_cndmask_b32_e32 v16, v34, v18, vcc_lo
	v_add_co_u32 v18, vcc_lo, v2, 1
	v_add_co_ci_u32_e32 v34, vcc_lo, 0, v31, vcc_lo
	v_cmp_ne_u32_e32 vcc_lo, 0, v16
	s_delay_alu instid0(VALU_DEP_2) | instskip(NEXT) | instid1(VALU_DEP_4)
	v_cndmask_b32_e32 v14, v34, v33, vcc_lo
	v_cndmask_b32_e32 v16, v18, v32, vcc_lo
	v_cmp_ne_u32_e32 vcc_lo, 0, v13
	s_delay_alu instid0(VALU_DEP_2) | instskip(NEXT) | instid1(VALU_DEP_1)
	v_dual_cndmask_b32 v2, v2, v16 :: v_dual_cndmask_b32 v13, v31, v14
                                        ; implicit-def: $vgpr16
	v_xor_b32_e32 v2, v2, v15
	s_delay_alu instid0(VALU_DEP_2) | instskip(NEXT) | instid1(VALU_DEP_2)
	v_xor_b32_e32 v14, v13, v15
	v_sub_co_u32 v13, vcc_lo, v2, v15
	s_delay_alu instid0(VALU_DEP_2)
	v_sub_co_ci_u32_e32 v14, vcc_lo, v14, v15, vcc_lo
.LBB23_25:                              ;   in Loop: Header=BB23_3 Depth=1
	s_or_saveexec_b32 s0, s83
	v_cvt_f32_u32_e32 v31, s46
	s_xor_b32 exec_lo, exec_lo, s0
	s_cbranch_execz .LBB23_27
; %bb.26:                               ;   in Loop: Header=BB23_3 Depth=1
	s_delay_alu instid0(VALU_DEP_1) | instskip(SKIP_3) | instid1(VALU_DEP_1)
	v_rcp_iflag_f32_e32 v2, v31
	s_sub_i32 s64, 0, s46
	s_waitcnt_depctr 0xfff
	v_mul_f32_e32 v2, 0x4f7ffffe, v2
	v_cvt_u32_f32_e32 v2, v2
	s_delay_alu instid0(VALU_DEP_1) | instskip(NEXT) | instid1(VALU_DEP_1)
	v_mul_lo_u32 v13, s64, v2
	v_mul_hi_u32 v13, v2, v13
	s_delay_alu instid0(VALU_DEP_1) | instskip(NEXT) | instid1(VALU_DEP_1)
	v_add_nc_u32_e32 v2, v2, v13
	v_mul_hi_u32 v2, v16, v2
	s_delay_alu instid0(VALU_DEP_1) | instskip(SKIP_1) | instid1(VALU_DEP_2)
	v_mul_lo_u32 v13, v2, s46
	v_add_nc_u32_e32 v14, 1, v2
	v_sub_nc_u32_e32 v13, v16, v13
	s_delay_alu instid0(VALU_DEP_1) | instskip(SKIP_1) | instid1(VALU_DEP_2)
	v_subrev_nc_u32_e32 v15, s46, v13
	v_cmp_le_u32_e32 vcc_lo, s46, v13
	v_dual_cndmask_b32 v13, v13, v15 :: v_dual_cndmask_b32 v2, v2, v14
	s_delay_alu instid0(VALU_DEP_1) | instskip(NEXT) | instid1(VALU_DEP_2)
	v_cmp_le_u32_e32 vcc_lo, s46, v13
	v_add_nc_u32_e32 v14, 1, v2
	s_delay_alu instid0(VALU_DEP_1)
	v_dual_cndmask_b32 v13, v2, v14 :: v_dual_mov_b32 v14, v1
.LBB23_27:                              ;   in Loop: Header=BB23_3 Depth=1
	s_or_b32 exec_lo, exec_lo, s0
	v_or_b32_e32 v2, s47, v21
                                        ; implicit-def: $vgpr15_vgpr16
	s_mov_b32 s0, exec_lo
	s_delay_alu instid0(VALU_DEP_1)
	v_cmpx_ne_u64_e32 0, v[1:2]
	s_xor_b32 s83, exec_lo, s0
	s_cbranch_execz .LBB23_29
; %bb.28:                               ;   in Loop: Header=BB23_3 Depth=1
	s_ashr_i32 s64, s47, 31
	s_delay_alu instid0(SALU_CYCLE_1) | instskip(SKIP_2) | instid1(SALU_CYCLE_1)
	s_add_u32 s66, s46, s64
	s_mov_b32 s65, s64
	s_addc_u32 s67, s47, s64
	s_xor_b64 s[66:67], s[66:67], s[64:65]
	s_delay_alu instid0(SALU_CYCLE_1) | instskip(SKIP_3) | instid1(VALU_DEP_1)
	v_cvt_f32_u32_e32 v2, s66
	v_cvt_f32_u32_e32 v15, s67
	s_sub_u32 s0, 0, s66
	s_subb_u32 s65, 0, s67
	v_fmac_f32_e32 v2, 0x4f800000, v15
	s_delay_alu instid0(VALU_DEP_1) | instskip(SKIP_2) | instid1(VALU_DEP_1)
	v_rcp_f32_e32 v2, v2
	s_waitcnt_depctr 0xfff
	v_mul_f32_e32 v2, 0x5f7ffffc, v2
	v_mul_f32_e32 v15, 0x2f800000, v2
	s_delay_alu instid0(VALU_DEP_1) | instskip(NEXT) | instid1(VALU_DEP_1)
	v_trunc_f32_e32 v15, v15
	v_fmac_f32_e32 v2, 0xcf800000, v15
	v_cvt_u32_f32_e32 v15, v15
	s_delay_alu instid0(VALU_DEP_2) | instskip(NEXT) | instid1(VALU_DEP_2)
	v_cvt_u32_f32_e32 v2, v2
	v_mul_lo_u32 v16, s0, v15
	s_delay_alu instid0(VALU_DEP_2) | instskip(SKIP_1) | instid1(VALU_DEP_2)
	v_mul_hi_u32 v18, s0, v2
	v_mul_lo_u32 v32, s65, v2
	v_add_nc_u32_e32 v16, v18, v16
	v_mul_lo_u32 v18, s0, v2
	s_delay_alu instid0(VALU_DEP_2) | instskip(NEXT) | instid1(VALU_DEP_2)
	v_add_nc_u32_e32 v16, v16, v32
	v_mul_hi_u32 v32, v2, v18
	s_delay_alu instid0(VALU_DEP_2)
	v_mul_lo_u32 v33, v2, v16
	v_mul_hi_u32 v34, v2, v16
	v_mul_hi_u32 v35, v15, v18
	v_mul_lo_u32 v18, v15, v18
	v_mul_hi_u32 v36, v15, v16
	v_mul_lo_u32 v16, v15, v16
	v_add_co_u32 v32, vcc_lo, v32, v33
	v_add_co_ci_u32_e32 v33, vcc_lo, 0, v34, vcc_lo
	s_delay_alu instid0(VALU_DEP_2) | instskip(NEXT) | instid1(VALU_DEP_2)
	v_add_co_u32 v18, vcc_lo, v32, v18
	v_add_co_ci_u32_e32 v18, vcc_lo, v33, v35, vcc_lo
	v_add_co_ci_u32_e32 v32, vcc_lo, 0, v36, vcc_lo
	s_delay_alu instid0(VALU_DEP_2) | instskip(NEXT) | instid1(VALU_DEP_2)
	v_add_co_u32 v16, vcc_lo, v18, v16
	v_add_co_ci_u32_e32 v18, vcc_lo, 0, v32, vcc_lo
	s_delay_alu instid0(VALU_DEP_2) | instskip(NEXT) | instid1(VALU_DEP_2)
	v_add_co_u32 v2, vcc_lo, v2, v16
	v_add_co_ci_u32_e32 v15, vcc_lo, v15, v18, vcc_lo
	s_delay_alu instid0(VALU_DEP_2) | instskip(SKIP_1) | instid1(VALU_DEP_3)
	v_mul_hi_u32 v16, s0, v2
	v_mul_lo_u32 v32, s65, v2
	v_mul_lo_u32 v18, s0, v15
	s_delay_alu instid0(VALU_DEP_1) | instskip(SKIP_1) | instid1(VALU_DEP_2)
	v_add_nc_u32_e32 v16, v16, v18
	v_mul_lo_u32 v18, s0, v2
	v_add_nc_u32_e32 v16, v16, v32
	s_delay_alu instid0(VALU_DEP_2) | instskip(NEXT) | instid1(VALU_DEP_2)
	v_mul_hi_u32 v32, v2, v18
	v_mul_lo_u32 v33, v2, v16
	v_mul_hi_u32 v34, v2, v16
	v_mul_hi_u32 v35, v15, v18
	v_mul_lo_u32 v18, v15, v18
	v_mul_hi_u32 v36, v15, v16
	v_mul_lo_u32 v16, v15, v16
	v_add_co_u32 v32, vcc_lo, v32, v33
	v_add_co_ci_u32_e32 v33, vcc_lo, 0, v34, vcc_lo
	s_delay_alu instid0(VALU_DEP_2) | instskip(NEXT) | instid1(VALU_DEP_2)
	v_add_co_u32 v18, vcc_lo, v32, v18
	v_add_co_ci_u32_e32 v18, vcc_lo, v33, v35, vcc_lo
	v_add_co_ci_u32_e32 v32, vcc_lo, 0, v36, vcc_lo
	v_add_co_u32 v19, vcc_lo, v19, v17
	v_add_co_ci_u32_e32 v21, vcc_lo, v21, v17, vcc_lo
	s_delay_alu instid0(VALU_DEP_4) | instskip(NEXT) | instid1(VALU_DEP_4)
	v_add_co_u32 v16, vcc_lo, v18, v16
	v_add_co_ci_u32_e32 v18, vcc_lo, 0, v32, vcc_lo
	s_delay_alu instid0(VALU_DEP_4) | instskip(NEXT) | instid1(VALU_DEP_3)
	v_xor_b32_e32 v34, v19, v17
	v_add_co_u32 v2, vcc_lo, v2, v16
	s_delay_alu instid0(VALU_DEP_3) | instskip(SKIP_1) | instid1(VALU_DEP_3)
	v_add_co_ci_u32_e32 v35, vcc_lo, v15, v18, vcc_lo
	v_xor_b32_e32 v21, v21, v17
	v_mul_hi_u32 v36, v34, v2
	v_xor_b32_e32 v17, s64, v17
	s_delay_alu instid0(VALU_DEP_4) | instskip(NEXT) | instid1(VALU_DEP_4)
	v_mad_u64_u32 v[15:16], null, v34, v35, 0
	v_mad_u64_u32 v[18:19], null, v21, v2, 0
	;; [unrolled: 1-line block ×3, first 2 shown]
	s_delay_alu instid0(VALU_DEP_3) | instskip(NEXT) | instid1(VALU_DEP_4)
	v_add_co_u32 v2, vcc_lo, v36, v15
	v_add_co_ci_u32_e32 v15, vcc_lo, 0, v16, vcc_lo
	s_delay_alu instid0(VALU_DEP_2) | instskip(NEXT) | instid1(VALU_DEP_2)
	v_add_co_u32 v2, vcc_lo, v2, v18
	v_add_co_ci_u32_e32 v2, vcc_lo, v15, v19, vcc_lo
	v_add_co_ci_u32_e32 v15, vcc_lo, 0, v33, vcc_lo
	s_delay_alu instid0(VALU_DEP_2) | instskip(NEXT) | instid1(VALU_DEP_2)
	v_add_co_u32 v2, vcc_lo, v2, v32
	v_add_co_ci_u32_e32 v18, vcc_lo, 0, v15, vcc_lo
	s_delay_alu instid0(VALU_DEP_2) | instskip(SKIP_1) | instid1(VALU_DEP_3)
	v_mul_lo_u32 v19, s67, v2
	v_mad_u64_u32 v[15:16], null, s66, v2, 0
	v_mul_lo_u32 v32, s66, v18
	s_delay_alu instid0(VALU_DEP_2) | instskip(NEXT) | instid1(VALU_DEP_2)
	v_sub_co_u32 v15, vcc_lo, v34, v15
	v_add3_u32 v16, v16, v32, v19
	s_delay_alu instid0(VALU_DEP_1) | instskip(NEXT) | instid1(VALU_DEP_1)
	v_sub_nc_u32_e32 v19, v21, v16
	v_subrev_co_ci_u32_e64 v19, s0, s67, v19, vcc_lo
	v_add_co_u32 v32, s0, v2, 2
	s_delay_alu instid0(VALU_DEP_1) | instskip(SKIP_3) | instid1(VALU_DEP_3)
	v_add_co_ci_u32_e64 v33, s0, 0, v18, s0
	v_sub_co_u32 v34, s0, v15, s66
	v_sub_co_ci_u32_e32 v16, vcc_lo, v21, v16, vcc_lo
	v_subrev_co_ci_u32_e64 v19, s0, 0, v19, s0
	v_cmp_le_u32_e32 vcc_lo, s66, v34
	s_delay_alu instid0(VALU_DEP_3) | instskip(SKIP_1) | instid1(VALU_DEP_4)
	v_cmp_eq_u32_e64 s0, s67, v16
	v_cndmask_b32_e64 v21, 0, -1, vcc_lo
	v_cmp_le_u32_e32 vcc_lo, s67, v19
	v_cndmask_b32_e64 v34, 0, -1, vcc_lo
	v_cmp_le_u32_e32 vcc_lo, s66, v15
	;; [unrolled: 2-line block ×3, first 2 shown]
	v_cndmask_b32_e64 v35, 0, -1, vcc_lo
	v_cmp_eq_u32_e32 vcc_lo, s67, v19
	s_delay_alu instid0(VALU_DEP_2) | instskip(SKIP_3) | instid1(VALU_DEP_3)
	v_cndmask_b32_e64 v15, v35, v15, s0
	v_cndmask_b32_e32 v19, v34, v21, vcc_lo
	v_add_co_u32 v21, vcc_lo, v2, 1
	v_add_co_ci_u32_e32 v34, vcc_lo, 0, v18, vcc_lo
	v_cmp_ne_u32_e32 vcc_lo, 0, v19
	s_delay_alu instid0(VALU_DEP_2) | instskip(SKIP_1) | instid1(VALU_DEP_2)
	v_dual_cndmask_b32 v16, v34, v33 :: v_dual_cndmask_b32 v19, v21, v32
	v_cmp_ne_u32_e32 vcc_lo, 0, v15
	v_cndmask_b32_e32 v15, v18, v16, vcc_lo
	s_delay_alu instid0(VALU_DEP_3) | instskip(NEXT) | instid1(VALU_DEP_2)
	v_cndmask_b32_e32 v2, v2, v19, vcc_lo
                                        ; implicit-def: $vgpr19
	v_xor_b32_e32 v16, v15, v17
	s_delay_alu instid0(VALU_DEP_2) | instskip(NEXT) | instid1(VALU_DEP_1)
	v_xor_b32_e32 v2, v2, v17
	v_sub_co_u32 v15, vcc_lo, v2, v17
	s_delay_alu instid0(VALU_DEP_3)
	v_sub_co_ci_u32_e32 v16, vcc_lo, v16, v17, vcc_lo
.LBB23_29:                              ;   in Loop: Header=BB23_3 Depth=1
	s_and_not1_saveexec_b32 s0, s83
	s_cbranch_execz .LBB23_31
; %bb.30:                               ;   in Loop: Header=BB23_3 Depth=1
	v_rcp_iflag_f32_e32 v2, v31
	s_sub_i32 s64, 0, s46
	s_waitcnt_depctr 0xfff
	v_mul_f32_e32 v2, 0x4f7ffffe, v2
	s_delay_alu instid0(VALU_DEP_1) | instskip(NEXT) | instid1(VALU_DEP_1)
	v_cvt_u32_f32_e32 v2, v2
	v_mul_lo_u32 v15, s64, v2
	s_delay_alu instid0(VALU_DEP_1) | instskip(NEXT) | instid1(VALU_DEP_1)
	v_mul_hi_u32 v15, v2, v15
	v_add_nc_u32_e32 v2, v2, v15
	s_delay_alu instid0(VALU_DEP_1) | instskip(NEXT) | instid1(VALU_DEP_1)
	v_mul_hi_u32 v2, v19, v2
	v_mul_lo_u32 v15, v2, s46
	v_add_nc_u32_e32 v16, 1, v2
	s_delay_alu instid0(VALU_DEP_2) | instskip(NEXT) | instid1(VALU_DEP_1)
	v_sub_nc_u32_e32 v15, v19, v15
	v_subrev_nc_u32_e32 v17, s46, v15
	v_cmp_le_u32_e32 vcc_lo, s46, v15
	s_delay_alu instid0(VALU_DEP_2) | instskip(NEXT) | instid1(VALU_DEP_1)
	v_dual_cndmask_b32 v15, v15, v17 :: v_dual_cndmask_b32 v2, v2, v16
	v_cmp_le_u32_e32 vcc_lo, s46, v15
	s_delay_alu instid0(VALU_DEP_2) | instskip(NEXT) | instid1(VALU_DEP_1)
	v_add_nc_u32_e32 v16, 1, v2
	v_dual_cndmask_b32 v15, v2, v16 :: v_dual_mov_b32 v16, v1
.LBB23_31:                              ;   in Loop: Header=BB23_3 Depth=1
	s_or_b32 exec_lo, exec_lo, s0
	v_or_b32_e32 v2, s47, v24
                                        ; implicit-def: $vgpr17_vgpr18
	s_mov_b32 s0, exec_lo
	s_delay_alu instid0(VALU_DEP_1)
	v_cmpx_ne_u64_e32 0, v[1:2]
	s_xor_b32 s83, exec_lo, s0
	s_cbranch_execz .LBB23_33
; %bb.32:                               ;   in Loop: Header=BB23_3 Depth=1
	s_ashr_i32 s64, s47, 31
	s_delay_alu instid0(SALU_CYCLE_1) | instskip(SKIP_2) | instid1(SALU_CYCLE_1)
	s_add_u32 s66, s46, s64
	s_mov_b32 s65, s64
	s_addc_u32 s67, s47, s64
	s_xor_b64 s[66:67], s[66:67], s[64:65]
	s_delay_alu instid0(SALU_CYCLE_1) | instskip(SKIP_3) | instid1(VALU_DEP_1)
	v_cvt_f32_u32_e32 v2, s66
	v_cvt_f32_u32_e32 v17, s67
	s_sub_u32 s0, 0, s66
	s_subb_u32 s65, 0, s67
	v_fmac_f32_e32 v2, 0x4f800000, v17
	s_delay_alu instid0(VALU_DEP_1) | instskip(SKIP_2) | instid1(VALU_DEP_1)
	v_rcp_f32_e32 v2, v2
	s_waitcnt_depctr 0xfff
	v_mul_f32_e32 v2, 0x5f7ffffc, v2
	v_mul_f32_e32 v17, 0x2f800000, v2
	s_delay_alu instid0(VALU_DEP_1) | instskip(NEXT) | instid1(VALU_DEP_1)
	v_trunc_f32_e32 v17, v17
	v_fmac_f32_e32 v2, 0xcf800000, v17
	v_cvt_u32_f32_e32 v17, v17
	s_delay_alu instid0(VALU_DEP_2) | instskip(NEXT) | instid1(VALU_DEP_2)
	v_cvt_u32_f32_e32 v2, v2
	v_mul_lo_u32 v18, s0, v17
	s_delay_alu instid0(VALU_DEP_2) | instskip(SKIP_1) | instid1(VALU_DEP_2)
	v_mul_hi_u32 v19, s0, v2
	v_mul_lo_u32 v21, s65, v2
	v_add_nc_u32_e32 v18, v19, v18
	v_mul_lo_u32 v19, s0, v2
	s_delay_alu instid0(VALU_DEP_2) | instskip(NEXT) | instid1(VALU_DEP_2)
	v_add_nc_u32_e32 v18, v18, v21
	v_mul_hi_u32 v21, v2, v19
	s_delay_alu instid0(VALU_DEP_2)
	v_mul_lo_u32 v32, v2, v18
	v_mul_hi_u32 v33, v2, v18
	v_mul_hi_u32 v34, v17, v19
	v_mul_lo_u32 v19, v17, v19
	v_mul_hi_u32 v35, v17, v18
	v_mul_lo_u32 v18, v17, v18
	v_add_co_u32 v21, vcc_lo, v21, v32
	v_add_co_ci_u32_e32 v32, vcc_lo, 0, v33, vcc_lo
	s_delay_alu instid0(VALU_DEP_2) | instskip(NEXT) | instid1(VALU_DEP_2)
	v_add_co_u32 v19, vcc_lo, v21, v19
	v_add_co_ci_u32_e32 v19, vcc_lo, v32, v34, vcc_lo
	v_add_co_ci_u32_e32 v21, vcc_lo, 0, v35, vcc_lo
	s_delay_alu instid0(VALU_DEP_2) | instskip(NEXT) | instid1(VALU_DEP_2)
	v_add_co_u32 v18, vcc_lo, v19, v18
	v_add_co_ci_u32_e32 v19, vcc_lo, 0, v21, vcc_lo
	s_delay_alu instid0(VALU_DEP_2) | instskip(NEXT) | instid1(VALU_DEP_2)
	v_add_co_u32 v2, vcc_lo, v2, v18
	v_add_co_ci_u32_e32 v17, vcc_lo, v17, v19, vcc_lo
	s_delay_alu instid0(VALU_DEP_2) | instskip(SKIP_1) | instid1(VALU_DEP_3)
	v_mul_hi_u32 v18, s0, v2
	v_mul_lo_u32 v21, s65, v2
	v_mul_lo_u32 v19, s0, v17
	s_delay_alu instid0(VALU_DEP_1) | instskip(SKIP_1) | instid1(VALU_DEP_2)
	v_add_nc_u32_e32 v18, v18, v19
	v_mul_lo_u32 v19, s0, v2
	v_add_nc_u32_e32 v18, v18, v21
	s_delay_alu instid0(VALU_DEP_2) | instskip(NEXT) | instid1(VALU_DEP_2)
	v_mul_hi_u32 v21, v2, v19
	v_mul_lo_u32 v32, v2, v18
	v_mul_hi_u32 v33, v2, v18
	v_mul_hi_u32 v34, v17, v19
	v_mul_lo_u32 v19, v17, v19
	v_mul_hi_u32 v35, v17, v18
	v_mul_lo_u32 v18, v17, v18
	v_add_co_u32 v21, vcc_lo, v21, v32
	v_add_co_ci_u32_e32 v32, vcc_lo, 0, v33, vcc_lo
	s_delay_alu instid0(VALU_DEP_2) | instskip(NEXT) | instid1(VALU_DEP_2)
	v_add_co_u32 v19, vcc_lo, v21, v19
	v_add_co_ci_u32_e32 v19, vcc_lo, v32, v34, vcc_lo
	v_add_co_ci_u32_e32 v21, vcc_lo, 0, v35, vcc_lo
	v_add_co_u32 v23, vcc_lo, v23, v20
	v_add_co_ci_u32_e32 v24, vcc_lo, v24, v20, vcc_lo
	s_delay_alu instid0(VALU_DEP_4) | instskip(NEXT) | instid1(VALU_DEP_4)
	v_add_co_u32 v18, vcc_lo, v19, v18
	v_add_co_ci_u32_e32 v19, vcc_lo, 0, v21, vcc_lo
	s_delay_alu instid0(VALU_DEP_4) | instskip(NEXT) | instid1(VALU_DEP_3)
	v_xor_b32_e32 v21, v23, v20
	v_add_co_u32 v2, vcc_lo, v2, v18
	s_delay_alu instid0(VALU_DEP_3) | instskip(SKIP_1) | instid1(VALU_DEP_3)
	v_add_co_ci_u32_e32 v19, vcc_lo, v17, v19, vcc_lo
	v_xor_b32_e32 v34, v24, v20
	v_mul_hi_u32 v35, v21, v2
	v_xor_b32_e32 v20, s64, v20
	s_delay_alu instid0(VALU_DEP_4) | instskip(NEXT) | instid1(VALU_DEP_4)
	v_mad_u64_u32 v[17:18], null, v21, v19, 0
	v_mad_u64_u32 v[23:24], null, v34, v2, 0
	v_mad_u64_u32 v[32:33], null, v34, v19, 0
	s_delay_alu instid0(VALU_DEP_3) | instskip(NEXT) | instid1(VALU_DEP_4)
	v_add_co_u32 v2, vcc_lo, v35, v17
	v_add_co_ci_u32_e32 v17, vcc_lo, 0, v18, vcc_lo
	s_delay_alu instid0(VALU_DEP_2) | instskip(NEXT) | instid1(VALU_DEP_2)
	v_add_co_u32 v2, vcc_lo, v2, v23
	v_add_co_ci_u32_e32 v2, vcc_lo, v17, v24, vcc_lo
	v_add_co_ci_u32_e32 v17, vcc_lo, 0, v33, vcc_lo
	s_delay_alu instid0(VALU_DEP_2) | instskip(NEXT) | instid1(VALU_DEP_2)
	v_add_co_u32 v2, vcc_lo, v2, v32
	v_add_co_ci_u32_e32 v19, vcc_lo, 0, v17, vcc_lo
	s_delay_alu instid0(VALU_DEP_2) | instskip(SKIP_1) | instid1(VALU_DEP_3)
	v_mul_lo_u32 v23, s67, v2
	v_mad_u64_u32 v[17:18], null, s66, v2, 0
	v_mul_lo_u32 v24, s66, v19
	s_delay_alu instid0(VALU_DEP_2) | instskip(NEXT) | instid1(VALU_DEP_2)
	v_sub_co_u32 v17, vcc_lo, v21, v17
	v_add3_u32 v18, v18, v24, v23
	s_delay_alu instid0(VALU_DEP_1) | instskip(NEXT) | instid1(VALU_DEP_1)
	v_sub_nc_u32_e32 v23, v34, v18
	v_subrev_co_ci_u32_e64 v21, s0, s67, v23, vcc_lo
	v_add_co_u32 v23, s0, v2, 2
	s_delay_alu instid0(VALU_DEP_1) | instskip(SKIP_3) | instid1(VALU_DEP_3)
	v_add_co_ci_u32_e64 v24, s0, 0, v19, s0
	v_sub_co_u32 v32, s0, v17, s66
	v_sub_co_ci_u32_e32 v18, vcc_lo, v34, v18, vcc_lo
	v_subrev_co_ci_u32_e64 v21, s0, 0, v21, s0
	v_cmp_le_u32_e32 vcc_lo, s66, v32
	s_delay_alu instid0(VALU_DEP_3) | instskip(SKIP_1) | instid1(VALU_DEP_4)
	v_cmp_eq_u32_e64 s0, s67, v18
	v_cndmask_b32_e64 v32, 0, -1, vcc_lo
	v_cmp_le_u32_e32 vcc_lo, s67, v21
	v_cndmask_b32_e64 v33, 0, -1, vcc_lo
	v_cmp_le_u32_e32 vcc_lo, s66, v17
	v_cndmask_b32_e64 v17, 0, -1, vcc_lo
	v_cmp_le_u32_e32 vcc_lo, s67, v18
	v_cndmask_b32_e64 v34, 0, -1, vcc_lo
	v_cmp_eq_u32_e32 vcc_lo, s67, v21
	s_delay_alu instid0(VALU_DEP_2) | instskip(SKIP_3) | instid1(VALU_DEP_3)
	v_cndmask_b32_e64 v17, v34, v17, s0
	v_cndmask_b32_e32 v21, v33, v32, vcc_lo
	v_add_co_u32 v32, vcc_lo, v2, 1
	v_add_co_ci_u32_e32 v33, vcc_lo, 0, v19, vcc_lo
	v_cmp_ne_u32_e32 vcc_lo, 0, v21
	s_delay_alu instid0(VALU_DEP_2) | instskip(SKIP_1) | instid1(VALU_DEP_2)
	v_dual_cndmask_b32 v18, v33, v24 :: v_dual_cndmask_b32 v21, v32, v23
	v_cmp_ne_u32_e32 vcc_lo, 0, v17
                                        ; implicit-def: $vgpr23
	v_dual_cndmask_b32 v17, v19, v18 :: v_dual_cndmask_b32 v2, v2, v21
	s_delay_alu instid0(VALU_DEP_1) | instskip(NEXT) | instid1(VALU_DEP_2)
	v_xor_b32_e32 v18, v17, v20
	v_xor_b32_e32 v2, v2, v20
	s_delay_alu instid0(VALU_DEP_1) | instskip(NEXT) | instid1(VALU_DEP_3)
	v_sub_co_u32 v17, vcc_lo, v2, v20
	v_sub_co_ci_u32_e32 v18, vcc_lo, v18, v20, vcc_lo
.LBB23_33:                              ;   in Loop: Header=BB23_3 Depth=1
	s_and_not1_saveexec_b32 s0, s83
	s_cbranch_execz .LBB23_35
; %bb.34:                               ;   in Loop: Header=BB23_3 Depth=1
	v_rcp_iflag_f32_e32 v2, v31
	s_sub_i32 s64, 0, s46
	s_waitcnt_depctr 0xfff
	v_mul_f32_e32 v2, 0x4f7ffffe, v2
	s_delay_alu instid0(VALU_DEP_1) | instskip(NEXT) | instid1(VALU_DEP_1)
	v_cvt_u32_f32_e32 v2, v2
	v_mul_lo_u32 v17, s64, v2
	s_delay_alu instid0(VALU_DEP_1) | instskip(NEXT) | instid1(VALU_DEP_1)
	v_mul_hi_u32 v17, v2, v17
	v_add_nc_u32_e32 v2, v2, v17
	s_delay_alu instid0(VALU_DEP_1) | instskip(NEXT) | instid1(VALU_DEP_1)
	v_mul_hi_u32 v2, v23, v2
	v_mul_lo_u32 v17, v2, s46
	v_add_nc_u32_e32 v18, 1, v2
	s_delay_alu instid0(VALU_DEP_2) | instskip(NEXT) | instid1(VALU_DEP_1)
	v_sub_nc_u32_e32 v17, v23, v17
	v_subrev_nc_u32_e32 v19, s46, v17
	v_cmp_le_u32_e32 vcc_lo, s46, v17
	s_delay_alu instid0(VALU_DEP_2) | instskip(NEXT) | instid1(VALU_DEP_1)
	v_dual_cndmask_b32 v17, v17, v19 :: v_dual_cndmask_b32 v2, v2, v18
	v_cmp_le_u32_e32 vcc_lo, s46, v17
	s_delay_alu instid0(VALU_DEP_2) | instskip(NEXT) | instid1(VALU_DEP_1)
	v_add_nc_u32_e32 v18, 1, v2
	v_dual_cndmask_b32 v17, v2, v18 :: v_dual_mov_b32 v18, v1
.LBB23_35:                              ;   in Loop: Header=BB23_3 Depth=1
	s_or_b32 exec_lo, exec_lo, s0
	v_or_b32_e32 v2, s47, v30
                                        ; implicit-def: $vgpr19_vgpr20
	s_mov_b32 s0, exec_lo
	s_delay_alu instid0(VALU_DEP_1)
	v_cmpx_ne_u64_e32 0, v[1:2]
	s_xor_b32 s83, exec_lo, s0
	s_cbranch_execz .LBB23_37
; %bb.36:                               ;   in Loop: Header=BB23_3 Depth=1
	s_ashr_i32 s64, s47, 31
	s_delay_alu instid0(SALU_CYCLE_1) | instskip(SKIP_2) | instid1(SALU_CYCLE_1)
	s_add_u32 s66, s46, s64
	s_mov_b32 s65, s64
	s_addc_u32 s67, s47, s64
	s_xor_b64 s[66:67], s[66:67], s[64:65]
	s_delay_alu instid0(SALU_CYCLE_1) | instskip(SKIP_3) | instid1(VALU_DEP_1)
	v_cvt_f32_u32_e32 v2, s66
	v_cvt_f32_u32_e32 v19, s67
	s_sub_u32 s0, 0, s66
	s_subb_u32 s65, 0, s67
	v_fmac_f32_e32 v2, 0x4f800000, v19
	s_delay_alu instid0(VALU_DEP_1) | instskip(SKIP_2) | instid1(VALU_DEP_1)
	v_rcp_f32_e32 v2, v2
	s_waitcnt_depctr 0xfff
	v_mul_f32_e32 v2, 0x5f7ffffc, v2
	v_mul_f32_e32 v19, 0x2f800000, v2
	s_delay_alu instid0(VALU_DEP_1) | instskip(NEXT) | instid1(VALU_DEP_1)
	v_trunc_f32_e32 v19, v19
	v_fmac_f32_e32 v2, 0xcf800000, v19
	v_cvt_u32_f32_e32 v19, v19
	s_delay_alu instid0(VALU_DEP_2) | instskip(NEXT) | instid1(VALU_DEP_2)
	v_cvt_u32_f32_e32 v2, v2
	v_mul_lo_u32 v20, s0, v19
	s_delay_alu instid0(VALU_DEP_2) | instskip(SKIP_1) | instid1(VALU_DEP_2)
	v_mul_hi_u32 v21, s0, v2
	v_mul_lo_u32 v23, s65, v2
	v_add_nc_u32_e32 v20, v21, v20
	v_mul_lo_u32 v21, s0, v2
	s_delay_alu instid0(VALU_DEP_2) | instskip(NEXT) | instid1(VALU_DEP_2)
	v_add_nc_u32_e32 v20, v20, v23
	v_mul_hi_u32 v23, v2, v21
	s_delay_alu instid0(VALU_DEP_2)
	v_mul_lo_u32 v24, v2, v20
	v_mul_hi_u32 v31, v2, v20
	v_mul_hi_u32 v32, v19, v21
	v_mul_lo_u32 v21, v19, v21
	v_mul_hi_u32 v33, v19, v20
	v_mul_lo_u32 v20, v19, v20
	v_add_co_u32 v23, vcc_lo, v23, v24
	v_add_co_ci_u32_e32 v24, vcc_lo, 0, v31, vcc_lo
	s_delay_alu instid0(VALU_DEP_2) | instskip(NEXT) | instid1(VALU_DEP_2)
	v_add_co_u32 v21, vcc_lo, v23, v21
	v_add_co_ci_u32_e32 v21, vcc_lo, v24, v32, vcc_lo
	v_add_co_ci_u32_e32 v23, vcc_lo, 0, v33, vcc_lo
	s_delay_alu instid0(VALU_DEP_2) | instskip(NEXT) | instid1(VALU_DEP_2)
	v_add_co_u32 v20, vcc_lo, v21, v20
	v_add_co_ci_u32_e32 v21, vcc_lo, 0, v23, vcc_lo
	s_delay_alu instid0(VALU_DEP_2) | instskip(NEXT) | instid1(VALU_DEP_2)
	v_add_co_u32 v2, vcc_lo, v2, v20
	v_add_co_ci_u32_e32 v19, vcc_lo, v19, v21, vcc_lo
	s_delay_alu instid0(VALU_DEP_2) | instskip(SKIP_1) | instid1(VALU_DEP_3)
	v_mul_hi_u32 v20, s0, v2
	v_mul_lo_u32 v23, s65, v2
	v_mul_lo_u32 v21, s0, v19
	s_delay_alu instid0(VALU_DEP_1) | instskip(SKIP_1) | instid1(VALU_DEP_2)
	v_add_nc_u32_e32 v20, v20, v21
	v_mul_lo_u32 v21, s0, v2
	v_add_nc_u32_e32 v20, v20, v23
	s_delay_alu instid0(VALU_DEP_2) | instskip(NEXT) | instid1(VALU_DEP_2)
	v_mul_hi_u32 v23, v2, v21
	v_mul_lo_u32 v24, v2, v20
	v_mul_hi_u32 v31, v2, v20
	v_mul_hi_u32 v32, v19, v21
	v_mul_lo_u32 v21, v19, v21
	v_mul_hi_u32 v33, v19, v20
	v_mul_lo_u32 v20, v19, v20
	v_add_co_u32 v23, vcc_lo, v23, v24
	v_add_co_ci_u32_e32 v24, vcc_lo, 0, v31, vcc_lo
	s_delay_alu instid0(VALU_DEP_2) | instskip(NEXT) | instid1(VALU_DEP_2)
	v_add_co_u32 v21, vcc_lo, v23, v21
	v_add_co_ci_u32_e32 v21, vcc_lo, v24, v32, vcc_lo
	v_add_co_ci_u32_e32 v23, vcc_lo, 0, v33, vcc_lo
	v_add_co_u32 v24, vcc_lo, v29, v22
	v_add_co_ci_u32_e32 v29, vcc_lo, v30, v22, vcc_lo
	s_delay_alu instid0(VALU_DEP_4) | instskip(NEXT) | instid1(VALU_DEP_4)
	v_add_co_u32 v20, vcc_lo, v21, v20
	v_add_co_ci_u32_e32 v21, vcc_lo, 0, v23, vcc_lo
	s_delay_alu instid0(VALU_DEP_4) | instskip(NEXT) | instid1(VALU_DEP_3)
	v_xor_b32_e32 v31, v24, v22
	v_add_co_u32 v2, vcc_lo, v2, v20
	s_delay_alu instid0(VALU_DEP_3) | instskip(SKIP_1) | instid1(VALU_DEP_3)
	v_add_co_ci_u32_e32 v21, vcc_lo, v19, v21, vcc_lo
	v_xor_b32_e32 v32, v29, v22
	v_mul_hi_u32 v33, v31, v2
	v_xor_b32_e32 v22, s64, v22
	s_delay_alu instid0(VALU_DEP_4) | instskip(NEXT) | instid1(VALU_DEP_4)
	v_mad_u64_u32 v[19:20], null, v31, v21, 0
	v_mad_u64_u32 v[23:24], null, v32, v2, 0
	;; [unrolled: 1-line block ×3, first 2 shown]
	s_delay_alu instid0(VALU_DEP_3) | instskip(NEXT) | instid1(VALU_DEP_4)
	v_add_co_u32 v2, vcc_lo, v33, v19
	v_add_co_ci_u32_e32 v19, vcc_lo, 0, v20, vcc_lo
	s_delay_alu instid0(VALU_DEP_2) | instskip(NEXT) | instid1(VALU_DEP_2)
	v_add_co_u32 v2, vcc_lo, v2, v23
	v_add_co_ci_u32_e32 v2, vcc_lo, v19, v24, vcc_lo
	v_add_co_ci_u32_e32 v19, vcc_lo, 0, v30, vcc_lo
	s_delay_alu instid0(VALU_DEP_2) | instskip(NEXT) | instid1(VALU_DEP_2)
	v_add_co_u32 v2, vcc_lo, v2, v29
	v_add_co_ci_u32_e32 v21, vcc_lo, 0, v19, vcc_lo
	s_delay_alu instid0(VALU_DEP_2) | instskip(SKIP_1) | instid1(VALU_DEP_3)
	v_mul_lo_u32 v23, s67, v2
	v_mad_u64_u32 v[19:20], null, s66, v2, 0
	v_mul_lo_u32 v24, s66, v21
	s_delay_alu instid0(VALU_DEP_2) | instskip(NEXT) | instid1(VALU_DEP_2)
	v_sub_co_u32 v19, vcc_lo, v31, v19
	v_add3_u32 v20, v20, v24, v23
	s_delay_alu instid0(VALU_DEP_1) | instskip(NEXT) | instid1(VALU_DEP_1)
	v_sub_nc_u32_e32 v23, v32, v20
	v_subrev_co_ci_u32_e64 v23, s0, s67, v23, vcc_lo
	v_add_co_u32 v24, s0, v2, 2
	s_delay_alu instid0(VALU_DEP_1) | instskip(SKIP_3) | instid1(VALU_DEP_3)
	v_add_co_ci_u32_e64 v29, s0, 0, v21, s0
	v_sub_co_u32 v30, s0, v19, s66
	v_sub_co_ci_u32_e32 v20, vcc_lo, v32, v20, vcc_lo
	v_subrev_co_ci_u32_e64 v23, s0, 0, v23, s0
	v_cmp_le_u32_e32 vcc_lo, s66, v30
	s_delay_alu instid0(VALU_DEP_3) | instskip(SKIP_1) | instid1(VALU_DEP_4)
	v_cmp_eq_u32_e64 s0, s67, v20
	v_cndmask_b32_e64 v30, 0, -1, vcc_lo
	v_cmp_le_u32_e32 vcc_lo, s67, v23
	v_cndmask_b32_e64 v31, 0, -1, vcc_lo
	v_cmp_le_u32_e32 vcc_lo, s66, v19
	;; [unrolled: 2-line block ×3, first 2 shown]
	v_cndmask_b32_e64 v32, 0, -1, vcc_lo
	v_cmp_eq_u32_e32 vcc_lo, s67, v23
	s_delay_alu instid0(VALU_DEP_2) | instskip(SKIP_3) | instid1(VALU_DEP_3)
	v_cndmask_b32_e64 v19, v32, v19, s0
	v_cndmask_b32_e32 v23, v31, v30, vcc_lo
	v_add_co_u32 v30, vcc_lo, v2, 1
	v_add_co_ci_u32_e32 v31, vcc_lo, 0, v21, vcc_lo
	v_cmp_ne_u32_e32 vcc_lo, 0, v23
	s_delay_alu instid0(VALU_DEP_2) | instskip(SKIP_1) | instid1(VALU_DEP_2)
	v_dual_cndmask_b32 v20, v31, v29 :: v_dual_cndmask_b32 v23, v30, v24
	v_cmp_ne_u32_e32 vcc_lo, 0, v19
                                        ; implicit-def: $vgpr31
                                        ; implicit-def: $vgpr29
	v_dual_cndmask_b32 v19, v21, v20 :: v_dual_cndmask_b32 v2, v2, v23
	s_delay_alu instid0(VALU_DEP_1) | instskip(NEXT) | instid1(VALU_DEP_2)
	v_xor_b32_e32 v20, v19, v22
	v_xor_b32_e32 v2, v2, v22
	s_delay_alu instid0(VALU_DEP_1) | instskip(NEXT) | instid1(VALU_DEP_3)
	v_sub_co_u32 v19, vcc_lo, v2, v22
	v_sub_co_ci_u32_e32 v20, vcc_lo, v20, v22, vcc_lo
.LBB23_37:                              ;   in Loop: Header=BB23_3 Depth=1
	s_and_not1_saveexec_b32 s0, s83
	s_cbranch_execz .LBB23_39
; %bb.38:                               ;   in Loop: Header=BB23_3 Depth=1
	v_rcp_iflag_f32_e32 v2, v31
	s_sub_i32 s64, 0, s46
	s_waitcnt_depctr 0xfff
	v_mul_f32_e32 v2, 0x4f7ffffe, v2
	s_delay_alu instid0(VALU_DEP_1) | instskip(NEXT) | instid1(VALU_DEP_1)
	v_cvt_u32_f32_e32 v2, v2
	v_mul_lo_u32 v19, s64, v2
	s_delay_alu instid0(VALU_DEP_1) | instskip(NEXT) | instid1(VALU_DEP_1)
	v_mul_hi_u32 v19, v2, v19
	v_add_nc_u32_e32 v2, v2, v19
	s_delay_alu instid0(VALU_DEP_1) | instskip(NEXT) | instid1(VALU_DEP_1)
	v_mul_hi_u32 v2, v29, v2
	v_mul_lo_u32 v19, v2, s46
	v_add_nc_u32_e32 v20, 1, v2
	s_delay_alu instid0(VALU_DEP_2) | instskip(NEXT) | instid1(VALU_DEP_1)
	v_sub_nc_u32_e32 v19, v29, v19
	v_subrev_nc_u32_e32 v21, s46, v19
	v_cmp_le_u32_e32 vcc_lo, s46, v19
	s_delay_alu instid0(VALU_DEP_2) | instskip(NEXT) | instid1(VALU_DEP_1)
	v_dual_cndmask_b32 v19, v19, v21 :: v_dual_cndmask_b32 v2, v2, v20
	v_cmp_le_u32_e32 vcc_lo, s46, v19
	s_delay_alu instid0(VALU_DEP_2) | instskip(NEXT) | instid1(VALU_DEP_1)
	v_add_nc_u32_e32 v20, 1, v2
	v_dual_cndmask_b32 v19, v2, v20 :: v_dual_mov_b32 v20, v1
.LBB23_39:                              ;   in Loop: Header=BB23_3 Depth=1
	s_or_b32 exec_lo, exec_lo, s0
	v_or_b32_e32 v2, s51, v4
                                        ; implicit-def: $vgpr21_vgpr22
	s_mov_b32 s0, exec_lo
	s_delay_alu instid0(VALU_DEP_1)
	v_cmpx_ne_u64_e32 0, v[1:2]
	s_xor_b32 s83, exec_lo, s0
	s_cbranch_execz .LBB23_41
; %bb.40:                               ;   in Loop: Header=BB23_3 Depth=1
	s_ashr_i32 s64, s51, 31
	s_delay_alu instid0(SALU_CYCLE_1) | instskip(SKIP_2) | instid1(SALU_CYCLE_1)
	s_add_u32 s66, s50, s64
	s_mov_b32 s65, s64
	s_addc_u32 s67, s51, s64
	s_xor_b64 s[66:67], s[66:67], s[64:65]
	s_delay_alu instid0(SALU_CYCLE_1) | instskip(SKIP_3) | instid1(VALU_DEP_1)
	v_cvt_f32_u32_e32 v2, s66
	v_cvt_f32_u32_e32 v21, s67
	s_sub_u32 s0, 0, s66
	s_subb_u32 s65, 0, s67
	v_fmac_f32_e32 v2, 0x4f800000, v21
	s_delay_alu instid0(VALU_DEP_1) | instskip(SKIP_2) | instid1(VALU_DEP_1)
	v_rcp_f32_e32 v2, v2
	s_waitcnt_depctr 0xfff
	v_mul_f32_e32 v2, 0x5f7ffffc, v2
	v_mul_f32_e32 v21, 0x2f800000, v2
	s_delay_alu instid0(VALU_DEP_1) | instskip(NEXT) | instid1(VALU_DEP_1)
	v_trunc_f32_e32 v21, v21
	v_fmac_f32_e32 v2, 0xcf800000, v21
	v_cvt_u32_f32_e32 v21, v21
	s_delay_alu instid0(VALU_DEP_2) | instskip(NEXT) | instid1(VALU_DEP_2)
	v_cvt_u32_f32_e32 v2, v2
	v_mul_lo_u32 v22, s0, v21
	s_delay_alu instid0(VALU_DEP_2) | instskip(SKIP_1) | instid1(VALU_DEP_2)
	v_mul_hi_u32 v23, s0, v2
	v_mul_lo_u32 v24, s65, v2
	v_add_nc_u32_e32 v22, v23, v22
	v_mul_lo_u32 v23, s0, v2
	s_delay_alu instid0(VALU_DEP_2) | instskip(NEXT) | instid1(VALU_DEP_2)
	v_add_nc_u32_e32 v22, v22, v24
	v_mul_hi_u32 v24, v2, v23
	s_delay_alu instid0(VALU_DEP_2)
	v_mul_lo_u32 v29, v2, v22
	v_mul_hi_u32 v30, v2, v22
	v_mul_hi_u32 v31, v21, v23
	v_mul_lo_u32 v23, v21, v23
	v_mul_hi_u32 v32, v21, v22
	v_mul_lo_u32 v22, v21, v22
	v_add_co_u32 v24, vcc_lo, v24, v29
	v_add_co_ci_u32_e32 v29, vcc_lo, 0, v30, vcc_lo
	s_delay_alu instid0(VALU_DEP_2) | instskip(NEXT) | instid1(VALU_DEP_2)
	v_add_co_u32 v23, vcc_lo, v24, v23
	v_add_co_ci_u32_e32 v23, vcc_lo, v29, v31, vcc_lo
	v_add_co_ci_u32_e32 v24, vcc_lo, 0, v32, vcc_lo
	v_ashrrev_i32_e32 v31, 31, v4
	s_delay_alu instid0(VALU_DEP_3) | instskip(NEXT) | instid1(VALU_DEP_3)
	v_add_co_u32 v22, vcc_lo, v23, v22
	v_add_co_ci_u32_e32 v23, vcc_lo, 0, v24, vcc_lo
	s_delay_alu instid0(VALU_DEP_2) | instskip(NEXT) | instid1(VALU_DEP_2)
	v_add_co_u32 v2, vcc_lo, v2, v22
	v_add_co_ci_u32_e32 v21, vcc_lo, v21, v23, vcc_lo
	s_delay_alu instid0(VALU_DEP_2) | instskip(SKIP_1) | instid1(VALU_DEP_3)
	v_mul_hi_u32 v22, s0, v2
	v_mul_lo_u32 v24, s65, v2
	v_mul_lo_u32 v23, s0, v21
	s_delay_alu instid0(VALU_DEP_1) | instskip(SKIP_1) | instid1(VALU_DEP_2)
	v_add_nc_u32_e32 v22, v22, v23
	v_mul_lo_u32 v23, s0, v2
	v_add_nc_u32_e32 v22, v22, v24
	s_delay_alu instid0(VALU_DEP_2) | instskip(NEXT) | instid1(VALU_DEP_2)
	v_mul_hi_u32 v24, v2, v23
	v_mul_lo_u32 v29, v2, v22
	v_mul_hi_u32 v30, v2, v22
	v_mul_hi_u32 v32, v21, v23
	v_mul_lo_u32 v23, v21, v23
	v_mul_hi_u32 v33, v21, v22
	v_mul_lo_u32 v22, v21, v22
	v_add_co_u32 v24, vcc_lo, v24, v29
	v_add_co_ci_u32_e32 v29, vcc_lo, 0, v30, vcc_lo
	s_delay_alu instid0(VALU_DEP_2) | instskip(NEXT) | instid1(VALU_DEP_2)
	v_add_co_u32 v23, vcc_lo, v24, v23
	v_add_co_ci_u32_e32 v23, vcc_lo, v29, v32, vcc_lo
	v_add_co_ci_u32_e32 v24, vcc_lo, 0, v33, vcc_lo
	v_add_co_u32 v29, vcc_lo, v3, v31
	v_add_co_ci_u32_e32 v30, vcc_lo, v4, v31, vcc_lo
	s_delay_alu instid0(VALU_DEP_4) | instskip(NEXT) | instid1(VALU_DEP_4)
	v_add_co_u32 v22, vcc_lo, v23, v22
	v_add_co_ci_u32_e32 v23, vcc_lo, 0, v24, vcc_lo
	s_delay_alu instid0(VALU_DEP_4) | instskip(NEXT) | instid1(VALU_DEP_3)
	v_xor_b32_e32 v32, v29, v31
	v_add_co_u32 v2, vcc_lo, v2, v22
	s_delay_alu instid0(VALU_DEP_3) | instskip(SKIP_1) | instid1(VALU_DEP_3)
	v_add_co_ci_u32_e32 v33, vcc_lo, v21, v23, vcc_lo
	v_xor_b32_e32 v34, v30, v31
	v_mul_hi_u32 v35, v32, v2
	s_delay_alu instid0(VALU_DEP_3) | instskip(NEXT) | instid1(VALU_DEP_3)
	v_mad_u64_u32 v[21:22], null, v32, v33, 0
	v_mad_u64_u32 v[23:24], null, v34, v2, 0
	;; [unrolled: 1-line block ×3, first 2 shown]
	s_delay_alu instid0(VALU_DEP_3) | instskip(NEXT) | instid1(VALU_DEP_4)
	v_add_co_u32 v2, vcc_lo, v35, v21
	v_add_co_ci_u32_e32 v21, vcc_lo, 0, v22, vcc_lo
	s_delay_alu instid0(VALU_DEP_2) | instskip(NEXT) | instid1(VALU_DEP_2)
	v_add_co_u32 v2, vcc_lo, v2, v23
	v_add_co_ci_u32_e32 v2, vcc_lo, v21, v24, vcc_lo
	v_add_co_ci_u32_e32 v21, vcc_lo, 0, v30, vcc_lo
	s_delay_alu instid0(VALU_DEP_2) | instskip(NEXT) | instid1(VALU_DEP_2)
	v_add_co_u32 v2, vcc_lo, v2, v29
	v_add_co_ci_u32_e32 v23, vcc_lo, 0, v21, vcc_lo
	s_delay_alu instid0(VALU_DEP_2) | instskip(SKIP_1) | instid1(VALU_DEP_3)
	v_mul_lo_u32 v24, s67, v2
	v_mad_u64_u32 v[21:22], null, s66, v2, 0
	v_mul_lo_u32 v29, s66, v23
	s_delay_alu instid0(VALU_DEP_2) | instskip(NEXT) | instid1(VALU_DEP_2)
	v_sub_co_u32 v21, vcc_lo, v32, v21
	v_add3_u32 v22, v22, v29, v24
	s_delay_alu instid0(VALU_DEP_1) | instskip(NEXT) | instid1(VALU_DEP_1)
	v_sub_nc_u32_e32 v24, v34, v22
	v_subrev_co_ci_u32_e64 v24, s0, s67, v24, vcc_lo
	v_add_co_u32 v29, s0, v2, 2
	s_delay_alu instid0(VALU_DEP_1) | instskip(SKIP_3) | instid1(VALU_DEP_3)
	v_add_co_ci_u32_e64 v30, s0, 0, v23, s0
	v_sub_co_u32 v32, s0, v21, s66
	v_sub_co_ci_u32_e32 v22, vcc_lo, v34, v22, vcc_lo
	v_subrev_co_ci_u32_e64 v24, s0, 0, v24, s0
	v_cmp_le_u32_e32 vcc_lo, s66, v32
	s_delay_alu instid0(VALU_DEP_3) | instskip(SKIP_1) | instid1(VALU_DEP_4)
	v_cmp_eq_u32_e64 s0, s67, v22
	v_cndmask_b32_e64 v32, 0, -1, vcc_lo
	v_cmp_le_u32_e32 vcc_lo, s67, v24
	v_cndmask_b32_e64 v33, 0, -1, vcc_lo
	v_cmp_le_u32_e32 vcc_lo, s66, v21
	;; [unrolled: 2-line block ×3, first 2 shown]
	v_cndmask_b32_e64 v34, 0, -1, vcc_lo
	v_cmp_eq_u32_e32 vcc_lo, s67, v24
	s_delay_alu instid0(VALU_DEP_2) | instskip(SKIP_3) | instid1(VALU_DEP_3)
	v_cndmask_b32_e64 v21, v34, v21, s0
	v_cndmask_b32_e32 v24, v33, v32, vcc_lo
	v_add_co_u32 v32, vcc_lo, v2, 1
	v_add_co_ci_u32_e32 v33, vcc_lo, 0, v23, vcc_lo
	v_cmp_ne_u32_e32 vcc_lo, 0, v24
	s_delay_alu instid0(VALU_DEP_2) | instskip(NEXT) | instid1(VALU_DEP_4)
	v_cndmask_b32_e32 v22, v33, v30, vcc_lo
	v_cndmask_b32_e32 v24, v32, v29, vcc_lo
	v_cmp_ne_u32_e32 vcc_lo, 0, v21
	v_xor_b32_e32 v29, s64, v31
	s_delay_alu instid0(VALU_DEP_3) | instskip(NEXT) | instid1(VALU_DEP_1)
	v_dual_cndmask_b32 v2, v2, v24 :: v_dual_cndmask_b32 v21, v23, v22
	v_xor_b32_e32 v2, v2, v29
	s_delay_alu instid0(VALU_DEP_2) | instskip(NEXT) | instid1(VALU_DEP_2)
	v_xor_b32_e32 v22, v21, v29
	v_sub_co_u32 v21, vcc_lo, v2, v29
	s_delay_alu instid0(VALU_DEP_2)
	v_sub_co_ci_u32_e32 v22, vcc_lo, v22, v29, vcc_lo
.LBB23_41:                              ;   in Loop: Header=BB23_3 Depth=1
	s_and_not1_saveexec_b32 s0, s83
	s_cbranch_execz .LBB23_43
; %bb.42:                               ;   in Loop: Header=BB23_3 Depth=1
	v_cvt_f32_u32_e32 v2, s50
	s_sub_i32 s64, 0, s50
	s_delay_alu instid0(VALU_DEP_1) | instskip(SKIP_2) | instid1(VALU_DEP_1)
	v_rcp_iflag_f32_e32 v2, v2
	s_waitcnt_depctr 0xfff
	v_mul_f32_e32 v2, 0x4f7ffffe, v2
	v_cvt_u32_f32_e32 v2, v2
	s_delay_alu instid0(VALU_DEP_1) | instskip(NEXT) | instid1(VALU_DEP_1)
	v_mul_lo_u32 v21, s64, v2
	v_mul_hi_u32 v21, v2, v21
	s_delay_alu instid0(VALU_DEP_1) | instskip(NEXT) | instid1(VALU_DEP_1)
	v_add_nc_u32_e32 v2, v2, v21
	v_mul_hi_u32 v2, v3, v2
	s_delay_alu instid0(VALU_DEP_1) | instskip(SKIP_1) | instid1(VALU_DEP_2)
	v_mul_lo_u32 v21, v2, s50
	v_add_nc_u32_e32 v22, 1, v2
	v_sub_nc_u32_e32 v21, v3, v21
	s_delay_alu instid0(VALU_DEP_1) | instskip(SKIP_1) | instid1(VALU_DEP_2)
	v_subrev_nc_u32_e32 v23, s50, v21
	v_cmp_le_u32_e32 vcc_lo, s50, v21
	v_dual_cndmask_b32 v21, v21, v23 :: v_dual_cndmask_b32 v2, v2, v22
	s_delay_alu instid0(VALU_DEP_1) | instskip(NEXT) | instid1(VALU_DEP_2)
	v_cmp_le_u32_e32 vcc_lo, s50, v21
	v_add_nc_u32_e32 v22, 1, v2
	s_delay_alu instid0(VALU_DEP_1)
	v_dual_cndmask_b32 v21, v2, v22 :: v_dual_mov_b32 v22, v1
.LBB23_43:                              ;   in Loop: Header=BB23_3 Depth=1
	s_or_b32 exec_lo, exec_lo, s0
	s_delay_alu instid0(VALU_DEP_1) | instskip(NEXT) | instid1(VALU_DEP_2)
	v_mad_u64_u32 v[23:24], null, s72, v21, v[3:4]
	v_mul_lo_u32 v2, s72, v22
	v_mul_lo_u32 v29, s73, v21
	;; [unrolled: 1-line block ×4, first 2 shown]
	s_mov_b32 s0, exec_lo
	s_delay_alu instid0(VALU_DEP_3) | instskip(SKIP_3) | instid1(VALU_DEP_4)
	v_add3_u32 v2, v29, v24, v2
	v_mad_u64_u32 v[29:30], null, v21, s20, 0
	v_mul_lo_u32 v24, v23, s23
	v_mad_u64_u32 v[21:22], null, v23, s22, 0
	v_mul_lo_u32 v2, v2, s22
	s_delay_alu instid0(VALU_DEP_4) | instskip(NEXT) | instid1(VALU_DEP_2)
	v_add3_u32 v30, v30, v32, v31
	v_add3_u32 v22, v22, v24, v2
	s_delay_alu instid0(VALU_DEP_2) | instskip(NEXT) | instid1(VALU_DEP_2)
	v_lshlrev_b64 v[23:24], 2, v[29:30]
	v_lshlrev_b64 v[21:22], 2, v[21:22]
	s_delay_alu instid0(VALU_DEP_2) | instskip(NEXT) | instid1(VALU_DEP_3)
	v_add_co_u32 v2, vcc_lo, s48, v23
	v_add_co_ci_u32_e32 v23, vcc_lo, s49, v24, vcc_lo
	s_delay_alu instid0(VALU_DEP_2) | instskip(NEXT) | instid1(VALU_DEP_2)
	v_add_co_u32 v21, vcc_lo, v2, v21
	v_add_co_ci_u32_e32 v22, vcc_lo, v23, v22, vcc_lo
	v_or_b32_e32 v2, s55, v4
	global_load_b32 v29, v[21:22], off
                                        ; implicit-def: $vgpr21_vgpr22
	v_cmpx_ne_u64_e32 0, v[1:2]
	s_xor_b32 s83, exec_lo, s0
	s_cbranch_execz .LBB23_45
; %bb.44:                               ;   in Loop: Header=BB23_3 Depth=1
	s_ashr_i32 s64, s55, 31
	s_delay_alu instid0(SALU_CYCLE_1) | instskip(SKIP_2) | instid1(SALU_CYCLE_1)
	s_add_u32 s66, s54, s64
	s_mov_b32 s65, s64
	s_addc_u32 s67, s55, s64
	s_xor_b64 s[66:67], s[66:67], s[64:65]
	s_delay_alu instid0(SALU_CYCLE_1) | instskip(SKIP_3) | instid1(VALU_DEP_1)
	v_cvt_f32_u32_e32 v2, s66
	v_cvt_f32_u32_e32 v21, s67
	s_sub_u32 s0, 0, s66
	s_subb_u32 s65, 0, s67
	v_fmac_f32_e32 v2, 0x4f800000, v21
	s_delay_alu instid0(VALU_DEP_1) | instskip(SKIP_2) | instid1(VALU_DEP_1)
	v_rcp_f32_e32 v2, v2
	s_waitcnt_depctr 0xfff
	v_mul_f32_e32 v2, 0x5f7ffffc, v2
	v_mul_f32_e32 v21, 0x2f800000, v2
	s_delay_alu instid0(VALU_DEP_1) | instskip(NEXT) | instid1(VALU_DEP_1)
	v_trunc_f32_e32 v21, v21
	v_fmac_f32_e32 v2, 0xcf800000, v21
	v_cvt_u32_f32_e32 v21, v21
	s_delay_alu instid0(VALU_DEP_2) | instskip(NEXT) | instid1(VALU_DEP_2)
	v_cvt_u32_f32_e32 v2, v2
	v_mul_lo_u32 v22, s0, v21
	s_delay_alu instid0(VALU_DEP_2) | instskip(SKIP_1) | instid1(VALU_DEP_2)
	v_mul_hi_u32 v23, s0, v2
	v_mul_lo_u32 v24, s65, v2
	v_add_nc_u32_e32 v22, v23, v22
	v_mul_lo_u32 v23, s0, v2
	s_delay_alu instid0(VALU_DEP_2) | instskip(NEXT) | instid1(VALU_DEP_2)
	v_add_nc_u32_e32 v22, v22, v24
	v_mul_hi_u32 v24, v2, v23
	s_delay_alu instid0(VALU_DEP_2)
	v_mul_lo_u32 v30, v2, v22
	v_mul_hi_u32 v31, v2, v22
	v_mul_hi_u32 v32, v21, v23
	v_mul_lo_u32 v23, v21, v23
	v_mul_hi_u32 v33, v21, v22
	v_mul_lo_u32 v22, v21, v22
	v_add_co_u32 v24, vcc_lo, v24, v30
	v_add_co_ci_u32_e32 v30, vcc_lo, 0, v31, vcc_lo
	s_delay_alu instid0(VALU_DEP_2) | instskip(NEXT) | instid1(VALU_DEP_2)
	v_add_co_u32 v23, vcc_lo, v24, v23
	v_add_co_ci_u32_e32 v23, vcc_lo, v30, v32, vcc_lo
	v_add_co_ci_u32_e32 v24, vcc_lo, 0, v33, vcc_lo
	v_ashrrev_i32_e32 v32, 31, v4
	s_delay_alu instid0(VALU_DEP_3) | instskip(NEXT) | instid1(VALU_DEP_3)
	v_add_co_u32 v22, vcc_lo, v23, v22
	v_add_co_ci_u32_e32 v23, vcc_lo, 0, v24, vcc_lo
	s_delay_alu instid0(VALU_DEP_2) | instskip(NEXT) | instid1(VALU_DEP_2)
	v_add_co_u32 v2, vcc_lo, v2, v22
	v_add_co_ci_u32_e32 v21, vcc_lo, v21, v23, vcc_lo
	s_delay_alu instid0(VALU_DEP_2) | instskip(SKIP_1) | instid1(VALU_DEP_3)
	v_mul_hi_u32 v22, s0, v2
	v_mul_lo_u32 v24, s65, v2
	v_mul_lo_u32 v23, s0, v21
	s_delay_alu instid0(VALU_DEP_1) | instskip(SKIP_1) | instid1(VALU_DEP_2)
	v_add_nc_u32_e32 v22, v22, v23
	v_mul_lo_u32 v23, s0, v2
	v_add_nc_u32_e32 v22, v22, v24
	s_delay_alu instid0(VALU_DEP_2) | instskip(NEXT) | instid1(VALU_DEP_2)
	v_mul_hi_u32 v24, v2, v23
	v_mul_lo_u32 v30, v2, v22
	v_mul_hi_u32 v31, v2, v22
	v_mul_hi_u32 v33, v21, v23
	v_mul_lo_u32 v23, v21, v23
	v_mul_hi_u32 v34, v21, v22
	v_mul_lo_u32 v22, v21, v22
	v_add_co_u32 v24, vcc_lo, v24, v30
	v_add_co_ci_u32_e32 v30, vcc_lo, 0, v31, vcc_lo
	s_delay_alu instid0(VALU_DEP_2) | instskip(NEXT) | instid1(VALU_DEP_2)
	v_add_co_u32 v23, vcc_lo, v24, v23
	v_add_co_ci_u32_e32 v23, vcc_lo, v30, v33, vcc_lo
	v_add_co_ci_u32_e32 v24, vcc_lo, 0, v34, vcc_lo
	v_add_co_u32 v30, vcc_lo, v3, v32
	v_add_co_ci_u32_e32 v31, vcc_lo, v4, v32, vcc_lo
	s_delay_alu instid0(VALU_DEP_4) | instskip(NEXT) | instid1(VALU_DEP_4)
	v_add_co_u32 v22, vcc_lo, v23, v22
	v_add_co_ci_u32_e32 v23, vcc_lo, 0, v24, vcc_lo
	s_delay_alu instid0(VALU_DEP_4) | instskip(NEXT) | instid1(VALU_DEP_3)
	v_xor_b32_e32 v33, v30, v32
	v_add_co_u32 v2, vcc_lo, v2, v22
	s_delay_alu instid0(VALU_DEP_3) | instskip(SKIP_1) | instid1(VALU_DEP_3)
	v_add_co_ci_u32_e32 v34, vcc_lo, v21, v23, vcc_lo
	v_xor_b32_e32 v35, v31, v32
	v_mul_hi_u32 v36, v33, v2
	s_delay_alu instid0(VALU_DEP_3) | instskip(NEXT) | instid1(VALU_DEP_3)
	v_mad_u64_u32 v[21:22], null, v33, v34, 0
	v_mad_u64_u32 v[23:24], null, v35, v2, 0
	;; [unrolled: 1-line block ×3, first 2 shown]
	s_delay_alu instid0(VALU_DEP_3) | instskip(NEXT) | instid1(VALU_DEP_4)
	v_add_co_u32 v2, vcc_lo, v36, v21
	v_add_co_ci_u32_e32 v21, vcc_lo, 0, v22, vcc_lo
	s_delay_alu instid0(VALU_DEP_2) | instskip(NEXT) | instid1(VALU_DEP_2)
	v_add_co_u32 v2, vcc_lo, v2, v23
	v_add_co_ci_u32_e32 v2, vcc_lo, v21, v24, vcc_lo
	v_add_co_ci_u32_e32 v21, vcc_lo, 0, v31, vcc_lo
	s_delay_alu instid0(VALU_DEP_2) | instskip(NEXT) | instid1(VALU_DEP_2)
	v_add_co_u32 v2, vcc_lo, v2, v30
	v_add_co_ci_u32_e32 v23, vcc_lo, 0, v21, vcc_lo
	s_delay_alu instid0(VALU_DEP_2) | instskip(SKIP_1) | instid1(VALU_DEP_3)
	v_mul_lo_u32 v24, s67, v2
	v_mad_u64_u32 v[21:22], null, s66, v2, 0
	v_mul_lo_u32 v30, s66, v23
	s_delay_alu instid0(VALU_DEP_2) | instskip(NEXT) | instid1(VALU_DEP_2)
	v_sub_co_u32 v21, vcc_lo, v33, v21
	v_add3_u32 v22, v22, v30, v24
	s_delay_alu instid0(VALU_DEP_1) | instskip(NEXT) | instid1(VALU_DEP_1)
	v_sub_nc_u32_e32 v24, v35, v22
	v_subrev_co_ci_u32_e64 v24, s0, s67, v24, vcc_lo
	v_add_co_u32 v30, s0, v2, 2
	s_delay_alu instid0(VALU_DEP_1) | instskip(SKIP_3) | instid1(VALU_DEP_3)
	v_add_co_ci_u32_e64 v31, s0, 0, v23, s0
	v_sub_co_u32 v33, s0, v21, s66
	v_sub_co_ci_u32_e32 v22, vcc_lo, v35, v22, vcc_lo
	v_subrev_co_ci_u32_e64 v24, s0, 0, v24, s0
	v_cmp_le_u32_e32 vcc_lo, s66, v33
	s_delay_alu instid0(VALU_DEP_3) | instskip(SKIP_1) | instid1(VALU_DEP_4)
	v_cmp_eq_u32_e64 s0, s67, v22
	v_cndmask_b32_e64 v33, 0, -1, vcc_lo
	v_cmp_le_u32_e32 vcc_lo, s67, v24
	v_cndmask_b32_e64 v34, 0, -1, vcc_lo
	v_cmp_le_u32_e32 vcc_lo, s66, v21
	;; [unrolled: 2-line block ×3, first 2 shown]
	v_cndmask_b32_e64 v35, 0, -1, vcc_lo
	v_cmp_eq_u32_e32 vcc_lo, s67, v24
	s_delay_alu instid0(VALU_DEP_2) | instskip(SKIP_3) | instid1(VALU_DEP_3)
	v_cndmask_b32_e64 v21, v35, v21, s0
	v_cndmask_b32_e32 v24, v34, v33, vcc_lo
	v_add_co_u32 v33, vcc_lo, v2, 1
	v_add_co_ci_u32_e32 v34, vcc_lo, 0, v23, vcc_lo
	v_cmp_ne_u32_e32 vcc_lo, 0, v24
	s_delay_alu instid0(VALU_DEP_2) | instskip(NEXT) | instid1(VALU_DEP_4)
	v_cndmask_b32_e32 v22, v34, v31, vcc_lo
	v_cndmask_b32_e32 v24, v33, v30, vcc_lo
	v_cmp_ne_u32_e32 vcc_lo, 0, v21
	v_xor_b32_e32 v30, s64, v32
	s_delay_alu instid0(VALU_DEP_3) | instskip(NEXT) | instid1(VALU_DEP_1)
	v_dual_cndmask_b32 v2, v2, v24 :: v_dual_cndmask_b32 v21, v23, v22
	v_xor_b32_e32 v2, v2, v30
	s_delay_alu instid0(VALU_DEP_2) | instskip(NEXT) | instid1(VALU_DEP_2)
	v_xor_b32_e32 v22, v21, v30
	v_sub_co_u32 v21, vcc_lo, v2, v30
	s_delay_alu instid0(VALU_DEP_2)
	v_sub_co_ci_u32_e32 v22, vcc_lo, v22, v30, vcc_lo
.LBB23_45:                              ;   in Loop: Header=BB23_3 Depth=1
	s_and_not1_saveexec_b32 s0, s83
	s_cbranch_execz .LBB23_47
; %bb.46:                               ;   in Loop: Header=BB23_3 Depth=1
	v_cvt_f32_u32_e32 v2, s54
	s_sub_i32 s64, 0, s54
	s_delay_alu instid0(VALU_DEP_1) | instskip(SKIP_2) | instid1(VALU_DEP_1)
	v_rcp_iflag_f32_e32 v2, v2
	s_waitcnt_depctr 0xfff
	v_mul_f32_e32 v2, 0x4f7ffffe, v2
	v_cvt_u32_f32_e32 v2, v2
	s_delay_alu instid0(VALU_DEP_1) | instskip(NEXT) | instid1(VALU_DEP_1)
	v_mul_lo_u32 v21, s64, v2
	v_mul_hi_u32 v21, v2, v21
	s_delay_alu instid0(VALU_DEP_1) | instskip(NEXT) | instid1(VALU_DEP_1)
	v_add_nc_u32_e32 v2, v2, v21
	v_mul_hi_u32 v2, v3, v2
	s_delay_alu instid0(VALU_DEP_1) | instskip(SKIP_1) | instid1(VALU_DEP_2)
	v_mul_lo_u32 v21, v2, s54
	v_add_nc_u32_e32 v22, 1, v2
	v_sub_nc_u32_e32 v21, v3, v21
	s_delay_alu instid0(VALU_DEP_1) | instskip(SKIP_1) | instid1(VALU_DEP_2)
	v_subrev_nc_u32_e32 v23, s54, v21
	v_cmp_le_u32_e32 vcc_lo, s54, v21
	v_dual_cndmask_b32 v21, v21, v23 :: v_dual_cndmask_b32 v2, v2, v22
	s_delay_alu instid0(VALU_DEP_1) | instskip(NEXT) | instid1(VALU_DEP_2)
	v_cmp_le_u32_e32 vcc_lo, s54, v21
	v_add_nc_u32_e32 v22, 1, v2
	s_delay_alu instid0(VALU_DEP_1)
	v_dual_cndmask_b32 v21, v2, v22 :: v_dual_mov_b32 v22, v1
.LBB23_47:                              ;   in Loop: Header=BB23_3 Depth=1
	s_or_b32 exec_lo, exec_lo, s0
	s_delay_alu instid0(VALU_DEP_1) | instskip(NEXT) | instid1(VALU_DEP_2)
	v_mad_u64_u32 v[23:24], null, s74, v21, v[3:4]
	v_mul_lo_u32 v2, s74, v22
	v_mul_lo_u32 v30, s75, v21
	;; [unrolled: 1-line block ×4, first 2 shown]
	s_mov_b32 s0, exec_lo
	s_delay_alu instid0(VALU_DEP_3) | instskip(SKIP_3) | instid1(VALU_DEP_4)
	v_add3_u32 v2, v30, v24, v2
	v_mad_u64_u32 v[30:31], null, v21, s24, 0
	v_mul_lo_u32 v24, v23, s27
	v_mad_u64_u32 v[21:22], null, v23, s26, 0
	v_mul_lo_u32 v2, v2, s26
	s_delay_alu instid0(VALU_DEP_4) | instskip(NEXT) | instid1(VALU_DEP_2)
	v_add3_u32 v31, v31, v33, v32
	v_add3_u32 v22, v22, v24, v2
	s_delay_alu instid0(VALU_DEP_2) | instskip(NEXT) | instid1(VALU_DEP_2)
	v_lshlrev_b64 v[23:24], 2, v[30:31]
	v_lshlrev_b64 v[21:22], 2, v[21:22]
	s_delay_alu instid0(VALU_DEP_2) | instskip(NEXT) | instid1(VALU_DEP_3)
	v_add_co_u32 v2, vcc_lo, s52, v23
	v_add_co_ci_u32_e32 v23, vcc_lo, s53, v24, vcc_lo
	s_delay_alu instid0(VALU_DEP_2) | instskip(NEXT) | instid1(VALU_DEP_2)
	v_add_co_u32 v21, vcc_lo, v2, v21
	v_add_co_ci_u32_e32 v22, vcc_lo, v23, v22, vcc_lo
	v_or_b32_e32 v2, s61, v4
	global_load_b32 v30, v[21:22], off
                                        ; implicit-def: $vgpr21_vgpr22
	v_cmpx_ne_u64_e32 0, v[1:2]
	s_xor_b32 s83, exec_lo, s0
	s_cbranch_execz .LBB23_63
; %bb.48:                               ;   in Loop: Header=BB23_3 Depth=1
	s_ashr_i32 s64, s61, 31
	s_delay_alu instid0(SALU_CYCLE_1) | instskip(SKIP_2) | instid1(SALU_CYCLE_1)
	s_add_u32 s66, s60, s64
	s_mov_b32 s65, s64
	s_addc_u32 s67, s61, s64
	s_xor_b64 s[66:67], s[66:67], s[64:65]
	s_delay_alu instid0(SALU_CYCLE_1) | instskip(SKIP_3) | instid1(VALU_DEP_1)
	v_cvt_f32_u32_e32 v2, s66
	v_cvt_f32_u32_e32 v21, s67
	s_sub_u32 s0, 0, s66
	s_subb_u32 s65, 0, s67
	v_fmac_f32_e32 v2, 0x4f800000, v21
	s_delay_alu instid0(VALU_DEP_1) | instskip(SKIP_2) | instid1(VALU_DEP_1)
	v_rcp_f32_e32 v2, v2
	s_waitcnt_depctr 0xfff
	v_mul_f32_e32 v2, 0x5f7ffffc, v2
	v_mul_f32_e32 v21, 0x2f800000, v2
	s_delay_alu instid0(VALU_DEP_1) | instskip(NEXT) | instid1(VALU_DEP_1)
	v_trunc_f32_e32 v21, v21
	v_fmac_f32_e32 v2, 0xcf800000, v21
	v_cvt_u32_f32_e32 v21, v21
	s_delay_alu instid0(VALU_DEP_2) | instskip(NEXT) | instid1(VALU_DEP_2)
	v_cvt_u32_f32_e32 v2, v2
	v_mul_lo_u32 v22, s0, v21
	s_delay_alu instid0(VALU_DEP_2) | instskip(SKIP_1) | instid1(VALU_DEP_2)
	v_mul_hi_u32 v23, s0, v2
	v_mul_lo_u32 v24, s65, v2
	v_add_nc_u32_e32 v22, v23, v22
	v_mul_lo_u32 v23, s0, v2
	s_delay_alu instid0(VALU_DEP_2) | instskip(NEXT) | instid1(VALU_DEP_2)
	v_add_nc_u32_e32 v22, v22, v24
	v_mul_hi_u32 v24, v2, v23
	s_delay_alu instid0(VALU_DEP_2)
	v_mul_lo_u32 v31, v2, v22
	v_mul_hi_u32 v32, v2, v22
	v_mul_hi_u32 v33, v21, v23
	v_mul_lo_u32 v23, v21, v23
	v_mul_hi_u32 v34, v21, v22
	v_mul_lo_u32 v22, v21, v22
	v_add_co_u32 v24, vcc_lo, v24, v31
	v_add_co_ci_u32_e32 v31, vcc_lo, 0, v32, vcc_lo
	s_delay_alu instid0(VALU_DEP_2) | instskip(NEXT) | instid1(VALU_DEP_2)
	v_add_co_u32 v23, vcc_lo, v24, v23
	v_add_co_ci_u32_e32 v23, vcc_lo, v31, v33, vcc_lo
	v_add_co_ci_u32_e32 v24, vcc_lo, 0, v34, vcc_lo
	v_ashrrev_i32_e32 v33, 31, v4
	s_delay_alu instid0(VALU_DEP_3) | instskip(NEXT) | instid1(VALU_DEP_3)
	v_add_co_u32 v22, vcc_lo, v23, v22
	v_add_co_ci_u32_e32 v23, vcc_lo, 0, v24, vcc_lo
	s_delay_alu instid0(VALU_DEP_2) | instskip(NEXT) | instid1(VALU_DEP_2)
	v_add_co_u32 v2, vcc_lo, v2, v22
	v_add_co_ci_u32_e32 v21, vcc_lo, v21, v23, vcc_lo
	s_delay_alu instid0(VALU_DEP_2) | instskip(SKIP_1) | instid1(VALU_DEP_3)
	v_mul_hi_u32 v22, s0, v2
	v_mul_lo_u32 v24, s65, v2
	v_mul_lo_u32 v23, s0, v21
	s_delay_alu instid0(VALU_DEP_1) | instskip(SKIP_1) | instid1(VALU_DEP_2)
	v_add_nc_u32_e32 v22, v22, v23
	v_mul_lo_u32 v23, s0, v2
	v_add_nc_u32_e32 v22, v22, v24
	s_delay_alu instid0(VALU_DEP_2) | instskip(NEXT) | instid1(VALU_DEP_2)
	v_mul_hi_u32 v24, v2, v23
	v_mul_lo_u32 v31, v2, v22
	v_mul_hi_u32 v32, v2, v22
	v_mul_hi_u32 v34, v21, v23
	v_mul_lo_u32 v23, v21, v23
	v_mul_hi_u32 v35, v21, v22
	v_mul_lo_u32 v22, v21, v22
	v_add_co_u32 v24, vcc_lo, v24, v31
	v_add_co_ci_u32_e32 v31, vcc_lo, 0, v32, vcc_lo
	s_delay_alu instid0(VALU_DEP_2) | instskip(NEXT) | instid1(VALU_DEP_2)
	v_add_co_u32 v23, vcc_lo, v24, v23
	v_add_co_ci_u32_e32 v23, vcc_lo, v31, v34, vcc_lo
	v_add_co_ci_u32_e32 v24, vcc_lo, 0, v35, vcc_lo
	v_add_co_u32 v31, vcc_lo, v3, v33
	v_add_co_ci_u32_e32 v32, vcc_lo, v4, v33, vcc_lo
	s_delay_alu instid0(VALU_DEP_4) | instskip(NEXT) | instid1(VALU_DEP_4)
	v_add_co_u32 v22, vcc_lo, v23, v22
	v_add_co_ci_u32_e32 v23, vcc_lo, 0, v24, vcc_lo
	s_delay_alu instid0(VALU_DEP_4) | instskip(NEXT) | instid1(VALU_DEP_3)
	v_xor_b32_e32 v34, v31, v33
	v_add_co_u32 v2, vcc_lo, v2, v22
	s_delay_alu instid0(VALU_DEP_3) | instskip(SKIP_1) | instid1(VALU_DEP_3)
	v_add_co_ci_u32_e32 v35, vcc_lo, v21, v23, vcc_lo
	v_xor_b32_e32 v36, v32, v33
	v_mul_hi_u32 v37, v34, v2
	s_delay_alu instid0(VALU_DEP_3) | instskip(NEXT) | instid1(VALU_DEP_3)
	v_mad_u64_u32 v[21:22], null, v34, v35, 0
	v_mad_u64_u32 v[23:24], null, v36, v2, 0
	v_mad_u64_u32 v[31:32], null, v36, v35, 0
	s_delay_alu instid0(VALU_DEP_3) | instskip(NEXT) | instid1(VALU_DEP_4)
	v_add_co_u32 v2, vcc_lo, v37, v21
	v_add_co_ci_u32_e32 v21, vcc_lo, 0, v22, vcc_lo
	s_delay_alu instid0(VALU_DEP_2) | instskip(NEXT) | instid1(VALU_DEP_2)
	v_add_co_u32 v2, vcc_lo, v2, v23
	v_add_co_ci_u32_e32 v2, vcc_lo, v21, v24, vcc_lo
	v_add_co_ci_u32_e32 v21, vcc_lo, 0, v32, vcc_lo
	s_delay_alu instid0(VALU_DEP_2) | instskip(NEXT) | instid1(VALU_DEP_2)
	v_add_co_u32 v2, vcc_lo, v2, v31
	v_add_co_ci_u32_e32 v23, vcc_lo, 0, v21, vcc_lo
	s_delay_alu instid0(VALU_DEP_2) | instskip(SKIP_1) | instid1(VALU_DEP_3)
	v_mul_lo_u32 v24, s67, v2
	v_mad_u64_u32 v[21:22], null, s66, v2, 0
	v_mul_lo_u32 v31, s66, v23
	s_delay_alu instid0(VALU_DEP_2) | instskip(NEXT) | instid1(VALU_DEP_2)
	v_sub_co_u32 v21, vcc_lo, v34, v21
	v_add3_u32 v22, v22, v31, v24
	s_delay_alu instid0(VALU_DEP_1) | instskip(NEXT) | instid1(VALU_DEP_1)
	v_sub_nc_u32_e32 v24, v36, v22
	v_subrev_co_ci_u32_e64 v24, s0, s67, v24, vcc_lo
	v_add_co_u32 v31, s0, v2, 2
	s_delay_alu instid0(VALU_DEP_1) | instskip(SKIP_3) | instid1(VALU_DEP_3)
	v_add_co_ci_u32_e64 v32, s0, 0, v23, s0
	v_sub_co_u32 v34, s0, v21, s66
	v_sub_co_ci_u32_e32 v22, vcc_lo, v36, v22, vcc_lo
	v_subrev_co_ci_u32_e64 v24, s0, 0, v24, s0
	v_cmp_le_u32_e32 vcc_lo, s66, v34
	s_delay_alu instid0(VALU_DEP_3) | instskip(SKIP_1) | instid1(VALU_DEP_4)
	v_cmp_eq_u32_e64 s0, s67, v22
	v_cndmask_b32_e64 v34, 0, -1, vcc_lo
	v_cmp_le_u32_e32 vcc_lo, s67, v24
	v_cndmask_b32_e64 v35, 0, -1, vcc_lo
	v_cmp_le_u32_e32 vcc_lo, s66, v21
	v_cndmask_b32_e64 v21, 0, -1, vcc_lo
	v_cmp_le_u32_e32 vcc_lo, s67, v22
	v_cndmask_b32_e64 v36, 0, -1, vcc_lo
	v_cmp_eq_u32_e32 vcc_lo, s67, v24
	s_delay_alu instid0(VALU_DEP_2) | instskip(SKIP_3) | instid1(VALU_DEP_3)
	v_cndmask_b32_e64 v21, v36, v21, s0
	v_cndmask_b32_e32 v24, v35, v34, vcc_lo
	v_add_co_u32 v34, vcc_lo, v2, 1
	v_add_co_ci_u32_e32 v35, vcc_lo, 0, v23, vcc_lo
	v_cmp_ne_u32_e32 vcc_lo, 0, v24
	s_delay_alu instid0(VALU_DEP_2) | instskip(NEXT) | instid1(VALU_DEP_4)
	v_cndmask_b32_e32 v22, v35, v32, vcc_lo
	v_cndmask_b32_e32 v24, v34, v31, vcc_lo
	v_cmp_ne_u32_e32 vcc_lo, 0, v21
	v_xor_b32_e32 v31, s64, v33
	s_delay_alu instid0(VALU_DEP_3) | instskip(NEXT) | instid1(VALU_DEP_1)
	v_dual_cndmask_b32 v2, v2, v24 :: v_dual_cndmask_b32 v21, v23, v22
	v_xor_b32_e32 v2, v2, v31
	s_delay_alu instid0(VALU_DEP_2) | instskip(NEXT) | instid1(VALU_DEP_2)
	v_xor_b32_e32 v22, v21, v31
	v_sub_co_u32 v21, vcc_lo, v2, v31
	s_delay_alu instid0(VALU_DEP_2)
	v_sub_co_ci_u32_e32 v22, vcc_lo, v22, v31, vcc_lo
	s_and_not1_saveexec_b32 s0, s83
	s_cbranch_execnz .LBB23_64
.LBB23_49:                              ;   in Loop: Header=BB23_3 Depth=1
	s_or_b32 exec_lo, exec_lo, s0
	s_delay_alu instid0(SALU_CYCLE_1)
	s_and_not1_b32 vcc_lo, exec_lo, s33
	s_cbranch_vccnz .LBB23_65
.LBB23_50:                              ;   in Loop: Header=BB23_3 Depth=1
	v_or_b32_e32 v2, s57, v4
                                        ; implicit-def: $vgpr23_vgpr24
	s_mov_b32 s0, exec_lo
	s_delay_alu instid0(VALU_DEP_1)
	v_cmpx_ne_u64_e32 0, v[1:2]
	s_xor_b32 s83, exec_lo, s0
	s_cbranch_execz .LBB23_52
; %bb.51:                               ;   in Loop: Header=BB23_3 Depth=1
	s_ashr_i32 s64, s57, 31
	s_delay_alu instid0(SALU_CYCLE_1) | instskip(SKIP_2) | instid1(SALU_CYCLE_1)
	s_add_u32 s66, s56, s64
	s_mov_b32 s65, s64
	s_addc_u32 s67, s57, s64
	s_xor_b64 s[66:67], s[66:67], s[64:65]
	s_delay_alu instid0(SALU_CYCLE_1) | instskip(SKIP_3) | instid1(VALU_DEP_1)
	v_cvt_f32_u32_e32 v2, s66
	v_cvt_f32_u32_e32 v23, s67
	s_sub_u32 s0, 0, s66
	s_subb_u32 s65, 0, s67
	v_fmac_f32_e32 v2, 0x4f800000, v23
	s_delay_alu instid0(VALU_DEP_1) | instskip(SKIP_2) | instid1(VALU_DEP_1)
	v_rcp_f32_e32 v2, v2
	s_waitcnt_depctr 0xfff
	v_mul_f32_e32 v2, 0x5f7ffffc, v2
	v_mul_f32_e32 v23, 0x2f800000, v2
	s_delay_alu instid0(VALU_DEP_1) | instskip(NEXT) | instid1(VALU_DEP_1)
	v_trunc_f32_e32 v23, v23
	v_fmac_f32_e32 v2, 0xcf800000, v23
	v_cvt_u32_f32_e32 v23, v23
	s_delay_alu instid0(VALU_DEP_2) | instskip(NEXT) | instid1(VALU_DEP_2)
	v_cvt_u32_f32_e32 v2, v2
	v_mul_lo_u32 v24, s0, v23
	s_delay_alu instid0(VALU_DEP_2) | instskip(SKIP_1) | instid1(VALU_DEP_2)
	v_mul_hi_u32 v31, s0, v2
	v_mul_lo_u32 v32, s65, v2
	v_add_nc_u32_e32 v24, v31, v24
	v_mul_lo_u32 v31, s0, v2
	s_delay_alu instid0(VALU_DEP_2) | instskip(NEXT) | instid1(VALU_DEP_2)
	v_add_nc_u32_e32 v24, v24, v32
	v_mul_hi_u32 v32, v2, v31
	s_delay_alu instid0(VALU_DEP_2)
	v_mul_lo_u32 v33, v2, v24
	v_mul_hi_u32 v34, v2, v24
	v_mul_hi_u32 v35, v23, v31
	v_mul_lo_u32 v31, v23, v31
	v_mul_hi_u32 v36, v23, v24
	v_mul_lo_u32 v24, v23, v24
	v_add_co_u32 v32, vcc_lo, v32, v33
	v_add_co_ci_u32_e32 v33, vcc_lo, 0, v34, vcc_lo
	s_delay_alu instid0(VALU_DEP_2) | instskip(NEXT) | instid1(VALU_DEP_2)
	v_add_co_u32 v31, vcc_lo, v32, v31
	v_add_co_ci_u32_e32 v31, vcc_lo, v33, v35, vcc_lo
	v_add_co_ci_u32_e32 v32, vcc_lo, 0, v36, vcc_lo
	v_ashrrev_i32_e32 v35, 31, v4
	s_delay_alu instid0(VALU_DEP_3) | instskip(NEXT) | instid1(VALU_DEP_3)
	v_add_co_u32 v24, vcc_lo, v31, v24
	v_add_co_ci_u32_e32 v31, vcc_lo, 0, v32, vcc_lo
	s_delay_alu instid0(VALU_DEP_2) | instskip(NEXT) | instid1(VALU_DEP_2)
	v_add_co_u32 v2, vcc_lo, v2, v24
	v_add_co_ci_u32_e32 v23, vcc_lo, v23, v31, vcc_lo
	s_delay_alu instid0(VALU_DEP_2) | instskip(SKIP_1) | instid1(VALU_DEP_3)
	v_mul_hi_u32 v24, s0, v2
	v_mul_lo_u32 v32, s65, v2
	v_mul_lo_u32 v31, s0, v23
	s_delay_alu instid0(VALU_DEP_1) | instskip(SKIP_1) | instid1(VALU_DEP_2)
	v_add_nc_u32_e32 v24, v24, v31
	v_mul_lo_u32 v31, s0, v2
	v_add_nc_u32_e32 v24, v24, v32
	s_delay_alu instid0(VALU_DEP_2) | instskip(NEXT) | instid1(VALU_DEP_2)
	v_mul_hi_u32 v32, v2, v31
	v_mul_lo_u32 v33, v2, v24
	v_mul_hi_u32 v34, v2, v24
	v_mul_hi_u32 v36, v23, v31
	v_mul_lo_u32 v31, v23, v31
	v_mul_hi_u32 v37, v23, v24
	v_mul_lo_u32 v24, v23, v24
	v_add_co_u32 v32, vcc_lo, v32, v33
	v_add_co_ci_u32_e32 v33, vcc_lo, 0, v34, vcc_lo
	s_delay_alu instid0(VALU_DEP_2) | instskip(NEXT) | instid1(VALU_DEP_2)
	v_add_co_u32 v31, vcc_lo, v32, v31
	v_add_co_ci_u32_e32 v31, vcc_lo, v33, v36, vcc_lo
	v_add_co_ci_u32_e32 v32, vcc_lo, 0, v37, vcc_lo
	v_add_co_u32 v33, vcc_lo, v3, v35
	v_add_co_ci_u32_e32 v34, vcc_lo, v4, v35, vcc_lo
	s_delay_alu instid0(VALU_DEP_4) | instskip(NEXT) | instid1(VALU_DEP_4)
	v_add_co_u32 v24, vcc_lo, v31, v24
	v_add_co_ci_u32_e32 v31, vcc_lo, 0, v32, vcc_lo
	s_delay_alu instid0(VALU_DEP_4) | instskip(NEXT) | instid1(VALU_DEP_3)
	v_xor_b32_e32 v36, v33, v35
	v_add_co_u32 v2, vcc_lo, v2, v24
	s_delay_alu instid0(VALU_DEP_3) | instskip(SKIP_1) | instid1(VALU_DEP_3)
	v_add_co_ci_u32_e32 v37, vcc_lo, v23, v31, vcc_lo
	v_xor_b32_e32 v38, v34, v35
	v_mul_hi_u32 v39, v36, v2
	s_delay_alu instid0(VALU_DEP_3) | instskip(NEXT) | instid1(VALU_DEP_3)
	v_mad_u64_u32 v[23:24], null, v36, v37, 0
	v_mad_u64_u32 v[31:32], null, v38, v2, 0
	;; [unrolled: 1-line block ×3, first 2 shown]
	s_delay_alu instid0(VALU_DEP_3) | instskip(NEXT) | instid1(VALU_DEP_4)
	v_add_co_u32 v2, vcc_lo, v39, v23
	v_add_co_ci_u32_e32 v23, vcc_lo, 0, v24, vcc_lo
	s_delay_alu instid0(VALU_DEP_2) | instskip(NEXT) | instid1(VALU_DEP_2)
	v_add_co_u32 v2, vcc_lo, v2, v31
	v_add_co_ci_u32_e32 v2, vcc_lo, v23, v32, vcc_lo
	v_add_co_ci_u32_e32 v23, vcc_lo, 0, v34, vcc_lo
	s_delay_alu instid0(VALU_DEP_2) | instskip(NEXT) | instid1(VALU_DEP_2)
	v_add_co_u32 v2, vcc_lo, v2, v33
	v_add_co_ci_u32_e32 v31, vcc_lo, 0, v23, vcc_lo
	s_delay_alu instid0(VALU_DEP_2) | instskip(SKIP_1) | instid1(VALU_DEP_3)
	v_mul_lo_u32 v32, s67, v2
	v_mad_u64_u32 v[23:24], null, s66, v2, 0
	v_mul_lo_u32 v33, s66, v31
	s_delay_alu instid0(VALU_DEP_2) | instskip(NEXT) | instid1(VALU_DEP_2)
	v_sub_co_u32 v23, vcc_lo, v36, v23
	v_add3_u32 v24, v24, v33, v32
	s_delay_alu instid0(VALU_DEP_1) | instskip(NEXT) | instid1(VALU_DEP_1)
	v_sub_nc_u32_e32 v32, v38, v24
	v_subrev_co_ci_u32_e64 v32, s0, s67, v32, vcc_lo
	v_add_co_u32 v33, s0, v2, 2
	s_delay_alu instid0(VALU_DEP_1) | instskip(SKIP_3) | instid1(VALU_DEP_3)
	v_add_co_ci_u32_e64 v34, s0, 0, v31, s0
	v_sub_co_u32 v36, s0, v23, s66
	v_sub_co_ci_u32_e32 v24, vcc_lo, v38, v24, vcc_lo
	v_subrev_co_ci_u32_e64 v32, s0, 0, v32, s0
	v_cmp_le_u32_e32 vcc_lo, s66, v36
	s_delay_alu instid0(VALU_DEP_3) | instskip(SKIP_1) | instid1(VALU_DEP_4)
	v_cmp_eq_u32_e64 s0, s67, v24
	v_cndmask_b32_e64 v36, 0, -1, vcc_lo
	v_cmp_le_u32_e32 vcc_lo, s67, v32
	v_cndmask_b32_e64 v37, 0, -1, vcc_lo
	v_cmp_le_u32_e32 vcc_lo, s66, v23
	;; [unrolled: 2-line block ×3, first 2 shown]
	v_cndmask_b32_e64 v38, 0, -1, vcc_lo
	v_cmp_eq_u32_e32 vcc_lo, s67, v32
	s_delay_alu instid0(VALU_DEP_2) | instskip(SKIP_3) | instid1(VALU_DEP_3)
	v_cndmask_b32_e64 v23, v38, v23, s0
	v_cndmask_b32_e32 v32, v37, v36, vcc_lo
	v_add_co_u32 v36, vcc_lo, v2, 1
	v_add_co_ci_u32_e32 v37, vcc_lo, 0, v31, vcc_lo
	v_cmp_ne_u32_e32 vcc_lo, 0, v32
	s_delay_alu instid0(VALU_DEP_2) | instskip(NEXT) | instid1(VALU_DEP_4)
	v_cndmask_b32_e32 v24, v37, v34, vcc_lo
	v_cndmask_b32_e32 v32, v36, v33, vcc_lo
	v_cmp_ne_u32_e32 vcc_lo, 0, v23
	v_xor_b32_e32 v33, s64, v35
	s_delay_alu instid0(VALU_DEP_3) | instskip(SKIP_1) | instid1(VALU_DEP_2)
	v_cndmask_b32_e32 v2, v2, v32, vcc_lo
	v_cndmask_b32_e32 v23, v31, v24, vcc_lo
	v_xor_b32_e32 v2, v2, v33
	s_delay_alu instid0(VALU_DEP_2) | instskip(NEXT) | instid1(VALU_DEP_2)
	v_xor_b32_e32 v24, v23, v33
	v_sub_co_u32 v23, vcc_lo, v2, v33
	s_delay_alu instid0(VALU_DEP_2)
	v_sub_co_ci_u32_e32 v24, vcc_lo, v24, v33, vcc_lo
.LBB23_52:                              ;   in Loop: Header=BB23_3 Depth=1
	s_and_not1_saveexec_b32 s0, s83
	s_cbranch_execz .LBB23_54
; %bb.53:                               ;   in Loop: Header=BB23_3 Depth=1
	v_cvt_f32_u32_e32 v2, s56
	s_sub_i32 s64, 0, s56
	s_delay_alu instid0(VALU_DEP_1) | instskip(SKIP_2) | instid1(VALU_DEP_1)
	v_rcp_iflag_f32_e32 v2, v2
	s_waitcnt_depctr 0xfff
	v_mul_f32_e32 v2, 0x4f7ffffe, v2
	v_cvt_u32_f32_e32 v2, v2
	s_delay_alu instid0(VALU_DEP_1) | instskip(NEXT) | instid1(VALU_DEP_1)
	v_mul_lo_u32 v23, s64, v2
	v_mul_hi_u32 v23, v2, v23
	s_delay_alu instid0(VALU_DEP_1) | instskip(NEXT) | instid1(VALU_DEP_1)
	v_add_nc_u32_e32 v2, v2, v23
	v_mul_hi_u32 v2, v3, v2
	s_delay_alu instid0(VALU_DEP_1) | instskip(SKIP_1) | instid1(VALU_DEP_2)
	v_mul_lo_u32 v23, v2, s56
	v_add_nc_u32_e32 v24, 1, v2
	v_sub_nc_u32_e32 v23, v3, v23
	s_delay_alu instid0(VALU_DEP_1) | instskip(SKIP_1) | instid1(VALU_DEP_2)
	v_subrev_nc_u32_e32 v31, s56, v23
	v_cmp_le_u32_e32 vcc_lo, s56, v23
	v_dual_cndmask_b32 v23, v23, v31 :: v_dual_cndmask_b32 v2, v2, v24
	s_delay_alu instid0(VALU_DEP_1) | instskip(NEXT) | instid1(VALU_DEP_2)
	v_cmp_le_u32_e32 vcc_lo, s56, v23
	v_add_nc_u32_e32 v24, 1, v2
	s_delay_alu instid0(VALU_DEP_1)
	v_dual_cndmask_b32 v23, v2, v24 :: v_dual_mov_b32 v24, v1
.LBB23_54:                              ;   in Loop: Header=BB23_3 Depth=1
	s_or_b32 exec_lo, exec_lo, s0
	s_delay_alu instid0(VALU_DEP_1) | instskip(NEXT) | instid1(VALU_DEP_2)
	v_mad_u64_u32 v[31:32], null, s78, v23, v[3:4]
	v_mul_lo_u32 v2, s78, v24
	v_mul_lo_u32 v33, s79, v23
	;; [unrolled: 1-line block ×5, first 2 shown]
	s_delay_alu instid0(VALU_DEP_4) | instskip(SKIP_2) | instid1(VALU_DEP_3)
	v_add3_u32 v2, v33, v32, v2
	v_mad_u64_u32 v[32:33], null, v23, s8, 0
	v_mad_u64_u32 v[23:24], null, v31, s10, 0
	v_mul_lo_u32 v2, v2, s10
	s_delay_alu instid0(VALU_DEP_3) | instskip(NEXT) | instid1(VALU_DEP_2)
	v_add3_u32 v33, v33, v35, v34
	v_add3_u32 v24, v24, v36, v2
	s_delay_alu instid0(VALU_DEP_2) | instskip(NEXT) | instid1(VALU_DEP_2)
	v_lshlrev_b64 v[31:32], 2, v[32:33]
	v_lshlrev_b64 v[23:24], 2, v[23:24]
	s_delay_alu instid0(VALU_DEP_2) | instskip(NEXT) | instid1(VALU_DEP_3)
	v_add_co_u32 v2, vcc_lo, s2, v31
	v_add_co_ci_u32_e32 v31, vcc_lo, s3, v32, vcc_lo
	s_delay_alu instid0(VALU_DEP_2) | instskip(NEXT) | instid1(VALU_DEP_2)
	v_add_co_u32 v23, vcc_lo, v2, v23
	v_add_co_ci_u32_e32 v24, vcc_lo, v31, v24, vcc_lo
	global_load_b32 v31, v[23:24], off
	s_and_not1_b32 vcc_lo, exec_lo, s1
	s_cbranch_vccnz .LBB23_66
.LBB23_55:                              ;   in Loop: Header=BB23_3 Depth=1
	v_or_b32_e32 v2, s63, v4
                                        ; implicit-def: $vgpr23_vgpr24
	s_mov_b32 s0, exec_lo
	s_delay_alu instid0(VALU_DEP_1)
	v_cmpx_ne_u64_e32 0, v[1:2]
	s_xor_b32 s83, exec_lo, s0
	s_cbranch_execz .LBB23_57
; %bb.56:                               ;   in Loop: Header=BB23_3 Depth=1
	s_ashr_i32 s64, s63, 31
	s_delay_alu instid0(SALU_CYCLE_1) | instskip(SKIP_2) | instid1(SALU_CYCLE_1)
	s_add_u32 s66, s62, s64
	s_mov_b32 s65, s64
	s_addc_u32 s67, s63, s64
	s_xor_b64 s[66:67], s[66:67], s[64:65]
	s_delay_alu instid0(SALU_CYCLE_1) | instskip(SKIP_3) | instid1(VALU_DEP_1)
	v_cvt_f32_u32_e32 v2, s66
	v_cvt_f32_u32_e32 v23, s67
	s_sub_u32 s0, 0, s66
	s_subb_u32 s65, 0, s67
	v_fmac_f32_e32 v2, 0x4f800000, v23
	s_delay_alu instid0(VALU_DEP_1) | instskip(SKIP_2) | instid1(VALU_DEP_1)
	v_rcp_f32_e32 v2, v2
	s_waitcnt_depctr 0xfff
	v_mul_f32_e32 v2, 0x5f7ffffc, v2
	v_mul_f32_e32 v23, 0x2f800000, v2
	s_delay_alu instid0(VALU_DEP_1) | instskip(NEXT) | instid1(VALU_DEP_1)
	v_trunc_f32_e32 v23, v23
	v_fmac_f32_e32 v2, 0xcf800000, v23
	v_cvt_u32_f32_e32 v23, v23
	s_delay_alu instid0(VALU_DEP_2) | instskip(NEXT) | instid1(VALU_DEP_2)
	v_cvt_u32_f32_e32 v2, v2
	v_mul_lo_u32 v24, s0, v23
	s_delay_alu instid0(VALU_DEP_2) | instskip(SKIP_1) | instid1(VALU_DEP_2)
	v_mul_hi_u32 v32, s0, v2
	v_mul_lo_u32 v33, s65, v2
	v_add_nc_u32_e32 v24, v32, v24
	v_mul_lo_u32 v32, s0, v2
	s_delay_alu instid0(VALU_DEP_2) | instskip(NEXT) | instid1(VALU_DEP_2)
	v_add_nc_u32_e32 v24, v24, v33
	v_mul_hi_u32 v33, v2, v32
	s_delay_alu instid0(VALU_DEP_2)
	v_mul_lo_u32 v34, v2, v24
	v_mul_hi_u32 v35, v2, v24
	v_mul_hi_u32 v36, v23, v32
	v_mul_lo_u32 v32, v23, v32
	v_mul_hi_u32 v37, v23, v24
	v_mul_lo_u32 v24, v23, v24
	v_add_co_u32 v33, vcc_lo, v33, v34
	v_add_co_ci_u32_e32 v34, vcc_lo, 0, v35, vcc_lo
	s_delay_alu instid0(VALU_DEP_2) | instskip(NEXT) | instid1(VALU_DEP_2)
	v_add_co_u32 v32, vcc_lo, v33, v32
	v_add_co_ci_u32_e32 v32, vcc_lo, v34, v36, vcc_lo
	v_add_co_ci_u32_e32 v33, vcc_lo, 0, v37, vcc_lo
	v_ashrrev_i32_e32 v36, 31, v4
	s_delay_alu instid0(VALU_DEP_3) | instskip(NEXT) | instid1(VALU_DEP_3)
	v_add_co_u32 v24, vcc_lo, v32, v24
	v_add_co_ci_u32_e32 v32, vcc_lo, 0, v33, vcc_lo
	s_delay_alu instid0(VALU_DEP_2) | instskip(NEXT) | instid1(VALU_DEP_2)
	v_add_co_u32 v2, vcc_lo, v2, v24
	v_add_co_ci_u32_e32 v23, vcc_lo, v23, v32, vcc_lo
	s_delay_alu instid0(VALU_DEP_2) | instskip(SKIP_1) | instid1(VALU_DEP_3)
	v_mul_hi_u32 v24, s0, v2
	v_mul_lo_u32 v33, s65, v2
	v_mul_lo_u32 v32, s0, v23
	s_delay_alu instid0(VALU_DEP_1) | instskip(SKIP_1) | instid1(VALU_DEP_2)
	v_add_nc_u32_e32 v24, v24, v32
	v_mul_lo_u32 v32, s0, v2
	v_add_nc_u32_e32 v24, v24, v33
	s_delay_alu instid0(VALU_DEP_2) | instskip(NEXT) | instid1(VALU_DEP_2)
	v_mul_hi_u32 v33, v2, v32
	v_mul_lo_u32 v34, v2, v24
	v_mul_hi_u32 v35, v2, v24
	v_mul_hi_u32 v37, v23, v32
	v_mul_lo_u32 v32, v23, v32
	v_mul_hi_u32 v38, v23, v24
	v_mul_lo_u32 v24, v23, v24
	v_add_co_u32 v33, vcc_lo, v33, v34
	v_add_co_ci_u32_e32 v34, vcc_lo, 0, v35, vcc_lo
	s_delay_alu instid0(VALU_DEP_2) | instskip(NEXT) | instid1(VALU_DEP_2)
	v_add_co_u32 v32, vcc_lo, v33, v32
	v_add_co_ci_u32_e32 v32, vcc_lo, v34, v37, vcc_lo
	v_add_co_ci_u32_e32 v33, vcc_lo, 0, v38, vcc_lo
	v_add_co_u32 v34, vcc_lo, v3, v36
	v_add_co_ci_u32_e32 v35, vcc_lo, v4, v36, vcc_lo
	s_delay_alu instid0(VALU_DEP_4) | instskip(NEXT) | instid1(VALU_DEP_4)
	v_add_co_u32 v24, vcc_lo, v32, v24
	v_add_co_ci_u32_e32 v32, vcc_lo, 0, v33, vcc_lo
	s_delay_alu instid0(VALU_DEP_4) | instskip(NEXT) | instid1(VALU_DEP_3)
	v_xor_b32_e32 v37, v34, v36
	v_add_co_u32 v2, vcc_lo, v2, v24
	s_delay_alu instid0(VALU_DEP_3) | instskip(SKIP_1) | instid1(VALU_DEP_3)
	v_add_co_ci_u32_e32 v38, vcc_lo, v23, v32, vcc_lo
	v_xor_b32_e32 v39, v35, v36
	v_mul_hi_u32 v40, v37, v2
	s_delay_alu instid0(VALU_DEP_3) | instskip(NEXT) | instid1(VALU_DEP_3)
	v_mad_u64_u32 v[23:24], null, v37, v38, 0
	v_mad_u64_u32 v[32:33], null, v39, v2, 0
	;; [unrolled: 1-line block ×3, first 2 shown]
	s_delay_alu instid0(VALU_DEP_3) | instskip(NEXT) | instid1(VALU_DEP_4)
	v_add_co_u32 v2, vcc_lo, v40, v23
	v_add_co_ci_u32_e32 v23, vcc_lo, 0, v24, vcc_lo
	s_delay_alu instid0(VALU_DEP_2) | instskip(NEXT) | instid1(VALU_DEP_2)
	v_add_co_u32 v2, vcc_lo, v2, v32
	v_add_co_ci_u32_e32 v2, vcc_lo, v23, v33, vcc_lo
	v_add_co_ci_u32_e32 v23, vcc_lo, 0, v35, vcc_lo
	s_delay_alu instid0(VALU_DEP_2) | instskip(NEXT) | instid1(VALU_DEP_2)
	v_add_co_u32 v2, vcc_lo, v2, v34
	v_add_co_ci_u32_e32 v32, vcc_lo, 0, v23, vcc_lo
	s_delay_alu instid0(VALU_DEP_2) | instskip(SKIP_1) | instid1(VALU_DEP_3)
	v_mul_lo_u32 v33, s67, v2
	v_mad_u64_u32 v[23:24], null, s66, v2, 0
	v_mul_lo_u32 v34, s66, v32
	s_delay_alu instid0(VALU_DEP_2) | instskip(NEXT) | instid1(VALU_DEP_2)
	v_sub_co_u32 v23, vcc_lo, v37, v23
	v_add3_u32 v24, v24, v34, v33
	s_delay_alu instid0(VALU_DEP_1) | instskip(NEXT) | instid1(VALU_DEP_1)
	v_sub_nc_u32_e32 v33, v39, v24
	v_subrev_co_ci_u32_e64 v33, s0, s67, v33, vcc_lo
	v_add_co_u32 v34, s0, v2, 2
	s_delay_alu instid0(VALU_DEP_1) | instskip(SKIP_3) | instid1(VALU_DEP_3)
	v_add_co_ci_u32_e64 v35, s0, 0, v32, s0
	v_sub_co_u32 v37, s0, v23, s66
	v_sub_co_ci_u32_e32 v24, vcc_lo, v39, v24, vcc_lo
	v_subrev_co_ci_u32_e64 v33, s0, 0, v33, s0
	v_cmp_le_u32_e32 vcc_lo, s66, v37
	s_delay_alu instid0(VALU_DEP_3) | instskip(SKIP_1) | instid1(VALU_DEP_4)
	v_cmp_eq_u32_e64 s0, s67, v24
	v_cndmask_b32_e64 v37, 0, -1, vcc_lo
	v_cmp_le_u32_e32 vcc_lo, s67, v33
	v_cndmask_b32_e64 v38, 0, -1, vcc_lo
	v_cmp_le_u32_e32 vcc_lo, s66, v23
	;; [unrolled: 2-line block ×3, first 2 shown]
	v_cndmask_b32_e64 v39, 0, -1, vcc_lo
	v_cmp_eq_u32_e32 vcc_lo, s67, v33
	s_delay_alu instid0(VALU_DEP_2) | instskip(SKIP_3) | instid1(VALU_DEP_3)
	v_cndmask_b32_e64 v23, v39, v23, s0
	v_cndmask_b32_e32 v33, v38, v37, vcc_lo
	v_add_co_u32 v37, vcc_lo, v2, 1
	v_add_co_ci_u32_e32 v38, vcc_lo, 0, v32, vcc_lo
	v_cmp_ne_u32_e32 vcc_lo, 0, v33
	s_delay_alu instid0(VALU_DEP_2) | instskip(SKIP_2) | instid1(VALU_DEP_3)
	v_dual_cndmask_b32 v33, v37, v34 :: v_dual_cndmask_b32 v24, v38, v35
	v_cmp_ne_u32_e32 vcc_lo, 0, v23
	v_xor_b32_e32 v34, s64, v36
	v_dual_cndmask_b32 v2, v2, v33 :: v_dual_cndmask_b32 v23, v32, v24
	s_delay_alu instid0(VALU_DEP_1) | instskip(NEXT) | instid1(VALU_DEP_2)
	v_xor_b32_e32 v2, v2, v34
	v_xor_b32_e32 v24, v23, v34
	s_delay_alu instid0(VALU_DEP_2) | instskip(NEXT) | instid1(VALU_DEP_2)
	v_sub_co_u32 v23, vcc_lo, v2, v34
	v_sub_co_ci_u32_e32 v24, vcc_lo, v24, v34, vcc_lo
.LBB23_57:                              ;   in Loop: Header=BB23_3 Depth=1
	s_and_not1_saveexec_b32 s0, s83
	s_cbranch_execz .LBB23_59
; %bb.58:                               ;   in Loop: Header=BB23_3 Depth=1
	v_cvt_f32_u32_e32 v2, s62
	s_sub_i32 s64, 0, s62
	s_delay_alu instid0(VALU_DEP_1) | instskip(SKIP_2) | instid1(VALU_DEP_1)
	v_rcp_iflag_f32_e32 v2, v2
	s_waitcnt_depctr 0xfff
	v_mul_f32_e32 v2, 0x4f7ffffe, v2
	v_cvt_u32_f32_e32 v2, v2
	s_delay_alu instid0(VALU_DEP_1) | instskip(NEXT) | instid1(VALU_DEP_1)
	v_mul_lo_u32 v23, s64, v2
	v_mul_hi_u32 v23, v2, v23
	s_delay_alu instid0(VALU_DEP_1) | instskip(NEXT) | instid1(VALU_DEP_1)
	v_add_nc_u32_e32 v2, v2, v23
	v_mul_hi_u32 v2, v3, v2
	s_delay_alu instid0(VALU_DEP_1) | instskip(SKIP_1) | instid1(VALU_DEP_2)
	v_mul_lo_u32 v23, v2, s62
	v_add_nc_u32_e32 v24, 1, v2
	v_sub_nc_u32_e32 v23, v3, v23
	s_delay_alu instid0(VALU_DEP_1) | instskip(SKIP_1) | instid1(VALU_DEP_2)
	v_subrev_nc_u32_e32 v32, s62, v23
	v_cmp_le_u32_e32 vcc_lo, s62, v23
	v_cndmask_b32_e32 v23, v23, v32, vcc_lo
	v_cndmask_b32_e32 v2, v2, v24, vcc_lo
	s_delay_alu instid0(VALU_DEP_2) | instskip(NEXT) | instid1(VALU_DEP_2)
	v_cmp_le_u32_e32 vcc_lo, s62, v23
	v_add_nc_u32_e32 v24, 1, v2
	s_delay_alu instid0(VALU_DEP_1)
	v_dual_cndmask_b32 v23, v2, v24 :: v_dual_mov_b32 v24, v1
.LBB23_59:                              ;   in Loop: Header=BB23_3 Depth=1
	s_or_b32 exec_lo, exec_lo, s0
	s_delay_alu instid0(VALU_DEP_1) | instskip(NEXT) | instid1(VALU_DEP_2)
	v_mad_u64_u32 v[32:33], null, s80, v23, v[3:4]
	v_mul_lo_u32 v2, s80, v24
	v_mul_lo_u32 v34, s81, v23
	;; [unrolled: 1-line block ×5, first 2 shown]
	s_delay_alu instid0(VALU_DEP_4) | instskip(SKIP_2) | instid1(VALU_DEP_3)
	v_add3_u32 v2, v34, v33, v2
	v_mad_u64_u32 v[33:34], null, v23, s28, 0
	v_mad_u64_u32 v[23:24], null, v32, s30, 0
	v_mul_lo_u32 v2, v2, s30
	s_delay_alu instid0(VALU_DEP_3) | instskip(NEXT) | instid1(VALU_DEP_2)
	v_add3_u32 v34, v34, v36, v35
	v_add3_u32 v24, v24, v37, v2
	s_delay_alu instid0(VALU_DEP_2) | instskip(NEXT) | instid1(VALU_DEP_2)
	v_lshlrev_b64 v[32:33], 2, v[33:34]
	v_lshlrev_b64 v[23:24], 2, v[23:24]
	s_delay_alu instid0(VALU_DEP_2) | instskip(NEXT) | instid1(VALU_DEP_3)
	v_add_co_u32 v2, vcc_lo, s42, v32
	v_add_co_ci_u32_e32 v32, vcc_lo, s43, v33, vcc_lo
	s_delay_alu instid0(VALU_DEP_2) | instskip(NEXT) | instid1(VALU_DEP_2)
	v_add_co_u32 v23, vcc_lo, v2, v23
	v_add_co_ci_u32_e32 v24, vcc_lo, v32, v24, vcc_lo
	global_load_b32 v2, v[23:24], off
	s_waitcnt vmcnt(1)
	v_cmp_ngt_f32_e64 s0, 0x3f200000, |v30|
                                        ; implicit-def: $vgpr23
	s_delay_alu instid0(VALU_DEP_1) | instskip(NEXT) | instid1(SALU_CYCLE_1)
	s_and_saveexec_b32 s64, s0
	s_xor_b32 s0, exec_lo, s64
	s_cbranch_execz .LBB23_61
.LBB23_60:                              ;   in Loop: Header=BB23_3 Depth=1
	v_add_f32_e64 v23, |v30|, |v30|
	s_delay_alu instid0(VALU_DEP_1) | instskip(SKIP_1) | instid1(VALU_DEP_2)
	v_mul_f32_e32 v24, 0x3fb8aa3b, v23
	v_cmp_ngt_f32_e32 vcc_lo, 0xc2ce8ed0, v23
	v_rndne_f32_e32 v32, v24
	v_fma_f32 v33, 0x3fb8aa3b, v23, -v24
	s_delay_alu instid0(VALU_DEP_1) | instskip(SKIP_1) | instid1(VALU_DEP_2)
	v_dual_sub_f32 v24, v24, v32 :: v_dual_fmac_f32 v33, 0x32a5705f, v23
	v_cvt_i32_f32_e32 v32, v32
	v_add_f32_e32 v24, v24, v33
	s_delay_alu instid0(VALU_DEP_1) | instskip(SKIP_2) | instid1(VALU_DEP_1)
	v_exp_f32_e32 v24, v24
	s_waitcnt_depctr 0xfff
	v_ldexp_f32 v24, v24, v32
	v_cndmask_b32_e32 v24, 0, v24, vcc_lo
	v_cmp_nlt_f32_e32 vcc_lo, 0x42b17218, v23
	s_delay_alu instid0(VALU_DEP_2) | instskip(NEXT) | instid1(VALU_DEP_1)
	v_cndmask_b32_e32 v23, 0x7f800000, v24, vcc_lo
	v_add_f32_e32 v23, 1.0, v23
	s_delay_alu instid0(VALU_DEP_1)
	v_rcp_f32_e32 v23, v23
	s_waitcnt_depctr 0xfff
	v_fma_f32 v23, v23, -2.0, 1.0
.LBB23_61:                              ;   in Loop: Header=BB23_3 Depth=1
	s_and_not1_saveexec_b32 s0, s0
	s_cbranch_execz .LBB23_2
; %bb.62:                               ;   in Loop: Header=BB23_3 Depth=1
	v_mul_f32_e32 v23, v30, v30
	s_delay_alu instid0(VALU_DEP_1) | instskip(NEXT) | instid1(VALU_DEP_1)
	v_fmaak_f32 v24, s82, v23, 0x3ca908c9
	v_fmaak_f32 v24, v23, v24, 0xbd5c1c4e
	s_delay_alu instid0(VALU_DEP_1) | instskip(NEXT) | instid1(VALU_DEP_1)
	v_fmaak_f32 v24, v23, v24, 0x3e088382
	v_fmaak_f32 v24, v23, v24, 0xbeaaaa99
	s_delay_alu instid0(VALU_DEP_1) | instskip(NEXT) | instid1(VALU_DEP_1)
	v_mul_f32_e64 v24, |v30|, v24
	v_fma_f32 v23, v23, v24, |v30|
	s_branch .LBB23_2
.LBB23_63:                              ;   in Loop: Header=BB23_3 Depth=1
	s_and_not1_saveexec_b32 s0, s83
	s_cbranch_execz .LBB23_49
.LBB23_64:                              ;   in Loop: Header=BB23_3 Depth=1
	v_cvt_f32_u32_e32 v2, s60
	s_sub_i32 s64, 0, s60
	s_delay_alu instid0(VALU_DEP_1) | instskip(SKIP_2) | instid1(VALU_DEP_1)
	v_rcp_iflag_f32_e32 v2, v2
	s_waitcnt_depctr 0xfff
	v_mul_f32_e32 v2, 0x4f7ffffe, v2
	v_cvt_u32_f32_e32 v2, v2
	s_delay_alu instid0(VALU_DEP_1) | instskip(NEXT) | instid1(VALU_DEP_1)
	v_mul_lo_u32 v21, s64, v2
	v_mul_hi_u32 v21, v2, v21
	s_delay_alu instid0(VALU_DEP_1) | instskip(NEXT) | instid1(VALU_DEP_1)
	v_add_nc_u32_e32 v2, v2, v21
	v_mul_hi_u32 v2, v3, v2
	s_delay_alu instid0(VALU_DEP_1) | instskip(SKIP_1) | instid1(VALU_DEP_2)
	v_mul_lo_u32 v21, v2, s60
	v_add_nc_u32_e32 v22, 1, v2
	v_sub_nc_u32_e32 v21, v3, v21
	s_delay_alu instid0(VALU_DEP_1) | instskip(SKIP_1) | instid1(VALU_DEP_2)
	v_subrev_nc_u32_e32 v23, s60, v21
	v_cmp_le_u32_e32 vcc_lo, s60, v21
	v_dual_cndmask_b32 v21, v21, v23 :: v_dual_cndmask_b32 v2, v2, v22
	s_delay_alu instid0(VALU_DEP_1) | instskip(NEXT) | instid1(VALU_DEP_2)
	v_cmp_le_u32_e32 vcc_lo, s60, v21
	v_add_nc_u32_e32 v22, 1, v2
	s_delay_alu instid0(VALU_DEP_1) | instskip(SKIP_1) | instid1(SALU_CYCLE_1)
	v_dual_cndmask_b32 v21, v2, v22 :: v_dual_mov_b32 v22, v1
	s_or_b32 exec_lo, exec_lo, s0
	s_and_not1_b32 vcc_lo, exec_lo, s33
	s_cbranch_vccz .LBB23_50
.LBB23_65:                              ;   in Loop: Header=BB23_3 Depth=1
	v_mov_b32_e32 v31, 0
	s_and_not1_b32 vcc_lo, exec_lo, s1
	s_cbranch_vccz .LBB23_55
.LBB23_66:                              ;   in Loop: Header=BB23_3 Depth=1
	v_mov_b32_e32 v2, 0
	s_waitcnt vmcnt(0)
	v_cmp_ngt_f32_e64 s0, 0x3f200000, |v30|
                                        ; implicit-def: $vgpr23
	s_delay_alu instid0(VALU_DEP_1) | instskip(NEXT) | instid1(SALU_CYCLE_1)
	s_and_saveexec_b32 s64, s0
	s_xor_b32 s0, exec_lo, s64
	s_cbranch_execz .LBB23_61
	s_branch .LBB23_60
.LBB23_67:
	s_nop 0
	s_sendmsg sendmsg(MSG_DEALLOC_VGPRS)
	s_endpgm
	.section	.rodata,"a",@progbits
	.p2align	6, 0x0
	.amdhsa_kernel _ZN2at6native12_GLOBAL__N_16kernel18lstm_cell_backwardIfflLi2EEEvNS_4cuda6detail10TensorInfoIT_T1_EES9_S9_S9_S9_S9_S9_S8_S8_
		.amdhsa_group_segment_fixed_size 0
		.amdhsa_private_segment_fixed_size 0
		.amdhsa_kernarg_size 3184
		.amdhsa_user_sgpr_count 15
		.amdhsa_user_sgpr_dispatch_ptr 0
		.amdhsa_user_sgpr_queue_ptr 0
		.amdhsa_user_sgpr_kernarg_segment_ptr 1
		.amdhsa_user_sgpr_dispatch_id 0
		.amdhsa_user_sgpr_private_segment_size 0
		.amdhsa_wavefront_size32 1
		.amdhsa_uses_dynamic_stack 0
		.amdhsa_enable_private_segment 0
		.amdhsa_system_sgpr_workgroup_id_x 1
		.amdhsa_system_sgpr_workgroup_id_y 0
		.amdhsa_system_sgpr_workgroup_id_z 0
		.amdhsa_system_sgpr_workgroup_info 0
		.amdhsa_system_vgpr_workitem_id 0
		.amdhsa_next_free_vgpr 42
		.amdhsa_next_free_sgpr 84
		.amdhsa_reserve_vcc 1
		.amdhsa_float_round_mode_32 0
		.amdhsa_float_round_mode_16_64 0
		.amdhsa_float_denorm_mode_32 3
		.amdhsa_float_denorm_mode_16_64 3
		.amdhsa_dx10_clamp 1
		.amdhsa_ieee_mode 1
		.amdhsa_fp16_overflow 0
		.amdhsa_workgroup_processor_mode 1
		.amdhsa_memory_ordered 1
		.amdhsa_forward_progress 0
		.amdhsa_shared_vgpr_count 0
		.amdhsa_exception_fp_ieee_invalid_op 0
		.amdhsa_exception_fp_denorm_src 0
		.amdhsa_exception_fp_ieee_div_zero 0
		.amdhsa_exception_fp_ieee_overflow 0
		.amdhsa_exception_fp_ieee_underflow 0
		.amdhsa_exception_fp_ieee_inexact 0
		.amdhsa_exception_int_div_zero 0
	.end_amdhsa_kernel
	.section	.text._ZN2at6native12_GLOBAL__N_16kernel18lstm_cell_backwardIfflLi2EEEvNS_4cuda6detail10TensorInfoIT_T1_EES9_S9_S9_S9_S9_S9_S8_S8_,"axG",@progbits,_ZN2at6native12_GLOBAL__N_16kernel18lstm_cell_backwardIfflLi2EEEvNS_4cuda6detail10TensorInfoIT_T1_EES9_S9_S9_S9_S9_S9_S8_S8_,comdat
.Lfunc_end23:
	.size	_ZN2at6native12_GLOBAL__N_16kernel18lstm_cell_backwardIfflLi2EEEvNS_4cuda6detail10TensorInfoIT_T1_EES9_S9_S9_S9_S9_S9_S8_S8_, .Lfunc_end23-_ZN2at6native12_GLOBAL__N_16kernel18lstm_cell_backwardIfflLi2EEEvNS_4cuda6detail10TensorInfoIT_T1_EES9_S9_S9_S9_S9_S9_S8_S8_
                                        ; -- End function
	.section	.AMDGPU.csdata,"",@progbits
; Kernel info:
; codeLenInByte = 17320
; NumSgprs: 86
; NumVgprs: 42
; ScratchSize: 0
; MemoryBound: 0
; FloatMode: 240
; IeeeMode: 1
; LDSByteSize: 0 bytes/workgroup (compile time only)
; SGPRBlocks: 10
; VGPRBlocks: 5
; NumSGPRsForWavesPerEU: 86
; NumVGPRsForWavesPerEU: 42
; Occupancy: 16
; WaveLimiterHint : 1
; COMPUTE_PGM_RSRC2:SCRATCH_EN: 0
; COMPUTE_PGM_RSRC2:USER_SGPR: 15
; COMPUTE_PGM_RSRC2:TRAP_HANDLER: 0
; COMPUTE_PGM_RSRC2:TGID_X_EN: 1
; COMPUTE_PGM_RSRC2:TGID_Y_EN: 0
; COMPUTE_PGM_RSRC2:TGID_Z_EN: 0
; COMPUTE_PGM_RSRC2:TIDIG_COMP_CNT: 0
	.section	.text._ZN2at6native12_GLOBAL__N_16kernel18lstm_cell_backwardIN3c104HalfEfiLi1EEEvNS_4cuda6detail10TensorInfoIT_T1_EESB_SB_SB_SB_SB_SB_SA_SA_,"axG",@progbits,_ZN2at6native12_GLOBAL__N_16kernel18lstm_cell_backwardIN3c104HalfEfiLi1EEEvNS_4cuda6detail10TensorInfoIT_T1_EESB_SB_SB_SB_SB_SB_SA_SA_,comdat
	.globl	_ZN2at6native12_GLOBAL__N_16kernel18lstm_cell_backwardIN3c104HalfEfiLi1EEEvNS_4cuda6detail10TensorInfoIT_T1_EESB_SB_SB_SB_SB_SB_SA_SA_ ; -- Begin function _ZN2at6native12_GLOBAL__N_16kernel18lstm_cell_backwardIN3c104HalfEfiLi1EEEvNS_4cuda6detail10TensorInfoIT_T1_EESB_SB_SB_SB_SB_SB_SA_SA_
	.p2align	8
	.type	_ZN2at6native12_GLOBAL__N_16kernel18lstm_cell_backwardIN3c104HalfEfiLi1EEEvNS_4cuda6detail10TensorInfoIT_T1_EESB_SB_SB_SB_SB_SB_SA_SA_,@function
_ZN2at6native12_GLOBAL__N_16kernel18lstm_cell_backwardIN3c104HalfEfiLi1EEEvNS_4cuda6detail10TensorInfoIT_T1_EESB_SB_SB_SB_SB_SB_SA_SA_: ; @_ZN2at6native12_GLOBAL__N_16kernel18lstm_cell_backwardIN3c104HalfEfiLi1EEEvNS_4cuda6detail10TensorInfoIT_T1_EESB_SB_SB_SB_SB_SB_SA_SA_
; %bb.0:
	s_clause 0x1
	s_load_b32 s4, s[0:1], 0x5fc
	s_load_b64 s[2:3], s[0:1], 0x5e8
	s_add_u32 s8, s0, 0x5f0
	s_addc_u32 s9, s1, 0
	s_waitcnt lgkmcnt(0)
	s_and_b32 s23, s4, 0xffff
	s_mov_b32 s4, exec_lo
	v_mad_u64_u32 v[1:2], null, s15, s23, v[0:1]
	s_delay_alu instid0(VALU_DEP_1)
	v_cmpx_gt_i32_e64 s3, v1
	s_cbranch_execz .LBB24_12
; %bb.1:
	s_clause 0x3
	s_load_b64 s[4:5], s[0:1], 0x360
	s_load_b64 s[6:7], s[0:1], 0x438
	s_load_b32 s27, s[0:1], 0x3cc
	s_load_b32 s29, s[0:1], 0x4a4
	;; [unrolled: 1-line block ×3, first 2 shown]
	s_clause 0x9
	s_load_b32 s25, s[0:1], 0x21c
	s_load_b32 s26, s[0:1], 0x2f4
	;; [unrolled: 1-line block ×3, first 2 shown]
	s_load_b64 s[8:9], s[0:1], 0x1b0
	s_load_b64 s[10:11], s[0:1], 0x288
	;; [unrolled: 1-line block ×4, first 2 shown]
	s_load_b32 s21, s[0:1], 0x6c
	s_load_b64 s[16:17], s[0:1], 0xd8
	s_load_b32 s0, s[0:1], 0x144
	s_mov_b32 s1, 0
	s_mov_b32 s30, 0xbbbac73d
	s_mov_b32 s31, 1.0
	s_waitcnt lgkmcnt(0)
	s_cmp_lg_u64 s[4:5], 0
	s_mul_i32 s23, s24, s23
	s_cselect_b32 s18, -1, 0
	s_cmp_lg_u64 s[6:7], 0
	v_mul_lo_u32 v2, v1, s25
	s_cselect_b32 s19, -1, 0
	s_abs_i32 s20, s2
	v_mul_lo_u32 v4, v1, s26
	v_cvt_f32_u32_e32 v0, s20
	s_sub_i32 s22, 0, s20
	v_mul_lo_u32 v6, v1, s28
	v_mul_lo_u32 v8, v1, s27
	;; [unrolled: 1-line block ×3, first 2 shown]
	v_rcp_iflag_f32_e32 v0, v0
	s_mul_i32 s24, s23, s25
	s_mul_i32 s25, s23, s26
	;; [unrolled: 1-line block ×4, first 2 shown]
	s_ashr_i32 s28, s2, 31
	s_mul_i32 s29, s23, s29
	s_waitcnt_depctr 0xfff
	v_mul_f32_e32 v0, 0x4f7ffffe, v0
	s_delay_alu instid0(VALU_DEP_1) | instskip(NEXT) | instid1(VALU_DEP_1)
	v_cvt_u32_f32_e32 v0, v0
	v_mul_lo_u32 v3, s22, v0
	s_mul_i32 s22, s2, 3
	s_delay_alu instid0(VALU_DEP_1) | instskip(NEXT) | instid1(VALU_DEP_1)
	v_mul_hi_u32 v3, v0, v3
	v_add_nc_u32_e32 v0, v0, v3
	s_branch .LBB24_3
.LBB24_2:                               ;   in Loop: Header=BB24_3 Depth=1
	s_or_b32 exec_lo, exec_lo, s33
	v_mul_lo_u32 v20, v12, s0
	v_mul_lo_u32 v12, v18, s0
	;; [unrolled: 1-line block ×4, first 2 shown]
	s_waitcnt_depctr 0xfff
	v_bfi_b32 v15, 0x7fffffff, v19, v11
	v_cvt_f32_f16_e32 v26, v5
	v_cvt_f32_f16_e32 v25, v3
	;; [unrolled: 1-line block ×3, first 2 shown]
	v_ashrrev_i32_e32 v21, 31, v20
	v_ashrrev_i32_e32 v13, 31, v12
	v_fma_f32 v24, -v15, v15, 1.0
	v_ashrrev_i32_e32 v23, 31, v22
	v_ashrrev_i32_e32 v19, 31, v18
	v_lshlrev_b64 v[20:21], 1, v[20:21]
	v_lshlrev_b64 v[11:12], 1, v[12:13]
	v_dual_mul_f32 v13, v17, v26 :: v_dual_sub_f32 v30, 1.0, v25
	v_lshlrev_b64 v[22:23], 1, v[22:23]
	v_sub_f32_e32 v26, 1.0, v26
	v_add_co_u32 v20, vcc_lo, s16, v20
	s_delay_alu instid0(VALU_DEP_4) | instskip(SKIP_4) | instid1(VALU_DEP_4)
	v_fmac_f32_e32 v9, v13, v24
	v_cvt_f32_f16_e32 v13, v16
	v_cvt_f32_f16_e32 v24, v7
	v_ashrrev_i32_e32 v7, 31, v6
	v_add_co_ci_u32_e32 v21, vcc_lo, s17, v21, vcc_lo
	v_dual_mul_f32 v13, v9, v13 :: v_dual_add_nc_u32 v2, s24, v2
	s_delay_alu instid0(VALU_DEP_4)
	v_dual_mul_f32 v28, v9, v24 :: v_dual_sub_f32 v29, 1.0, v27
	v_add_co_u32 v11, vcc_lo, s16, v11
	v_lshlrev_b64 v[18:19], 1, v[18:19]
	v_add_co_ci_u32_e32 v12, vcc_lo, s17, v12, vcc_lo
	v_add_co_u32 v22, vcc_lo, s16, v22
	v_lshlrev_b64 v[24:25], 1, v[6:7]
	v_dual_mul_f32 v7, v17, v15 :: v_dual_add_nc_u32 v4, s25, v4
	v_dual_mul_f32 v13, v29, v13 :: v_dual_add_nc_u32 v6, s26, v6
	v_add_co_ci_u32_e32 v23, vcc_lo, s17, v23, vcc_lo
	v_dual_mul_f32 v15, v30, v28 :: v_dual_add_nc_u32 v10, s29, v10
	v_add_co_u32 v18, vcc_lo, s16, v18
	v_add_nc_u32_e32 v1, s23, v1
	v_add_co_ci_u32_e32 v19, vcc_lo, s17, v19, vcc_lo
	v_dual_mul_f32 v17, v9, v27 :: v_dual_add_nc_u32 v8, s27, v8
	v_fma_mix_f32 v16, -v16, v16, s31 op_sel_hi:[1,1,0]
	v_fma_mixlo_f16 v27, v13, v14, 0 op_sel_hi:[0,1,0]
	v_add_co_u32 v13, vcc_lo, s12, v24
	v_mul_f32_e32 v7, v26, v7
	v_fma_mixlo_f16 v15, v15, v3, 0 op_sel_hi:[0,1,0]
	v_add_co_ci_u32_e32 v14, vcc_lo, s13, v25, vcc_lo
	v_cmp_le_i32_e32 vcc_lo, s3, v1
	s_clause 0x1
	global_store_b16 v[20:21], v27, off
	global_store_b16 v[11:12], v15, off
	v_fma_mixlo_f16 v11, v16, v17, 0
	v_fma_mixlo_f16 v5, v7, v5, 0 op_sel_hi:[0,1,0]
	v_fma_mixlo_f16 v3, v9, v3, 0 op_sel_hi:[0,1,0]
	s_or_b32 s1, vcc_lo, s1
	s_clause 0x1
	global_store_b16 v[22:23], v11, off
	global_store_b16 v[18:19], v5, off
	;; [unrolled: 1-line block ×3, first 2 shown]
	s_and_not1_b32 exec_lo, exec_lo, s1
	s_cbranch_execz .LBB24_12
.LBB24_3:                               ; =>This Inner Loop Header: Depth=1
	v_sub_nc_u32_e32 v3, 0, v1
	s_delay_alu instid0(VALU_DEP_1) | instskip(NEXT) | instid1(VALU_DEP_1)
	v_max_i32_e32 v3, v1, v3
	v_mul_hi_u32 v5, v3, v0
	s_delay_alu instid0(VALU_DEP_1) | instskip(NEXT) | instid1(VALU_DEP_1)
	v_mul_lo_u32 v7, v5, s20
	v_sub_nc_u32_e32 v3, v3, v7
	v_add_nc_u32_e32 v7, 1, v5
	s_delay_alu instid0(VALU_DEP_2) | instskip(SKIP_1) | instid1(VALU_DEP_3)
	v_subrev_nc_u32_e32 v9, s20, v3
	v_cmp_le_u32_e32 vcc_lo, s20, v3
	v_cndmask_b32_e32 v5, v5, v7, vcc_lo
	s_delay_alu instid0(VALU_DEP_3) | instskip(SKIP_1) | instid1(VALU_DEP_3)
	v_cndmask_b32_e32 v3, v3, v9, vcc_lo
	v_ashrrev_i32_e32 v7, 31, v1
	v_add_nc_u32_e32 v9, 1, v5
	s_delay_alu instid0(VALU_DEP_3) | instskip(NEXT) | instid1(VALU_DEP_3)
	v_cmp_le_u32_e32 vcc_lo, s20, v3
	v_xor_b32_e32 v7, s28, v7
	s_delay_alu instid0(VALU_DEP_3) | instskip(NEXT) | instid1(VALU_DEP_2)
	v_cndmask_b32_e32 v3, v5, v9, vcc_lo
	v_mul_i32_i24_e32 v5, 3, v7
	s_delay_alu instid0(VALU_DEP_2) | instskip(NEXT) | instid1(VALU_DEP_1)
	v_xor_b32_e32 v3, v3, v7
	v_lshl_add_u32 v9, v3, 1, v3
	v_sub_nc_u32_e32 v3, v3, v7
	s_delay_alu instid0(VALU_DEP_2) | instskip(NEXT) | instid1(VALU_DEP_2)
	v_sub_nc_u32_e32 v7, v9, v5
	v_mad_u64_u32 v[12:13], null, s22, v3, v[1:2]
	v_ashrrev_i32_e32 v3, 31, v2
	v_ashrrev_i32_e32 v5, 31, v4
	s_delay_alu instid0(VALU_DEP_4) | instskip(NEXT) | instid1(VALU_DEP_3)
	v_mul_lo_u32 v9, s2, v7
	v_lshlrev_b64 v[19:20], 1, v[2:3]
	v_add_nc_u32_e32 v3, 2, v7
	s_delay_alu instid0(VALU_DEP_4) | instskip(SKIP_4) | instid1(VALU_DEP_4)
	v_lshlrev_b64 v[23:24], 1, v[4:5]
	v_add_nc_u32_e32 v5, 3, v7
	v_mul_lo_u32 v21, v12, s21
	v_add3_u32 v18, v9, s2, v1
	v_mad_u64_u32 v[15:16], null, s2, v3, v[1:2]
	v_mad_u64_u32 v[13:14], null, s2, v5, v[1:2]
	s_delay_alu instid0(VALU_DEP_3)
	v_mul_lo_u32 v16, v18, s21
	v_add_co_u32 v19, vcc_lo, s8, v19
	v_ashrrev_i32_e32 v22, 31, v21
	v_mul_lo_u32 v25, v15, s21
	v_add_co_ci_u32_e32 v20, vcc_lo, s9, v20, vcc_lo
	v_mul_lo_u32 v27, v13, s21
	v_ashrrev_i32_e32 v17, 31, v16
	v_lshlrev_b64 v[21:22], 1, v[21:22]
	v_add_co_u32 v23, vcc_lo, s10, v23
	v_ashrrev_i32_e32 v26, 31, v25
	s_delay_alu instid0(VALU_DEP_4)
	v_lshlrev_b64 v[16:17], 1, v[16:17]
	v_add_co_ci_u32_e32 v24, vcc_lo, s11, v24, vcc_lo
	v_ashrrev_i32_e32 v28, 31, v27
	v_add_co_u32 v21, vcc_lo, s14, v21
	v_lshlrev_b64 v[25:26], 1, v[25:26]
	v_add_co_ci_u32_e32 v22, vcc_lo, s15, v22, vcc_lo
	s_delay_alu instid0(VALU_DEP_4)
	v_lshlrev_b64 v[27:28], 1, v[27:28]
	v_add_co_u32 v16, vcc_lo, s14, v16
	v_add_co_ci_u32_e32 v17, vcc_lo, s15, v17, vcc_lo
	v_add_co_u32 v25, vcc_lo, s14, v25
	v_add_co_ci_u32_e32 v26, vcc_lo, s15, v26, vcc_lo
	;; [unrolled: 2-line block ×3, first 2 shown]
	global_load_u16 v7, v[19:20], off
	s_clause 0x3
	global_load_u16 v14, v[21:22], off
	global_load_u16 v3, v[16:17], off
	;; [unrolled: 1-line block ×5, first 2 shown]
	v_mov_b32_e32 v17, 0
	s_and_not1_b32 vcc_lo, exec_lo, s18
	s_cbranch_vccnz .LBB24_5
; %bb.4:                                ;   in Loop: Header=BB24_3 Depth=1
	v_ashrrev_i32_e32 v9, 31, v8
	s_delay_alu instid0(VALU_DEP_1) | instskip(NEXT) | instid1(VALU_DEP_1)
	v_lshlrev_b64 v[20:21], 1, v[8:9]
	v_add_co_u32 v20, vcc_lo, s4, v20
	s_delay_alu instid0(VALU_DEP_2)
	v_add_co_ci_u32_e32 v21, vcc_lo, s5, v21, vcc_lo
	global_load_u16 v9, v[20:21], off
	s_waitcnt vmcnt(0)
	v_cvt_f32_f16_e32 v17, v9
.LBB24_5:                               ;   in Loop: Header=BB24_3 Depth=1
	s_and_not1_b32 vcc_lo, exec_lo, s19
	s_cbranch_vccnz .LBB24_7
; %bb.6:                                ;   in Loop: Header=BB24_3 Depth=1
	v_ashrrev_i32_e32 v11, 31, v10
	s_delay_alu instid0(VALU_DEP_1) | instskip(NEXT) | instid1(VALU_DEP_1)
	v_lshlrev_b64 v[20:21], 1, v[10:11]
	v_add_co_u32 v20, vcc_lo, s6, v20
	s_delay_alu instid0(VALU_DEP_2)
	v_add_co_ci_u32_e32 v21, vcc_lo, s7, v21, vcc_lo
	global_load_u16 v9, v[20:21], off
	s_waitcnt vmcnt(0)
	v_cvt_f32_f16_e32 v9, v9
	s_branch .LBB24_8
.LBB24_7:                               ;   in Loop: Header=BB24_3 Depth=1
	v_mov_b32_e32 v9, 0
.LBB24_8:                               ;   in Loop: Header=BB24_3 Depth=1
	s_waitcnt vmcnt(0)
	v_cvt_f32_f16_e32 v11, v19
                                        ; implicit-def: $vgpr19
	s_delay_alu instid0(VALU_DEP_1) | instskip(NEXT) | instid1(VALU_DEP_1)
	v_cmp_ngt_f32_e64 s33, 0x3f200000, |v11|
	s_and_saveexec_b32 s34, s33
	s_delay_alu instid0(SALU_CYCLE_1)
	s_xor_b32 s33, exec_lo, s34
	s_cbranch_execz .LBB24_10
; %bb.9:                                ;   in Loop: Header=BB24_3 Depth=1
	v_add_f32_e64 v19, |v11|, |v11|
	s_delay_alu instid0(VALU_DEP_1) | instskip(SKIP_1) | instid1(VALU_DEP_2)
	v_mul_f32_e32 v20, 0x3fb8aa3b, v19
	v_cmp_ngt_f32_e32 vcc_lo, 0xc2ce8ed0, v19
	v_rndne_f32_e32 v21, v20
	v_fma_f32 v22, 0x3fb8aa3b, v19, -v20
	s_delay_alu instid0(VALU_DEP_2) | instskip(NEXT) | instid1(VALU_DEP_2)
	v_sub_f32_e32 v20, v20, v21
	v_fmac_f32_e32 v22, 0x32a5705f, v19
	v_cvt_i32_f32_e32 v21, v21
	s_delay_alu instid0(VALU_DEP_2) | instskip(NEXT) | instid1(VALU_DEP_1)
	v_add_f32_e32 v20, v20, v22
	v_exp_f32_e32 v20, v20
	s_waitcnt_depctr 0xfff
	v_ldexp_f32 v20, v20, v21
	s_delay_alu instid0(VALU_DEP_1) | instskip(SKIP_1) | instid1(VALU_DEP_2)
	v_cndmask_b32_e32 v20, 0, v20, vcc_lo
	v_cmp_nlt_f32_e32 vcc_lo, 0x42b17218, v19
	v_cndmask_b32_e32 v19, 0x7f800000, v20, vcc_lo
	s_delay_alu instid0(VALU_DEP_1) | instskip(NEXT) | instid1(VALU_DEP_1)
	v_add_f32_e32 v19, 1.0, v19
	v_rcp_f32_e32 v19, v19
	s_waitcnt_depctr 0xfff
	v_fma_f32 v19, v19, -2.0, 1.0
.LBB24_10:                              ;   in Loop: Header=BB24_3 Depth=1
	s_and_not1_saveexec_b32 s33, s33
	s_cbranch_execz .LBB24_2
; %bb.11:                               ;   in Loop: Header=BB24_3 Depth=1
	v_mul_f32_e32 v19, v11, v11
	s_delay_alu instid0(VALU_DEP_1) | instskip(NEXT) | instid1(VALU_DEP_1)
	v_fmaak_f32 v20, s30, v19, 0x3ca908c9
	v_fmaak_f32 v20, v19, v20, 0xbd5c1c4e
	s_delay_alu instid0(VALU_DEP_1) | instskip(NEXT) | instid1(VALU_DEP_1)
	v_fmaak_f32 v20, v19, v20, 0x3e088382
	v_fmaak_f32 v20, v19, v20, 0xbeaaaa99
	s_delay_alu instid0(VALU_DEP_1) | instskip(NEXT) | instid1(VALU_DEP_1)
	v_mul_f32_e64 v20, |v11|, v20
	v_fma_f32 v19, v19, v20, |v11|
	s_branch .LBB24_2
.LBB24_12:
	s_nop 0
	s_sendmsg sendmsg(MSG_DEALLOC_VGPRS)
	s_endpgm
	.section	.rodata,"a",@progbits
	.p2align	6, 0x0
	.amdhsa_kernel _ZN2at6native12_GLOBAL__N_16kernel18lstm_cell_backwardIN3c104HalfEfiLi1EEEvNS_4cuda6detail10TensorInfoIT_T1_EESB_SB_SB_SB_SB_SB_SA_SA_
		.amdhsa_group_segment_fixed_size 0
		.amdhsa_private_segment_fixed_size 0
		.amdhsa_kernarg_size 1776
		.amdhsa_user_sgpr_count 15
		.amdhsa_user_sgpr_dispatch_ptr 0
		.amdhsa_user_sgpr_queue_ptr 0
		.amdhsa_user_sgpr_kernarg_segment_ptr 1
		.amdhsa_user_sgpr_dispatch_id 0
		.amdhsa_user_sgpr_private_segment_size 0
		.amdhsa_wavefront_size32 1
		.amdhsa_uses_dynamic_stack 0
		.amdhsa_enable_private_segment 0
		.amdhsa_system_sgpr_workgroup_id_x 1
		.amdhsa_system_sgpr_workgroup_id_y 0
		.amdhsa_system_sgpr_workgroup_id_z 0
		.amdhsa_system_sgpr_workgroup_info 0
		.amdhsa_system_vgpr_workitem_id 0
		.amdhsa_next_free_vgpr 31
		.amdhsa_next_free_sgpr 35
		.amdhsa_reserve_vcc 1
		.amdhsa_float_round_mode_32 0
		.amdhsa_float_round_mode_16_64 0
		.amdhsa_float_denorm_mode_32 3
		.amdhsa_float_denorm_mode_16_64 3
		.amdhsa_dx10_clamp 1
		.amdhsa_ieee_mode 1
		.amdhsa_fp16_overflow 0
		.amdhsa_workgroup_processor_mode 1
		.amdhsa_memory_ordered 1
		.amdhsa_forward_progress 0
		.amdhsa_shared_vgpr_count 0
		.amdhsa_exception_fp_ieee_invalid_op 0
		.amdhsa_exception_fp_denorm_src 0
		.amdhsa_exception_fp_ieee_div_zero 0
		.amdhsa_exception_fp_ieee_overflow 0
		.amdhsa_exception_fp_ieee_underflow 0
		.amdhsa_exception_fp_ieee_inexact 0
		.amdhsa_exception_int_div_zero 0
	.end_amdhsa_kernel
	.section	.text._ZN2at6native12_GLOBAL__N_16kernel18lstm_cell_backwardIN3c104HalfEfiLi1EEEvNS_4cuda6detail10TensorInfoIT_T1_EESB_SB_SB_SB_SB_SB_SA_SA_,"axG",@progbits,_ZN2at6native12_GLOBAL__N_16kernel18lstm_cell_backwardIN3c104HalfEfiLi1EEEvNS_4cuda6detail10TensorInfoIT_T1_EESB_SB_SB_SB_SB_SB_SA_SA_,comdat
.Lfunc_end24:
	.size	_ZN2at6native12_GLOBAL__N_16kernel18lstm_cell_backwardIN3c104HalfEfiLi1EEEvNS_4cuda6detail10TensorInfoIT_T1_EESB_SB_SB_SB_SB_SB_SA_SA_, .Lfunc_end24-_ZN2at6native12_GLOBAL__N_16kernel18lstm_cell_backwardIN3c104HalfEfiLi1EEEvNS_4cuda6detail10TensorInfoIT_T1_EESB_SB_SB_SB_SB_SB_SA_SA_
                                        ; -- End function
	.section	.AMDGPU.csdata,"",@progbits
; Kernel info:
; codeLenInByte = 1572
; NumSgprs: 37
; NumVgprs: 31
; ScratchSize: 0
; MemoryBound: 0
; FloatMode: 240
; IeeeMode: 1
; LDSByteSize: 0 bytes/workgroup (compile time only)
; SGPRBlocks: 4
; VGPRBlocks: 3
; NumSGPRsForWavesPerEU: 37
; NumVGPRsForWavesPerEU: 31
; Occupancy: 16
; WaveLimiterHint : 1
; COMPUTE_PGM_RSRC2:SCRATCH_EN: 0
; COMPUTE_PGM_RSRC2:USER_SGPR: 15
; COMPUTE_PGM_RSRC2:TRAP_HANDLER: 0
; COMPUTE_PGM_RSRC2:TGID_X_EN: 1
; COMPUTE_PGM_RSRC2:TGID_Y_EN: 0
; COMPUTE_PGM_RSRC2:TGID_Z_EN: 0
; COMPUTE_PGM_RSRC2:TIDIG_COMP_CNT: 0
	.section	.text._ZN2at6native12_GLOBAL__N_16kernel18lstm_cell_backwardIN3c104HalfEfiLi2EEEvNS_4cuda6detail10TensorInfoIT_T1_EESB_SB_SB_SB_SB_SB_SA_SA_,"axG",@progbits,_ZN2at6native12_GLOBAL__N_16kernel18lstm_cell_backwardIN3c104HalfEfiLi2EEEvNS_4cuda6detail10TensorInfoIT_T1_EESB_SB_SB_SB_SB_SB_SA_SA_,comdat
	.globl	_ZN2at6native12_GLOBAL__N_16kernel18lstm_cell_backwardIN3c104HalfEfiLi2EEEvNS_4cuda6detail10TensorInfoIT_T1_EESB_SB_SB_SB_SB_SB_SA_SA_ ; -- Begin function _ZN2at6native12_GLOBAL__N_16kernel18lstm_cell_backwardIN3c104HalfEfiLi2EEEvNS_4cuda6detail10TensorInfoIT_T1_EESB_SB_SB_SB_SB_SB_SA_SA_
	.p2align	8
	.type	_ZN2at6native12_GLOBAL__N_16kernel18lstm_cell_backwardIN3c104HalfEfiLi2EEEvNS_4cuda6detail10TensorInfoIT_T1_EESB_SB_SB_SB_SB_SB_SA_SA_,@function
_ZN2at6native12_GLOBAL__N_16kernel18lstm_cell_backwardIN3c104HalfEfiLi2EEEvNS_4cuda6detail10TensorInfoIT_T1_EESB_SB_SB_SB_SB_SB_SA_SA_: ; @_ZN2at6native12_GLOBAL__N_16kernel18lstm_cell_backwardIN3c104HalfEfiLi2EEEvNS_4cuda6detail10TensorInfoIT_T1_EESB_SB_SB_SB_SB_SB_SA_SA_
; %bb.0:
	s_clause 0x1
	s_load_b32 s4, s[0:1], 0x5fc
	s_load_b64 s[2:3], s[0:1], 0x5e8
	s_add_u32 s16, s0, 0x5f0
	s_addc_u32 s17, s1, 0
	s_waitcnt lgkmcnt(0)
	s_and_b32 s40, s4, 0xffff
	s_mov_b32 s4, exec_lo
	v_mad_u64_u32 v[1:2], null, s15, s40, v[0:1]
	s_delay_alu instid0(VALU_DEP_1)
	v_cmpx_gt_i32_e64 s3, v1
	s_cbranch_execz .LBB25_11
; %bb.1:
	s_clause 0x9
	s_load_b64 s[4:5], s[0:1], 0x360
	s_load_b64 s[6:7], s[0:1], 0x438
	s_load_b32 s59, s[0:1], 0x36c
	s_load_b64 s[8:9], s[0:1], 0x3cc
	s_load_b64 s[10:11], s[0:1], 0x0
	s_load_b32 s33, s[0:1], 0xc
	s_load_b32 s34, s[0:1], 0xe4
	s_load_b64 s[12:13], s[0:1], 0x144
	s_load_b64 s[14:15], s[0:1], 0x1b0
	s_load_b32 s56, s[0:1], 0x1bc
	s_load_b32 s41, s[16:17], 0x0
	s_clause 0xa
	s_load_b64 s[16:17], s[0:1], 0x21c
	s_load_b64 s[18:19], s[0:1], 0x288
	s_load_b32 s57, s[0:1], 0x294
	s_load_b32 s60, s[0:1], 0x444
	s_load_b64 s[20:21], s[0:1], 0x4a4
	s_load_b64 s[22:23], s[0:1], 0x510
	s_load_b32 s58, s[0:1], 0x51c
	s_load_b64 s[24:25], s[0:1], 0x6c
	s_load_b64 s[26:27], s[0:1], 0xd8
	;; [unrolled: 1-line block ×4, first 2 shown]
	s_mov_b32 s39, 0
	s_mul_i32 s55, s2, 3
	s_waitcnt lgkmcnt(0)
	s_cmp_lg_u64 s[4:5], 0
	s_mov_b32 s61, 0xbbbac73d
	s_cselect_b32 s35, -1, 0
	s_cmp_lg_u64 s[6:7], 0
	s_mov_b32 s62, 1.0
	s_cselect_b32 s36, -1, 0
	s_abs_i32 s37, s2
	s_abs_i32 s42, s34
	v_cvt_f32_u32_e32 v0, s37
	v_cvt_f32_u32_e32 v3, s42
	s_sub_i32 s0, 0, s37
	s_abs_i32 s38, s33
	s_abs_i32 s47, s59
	v_rcp_iflag_f32_e32 v0, v0
	v_rcp_iflag_f32_e32 v3, v3
	v_cvt_f32_u32_e32 v2, s38
	v_cvt_f32_u32_e32 v9, s47
	s_abs_i32 s44, s56
	s_sub_i32 s1, 0, s38
	v_cvt_f32_u32_e32 v4, s44
	v_rcp_iflag_f32_e32 v2, v2
	s_abs_i32 s45, s57
	s_abs_i32 s46, s58
	s_waitcnt_depctr 0xfff
	v_dual_mul_f32 v0, 0x4f7ffffe, v0 :: v_dual_mul_f32 v3, 0x4f7ffffe, v3
	v_cvt_f32_u32_e32 v7, s45
	v_rcp_iflag_f32_e32 v4, v4
	s_abs_i32 s48, s60
	s_delay_alu instid0(VALU_DEP_2)
	v_cvt_u32_f32_e32 v0, v0
	v_cvt_u32_f32_e32 v3, v3
	v_rcp_iflag_f32_e32 v7, v7
	v_cvt_f32_u32_e32 v8, s46
	v_cvt_f32_u32_e32 v10, s48
	v_mul_lo_u32 v5, s0, v0
	s_sub_i32 s0, 0, s42
	s_mul_i32 s40, s41, s40
	v_mul_f32_e32 v12, 0x4f7ffffe, v4
	v_mul_lo_u32 v11, s0, v3
	v_rcp_iflag_f32_e32 v8, v8
	s_sub_i32 s0, 0, s44
	s_ashr_i32 s41, s2, 31
	v_mul_hi_u32 v5, v0, v5
	s_ashr_i32 s43, s33, 31
	s_ashr_i32 s49, s34, 31
	;; [unrolled: 1-line block ×7, first 2 shown]
	v_add_nc_u32_e32 v0, v0, v5
	v_rcp_iflag_f32_e32 v5, v9
	v_mul_f32_e32 v2, 0x4f7ffffe, v2
	v_cvt_u32_f32_e32 v9, v12
	s_sub_i32 s56, 0, s56
	s_sub_i32 s57, 0, s57
	;; [unrolled: 1-line block ×5, first 2 shown]
	s_waitcnt_depctr 0xfff
	v_mul_f32_e32 v5, 0x4f7ffffe, v5
	v_cvt_u32_f32_e32 v2, v2
	s_delay_alu instid0(VALU_DEP_2) | instskip(NEXT) | instid1(VALU_DEP_2)
	v_cvt_u32_f32_e32 v12, v5
	v_mul_lo_u32 v6, s1, v2
	s_sub_i32 s1, 0, s45
	s_delay_alu instid0(VALU_DEP_1) | instskip(NEXT) | instid1(VALU_DEP_1)
	v_mul_hi_u32 v6, v2, v6
	v_add_nc_u32_e32 v4, v2, v6
	v_mul_f32_e32 v2, 0x4f7ffffe, v7
	v_mul_hi_u32 v7, v3, v11
	v_rcp_iflag_f32_e32 v6, v10
	v_mul_lo_u32 v10, s0, v9
	s_sub_i32 s0, 0, s46
	v_cvt_u32_f32_e32 v2, v2
	s_delay_alu instid0(VALU_DEP_3) | instskip(NEXT) | instid1(VALU_DEP_2)
	v_add_nc_u32_e32 v5, v3, v7
	v_mul_lo_u32 v11, s1, v2
	s_sub_i32 s1, 0, s47
	s_waitcnt_depctr 0xfff
	v_mul_f32_e32 v6, 0x4f7ffffe, v6
	v_mul_lo_u32 v14, s1, v12
	v_mul_hi_u32 v10, v9, v10
	s_delay_alu instid0(VALU_DEP_3) | instskip(SKIP_3) | instid1(VALU_DEP_3)
	v_cvt_u32_f32_e32 v13, v6
	v_mul_hi_u32 v11, v2, v11
	v_mul_f32_e32 v8, 0x4f7ffffe, v8
	v_mul_hi_u32 v14, v12, v14
	v_add_nc_u32_e32 v7, v2, v11
	s_delay_alu instid0(VALU_DEP_3) | instskip(NEXT) | instid1(VALU_DEP_1)
	v_cvt_u32_f32_e32 v8, v8
	v_mul_lo_u32 v6, s0, v8
	s_sub_i32 s0, 0, s48
	s_delay_alu instid0(SALU_CYCLE_1) | instskip(NEXT) | instid1(VALU_DEP_2)
	v_mul_lo_u32 v15, s0, v13
	v_mul_hi_u32 v3, v8, v6
	v_add_nc_u32_e32 v6, v9, v10
	v_add_nc_u32_e32 v9, v12, v14
	s_delay_alu instid0(VALU_DEP_4) | instskip(NEXT) | instid1(VALU_DEP_4)
	v_mul_hi_u32 v10, v13, v15
	v_add_nc_u32_e32 v8, v8, v3
	s_delay_alu instid0(VALU_DEP_2)
	v_add_nc_u32_e32 v10, v13, v10
	s_branch .LBB25_3
.LBB25_2:                               ;   in Loop: Header=BB25_3 Depth=1
	s_or_b32 exec_lo, exec_lo, s0
	v_mul_hi_u32 v32, v19, v5
	v_mul_hi_u32 v35, v22, v5
	;; [unrolled: 1-line block ×4, first 2 shown]
	v_xor_b32_e32 v29, s49, v29
	v_mul_hi_u32 v37, v11, v8
	v_xor_b32_e32 v28, s49, v28
	v_xor_b32_e32 v27, s49, v27
	v_mul_lo_u32 v34, v32, s42
	v_add_nc_u32_e32 v38, 1, v32
	v_mul_lo_u32 v39, v33, s42
	v_mul_lo_u32 v41, v36, s42
	v_bfi_b32 v31, 0x7fffffff, v31, v30
	v_xor_b32_e32 v26, s49, v26
	v_sub_nc_u32_e32 v19, v19, v34
	v_mul_lo_u32 v34, v35, s42
	v_sub_nc_u32_e32 v20, v20, v39
	v_sub_nc_u32_e32 v24, v24, v41
	s_delay_alu instid0(VALU_DEP_4)
	v_subrev_nc_u32_e32 v44, s42, v19
	v_cmp_le_u32_e32 vcc_lo, s42, v19
	v_add_nc_u32_e32 v40, 1, v33
	v_add_nc_u32_e32 v43, 1, v36
	v_sub_nc_u32_e32 v22, v22, v34
	v_dual_cndmask_b32 v32, v32, v38 :: v_dual_cndmask_b32 v19, v19, v44
	v_cmp_le_u32_e32 vcc_lo, s42, v20
	v_subrev_nc_u32_e32 v38, s42, v20
	v_add_nc_u32_e32 v42, 1, v35
	s_delay_alu instid0(VALU_DEP_4) | instskip(SKIP_1) | instid1(VALU_DEP_4)
	v_add_nc_u32_e32 v34, 1, v32
	v_cmp_le_u32_e64 s0, s42, v19
	v_dual_cndmask_b32 v33, v33, v40 :: v_dual_cndmask_b32 v20, v20, v38
	v_cmp_le_u32_e32 vcc_lo, s42, v24
	s_delay_alu instid0(VALU_DEP_3) | instskip(SKIP_2) | instid1(VALU_DEP_3)
	v_cndmask_b32_e64 v19, v32, v34, s0
	v_cmp_le_u32_e64 s0, s42, v22
	v_subrev_nc_u32_e32 v34, s42, v22
	v_xor_b32_e32 v19, v19, v29
	s_delay_alu instid0(VALU_DEP_3) | instskip(SKIP_2) | instid1(VALU_DEP_4)
	v_cndmask_b32_e64 v32, v35, v42, s0
	v_add_nc_u32_e32 v35, 1, v33
	v_cmp_le_u32_e64 s1, s42, v20
	v_sub_nc_u32_e32 v29, v19, v29
	v_cndmask_b32_e64 v19, v22, v34, s0
	v_add_nc_u32_e32 v22, 1, v32
	s_delay_alu instid0(VALU_DEP_4) | instskip(SKIP_3) | instid1(VALU_DEP_4)
	v_cndmask_b32_e64 v20, v33, v35, s1
	v_subrev_nc_u32_e32 v33, s42, v24
	v_mul_lo_u32 v34, v29, s34
	v_cmp_le_u32_e64 s0, s42, v19
	v_xor_b32_e32 v20, v20, v28
	s_delay_alu instid0(VALU_DEP_2) | instskip(SKIP_1) | instid1(VALU_DEP_3)
	v_cndmask_b32_e64 v19, v32, v22, s0
	v_mul_lo_u32 v22, v37, s46
	v_sub_nc_u32_e32 v28, v20, v28
	v_cndmask_b32_e32 v20, v24, v33, vcc_lo
	v_sub_nc_u32_e32 v14, v14, v34
	v_xor_b32_e32 v19, v19, v27
	s_delay_alu instid0(VALU_DEP_4)
	v_mul_lo_u32 v32, v28, s34
	v_sub_nc_u32_e32 v11, v11, v22
	v_cndmask_b32_e32 v36, v36, v43, vcc_lo
	v_cmp_le_u32_e32 vcc_lo, s42, v20
	v_add_nc_u32_e32 v14, v1, v14
	v_sub_nc_u32_e32 v27, v19, v27
	s_delay_alu instid0(VALU_DEP_4) | instskip(NEXT) | instid1(VALU_DEP_1)
	v_add_nc_u32_e32 v24, 1, v36
	v_cndmask_b32_e32 v20, v36, v24, vcc_lo
	v_add_nc_u32_e32 v24, 1, v37
	v_cmp_le_u32_e32 vcc_lo, s46, v11
	s_delay_alu instid0(VALU_DEP_3)
	v_xor_b32_e32 v19, v20, v26
	v_sub_nc_u32_e32 v20, v2, v32
	v_mul_lo_u32 v2, v14, s13
	v_mul_lo_u32 v14, v27, s34
	v_cndmask_b32_e32 v22, v37, v24, vcc_lo
	v_subrev_nc_u32_e32 v24, s46, v11
	v_add_nc_u32_e32 v32, v1, v20
	v_sub_nc_u32_e32 v33, v19, v26
	v_xor_b32_e32 v26, s52, v12
	v_mad_u64_u32 v[19:20], null, v29, s12, v[2:3]
	v_sub_nc_u32_e32 v13, v13, v14
	v_mul_lo_u32 v2, v32, s13
	v_cndmask_b32_e32 v11, v11, v24, vcc_lo
	v_mul_lo_u32 v24, v33, s34
	v_add_nc_u32_e32 v14, 1, v22
	v_add_nc_u32_e32 v13, v1, v13
	v_ashrrev_i32_e32 v20, 31, v19
	v_cmp_le_u32_e32 vcc_lo, s46, v11
	v_cvt_f32_f16_e32 v32, v15
	v_mad_u64_u32 v[11:12], null, v28, s12, v[2:3]
	v_sub_nc_u32_e32 v3, v3, v24
	v_mul_lo_u32 v2, v13, s13
	v_cndmask_b32_e32 v14, v22, v14, vcc_lo
	v_cvt_f32_f16_e32 v24, v16
	s_delay_alu instid0(VALU_DEP_4) | instskip(SKIP_1) | instid1(VALU_DEP_4)
	v_add_nc_u32_e32 v3, v1, v3
	v_ashrrev_i32_e32 v12, 31, v11
	v_xor_b32_e32 v22, v14, v26
	v_lshlrev_b64 v[13:14], 1, v[19:20]
	s_delay_alu instid0(VALU_DEP_4) | instskip(SKIP_1) | instid1(VALU_DEP_4)
	v_mad_u64_u32 v[19:20], null, v27, s12, v[2:3]
	v_mul_lo_u32 v2, v3, s13
	v_sub_nc_u32_e32 v22, v22, v26
	v_lshlrev_b64 v[11:12], 1, v[11:12]
	v_add_co_u32 v13, vcc_lo, s26, v13
	v_add_co_ci_u32_e32 v14, vcc_lo, s27, v14, vcc_lo
	v_ashrrev_i32_e32 v20, 31, v19
	v_mad_u64_u32 v[26:27], null, s58, v22, v[1:2]
	v_add_nc_u32_e32 v1, s40, v1
	v_mad_u64_u32 v[27:28], null, v33, s12, v[2:3]
	s_delay_alu instid0(VALU_DEP_4)
	v_lshlrev_b64 v[19:20], 1, v[19:20]
	v_add_co_u32 v11, vcc_lo, s26, v11
	v_mul_lo_u32 v2, v26, s31
	v_fma_f32 v26, -v31, v31, 1.0
	v_add_co_ci_u32_e32 v12, vcc_lo, s27, v12, vcc_lo
	v_ashrrev_i32_e32 v28, 31, v27
	v_add_co_u32 v19, vcc_lo, s26, v19
	v_add_co_ci_u32_e32 v20, vcc_lo, s27, v20, vcc_lo
	v_mad_u64_u32 v[29:30], null, v22, s30, v[2:3]
	v_mul_f32_e32 v22, v25, v24
	v_lshlrev_b64 v[2:3], 1, v[27:28]
	v_cvt_f32_f16_e32 v28, v17
	v_dual_mul_f32 v25, v25, v31 :: v_dual_sub_f32 v24, 1.0, v24
	s_delay_alu instid0(VALU_DEP_4) | instskip(SKIP_4) | instid1(VALU_DEP_4)
	v_fmac_f32_e32 v23, v22, v26
	v_ashrrev_i32_e32 v30, 31, v29
	v_cvt_f32_f16_e32 v22, v18
	v_add_co_u32 v2, vcc_lo, s26, v2
	v_sub_f32_e32 v33, 1.0, v28
	v_lshlrev_b64 v[26:27], 1, v[29:30]
	s_delay_alu instid0(VALU_DEP_4)
	v_mul_f32_e32 v29, v23, v22
	v_cvt_f32_f16_e32 v30, v21
	v_add_co_ci_u32_e32 v3, vcc_lo, s27, v3, vcc_lo
	v_mul_f32_e32 v24, v24, v25
	v_add_co_u32 v21, vcc_lo, s22, v26
	v_add_co_ci_u32_e32 v22, vcc_lo, s23, v27, vcc_lo
	v_dual_mul_f32 v26, v23, v30 :: v_dual_mul_f32 v27, v33, v29
	v_sub_f32_e32 v29, 1.0, v32
	v_mul_f32_e32 v28, v23, v28
	v_fma_mix_f32 v18, -v18, v18, s62 op_sel_hi:[1,1,0]
	v_cmp_le_i32_e32 vcc_lo, s3, v1
	v_fma_mixlo_f16 v17, v27, v17, 0 op_sel_hi:[0,1,0]
	v_mul_f32_e32 v26, v29, v26
	v_fma_mixlo_f16 v16, v24, v16, 0 op_sel_hi:[0,1,0]
	s_or_b32 s39, vcc_lo, s39
	global_store_b16 v[13:14], v17, off
	v_fma_mixlo_f16 v13, v26, v15, 0 op_sel_hi:[0,1,0]
	v_fma_mixlo_f16 v14, v18, v28, 0
	v_fma_mixlo_f16 v15, v23, v15, 0 op_sel_hi:[0,1,0]
	s_clause 0x2
	global_store_b16 v[11:12], v13, off
	global_store_b16 v[19:20], v14, off
	;; [unrolled: 1-line block ×4, first 2 shown]
	s_and_not1_b32 exec_lo, exec_lo, s39
	s_cbranch_execz .LBB25_11
.LBB25_3:                               ; =>This Inner Loop Header: Depth=1
	v_sub_nc_u32_e32 v2, 0, v1
	s_delay_alu instid0(VALU_DEP_1) | instskip(NEXT) | instid1(VALU_DEP_1)
	v_max_i32_e32 v11, v1, v2
	v_mul_hi_u32 v2, v11, v0
	v_mul_hi_u32 v13, v11, v6
	;; [unrolled: 1-line block ×3, first 2 shown]
	s_delay_alu instid0(VALU_DEP_3) | instskip(NEXT) | instid1(VALU_DEP_3)
	v_mul_lo_u32 v3, v2, s37
	v_mul_lo_u32 v17, v13, s44
	s_delay_alu instid0(VALU_DEP_3) | instskip(NEXT) | instid1(VALU_DEP_3)
	v_add_nc_u32_e32 v20, 1, v15
	v_sub_nc_u32_e32 v3, v11, v3
	s_delay_alu instid0(VALU_DEP_3) | instskip(SKIP_1) | instid1(VALU_DEP_3)
	v_sub_nc_u32_e32 v17, v11, v17
	v_add_nc_u32_e32 v12, 1, v2
	v_subrev_nc_u32_e32 v14, s37, v3
	v_cmp_le_u32_e32 vcc_lo, s37, v3
	s_delay_alu instid0(VALU_DEP_2) | instskip(SKIP_1) | instid1(VALU_DEP_2)
	v_dual_cndmask_b32 v2, v2, v12 :: v_dual_cndmask_b32 v3, v3, v14
	v_ashrrev_i32_e32 v12, 31, v1
	v_add_nc_u32_e32 v14, 1, v2
	s_delay_alu instid0(VALU_DEP_3) | instskip(SKIP_1) | instid1(VALU_DEP_4)
	v_cmp_le_u32_e32 vcc_lo, s37, v3
	v_mul_lo_u32 v3, v15, s45
	v_xor_b32_e32 v16, s41, v12
	v_xor_b32_e32 v18, s50, v12
	;; [unrolled: 1-line block ×3, first 2 shown]
	v_cndmask_b32_e32 v2, v2, v14, vcc_lo
	v_cmp_le_u32_e32 vcc_lo, s44, v17
	v_mul_i32_i24_e32 v19, 3, v16
	v_sub_nc_u32_e32 v22, v11, v3
	s_delay_alu instid0(VALU_DEP_4) | instskip(NEXT) | instid1(VALU_DEP_2)
	v_xor_b32_e32 v2, v2, v16
	v_cmp_le_u32_e64 s0, s45, v22
	s_delay_alu instid0(VALU_DEP_2) | instskip(SKIP_1) | instid1(VALU_DEP_3)
	v_sub_nc_u32_e32 v3, v2, v16
	v_lshl_add_u32 v2, v2, 1, v2
	v_cndmask_b32_e64 v15, v15, v20, s0
	v_subrev_nc_u32_e32 v20, s45, v22
	s_delay_alu instid0(VALU_DEP_3) | instskip(NEXT) | instid1(VALU_DEP_2)
	v_sub_nc_u32_e32 v19, v2, v19
	v_cndmask_b32_e64 v20, v22, v20, s0
	s_delay_alu instid0(VALU_DEP_4) | instskip(SKIP_1) | instid1(VALU_DEP_1)
	v_add_nc_u32_e32 v22, 1, v15
	v_add_nc_u32_e32 v14, 1, v13
	v_cndmask_b32_e32 v16, v13, v14, vcc_lo
	v_subrev_nc_u32_e32 v13, s44, v17
	v_mul_lo_u32 v14, s55, v3
	v_mad_u64_u32 v[2:3], null, s2, v19, s[2:3]
	v_add_nc_u32_e32 v3, 2, v19
	v_add_nc_u32_e32 v19, 3, v19
	v_dual_cndmask_b32 v17, v17, v13 :: v_dual_add_nc_u32 v24, 1, v16
	s_delay_alu instid0(VALU_DEP_3) | instskip(NEXT) | instid1(VALU_DEP_3)
	v_mul_lo_u32 v13, s2, v3
	v_mul_lo_u32 v3, s2, v19
	s_delay_alu instid0(VALU_DEP_3) | instskip(NEXT) | instid1(VALU_DEP_4)
	v_cmp_le_u32_e32 vcc_lo, s44, v17
	v_dual_cndmask_b32 v16, v16, v24 :: v_dual_add_nc_u32 v23, v1, v14
	s_delay_alu instid0(VALU_DEP_1) | instskip(NEXT) | instid1(VALU_DEP_4)
	v_ashrrev_i32_e32 v29, 31, v23
	v_add_nc_u32_e32 v17, v1, v3
	v_cmp_le_u32_e32 vcc_lo, s45, v20
	s_delay_alu instid0(VALU_DEP_4) | instskip(NEXT) | instid1(VALU_DEP_4)
	v_xor_b32_e32 v16, v16, v18
	v_add3_u32 v19, v29, v14, v1
	s_delay_alu instid0(VALU_DEP_4) | instskip(SKIP_1) | instid1(VALU_DEP_3)
	v_ashrrev_i32_e32 v26, 31, v17
	v_cndmask_b32_e32 v15, v15, v22, vcc_lo
	v_xor_b32_e32 v19, v19, v29
	s_delay_alu instid0(VALU_DEP_3) | instskip(NEXT) | instid1(VALU_DEP_3)
	v_xor_b32_e32 v34, s43, v26
	v_xor_b32_e32 v15, v15, v21
	s_delay_alu instid0(VALU_DEP_3) | instskip(NEXT) | instid1(VALU_DEP_2)
	v_mul_hi_u32 v17, v19, v4
	v_sub_nc_u32_e32 v21, v15, v21
	s_delay_alu instid0(VALU_DEP_2) | instskip(SKIP_1) | instid1(VALU_DEP_2)
	v_mul_lo_u32 v30, v17, s38
	v_add_nc_u32_e32 v35, 1, v17
	v_sub_nc_u32_e32 v30, v19, v30
	s_delay_alu instid0(VALU_DEP_1) | instskip(SKIP_1) | instid1(VALU_DEP_2)
	v_subrev_nc_u32_e32 v41, s38, v30
	v_cmp_le_u32_e32 vcc_lo, s38, v30
	v_dual_cndmask_b32 v30, v30, v41 :: v_dual_add_nc_u32 v23, v1, v2
	s_delay_alu instid0(VALU_DEP_1) | instskip(SKIP_1) | instid1(VALU_DEP_3)
	v_ashrrev_i32_e32 v28, 31, v23
	v_cndmask_b32_e32 v17, v17, v35, vcc_lo
	v_cmp_le_u32_e64 s0, s38, v30
	s_delay_alu instid0(VALU_DEP_3) | instskip(NEXT) | instid1(VALU_DEP_3)
	v_add3_u32 v24, v28, v2, v1
	v_add_nc_u32_e32 v41, 1, v17
	v_xor_b32_e32 v31, s43, v28
	s_delay_alu instid0(VALU_DEP_3) | instskip(SKIP_1) | instid1(VALU_DEP_4)
	v_xor_b32_e32 v20, v24, v28
	v_add3_u32 v24, v26, v3, v1
	v_cndmask_b32_e64 v17, v17, v41, s0
	s_delay_alu instid0(VALU_DEP_3) | instskip(NEXT) | instid1(VALU_DEP_3)
	v_mul_hi_u32 v25, v20, v4
	v_xor_b32_e32 v24, v24, v26
	s_delay_alu instid0(VALU_DEP_1) | instskip(NEXT) | instid1(VALU_DEP_3)
	v_mul_hi_u32 v37, v24, v4
	v_mul_lo_u32 v36, v25, s38
	v_add_nc_u32_e32 v38, 1, v25
	s_delay_alu instid0(VALU_DEP_3) | instskip(NEXT) | instid1(VALU_DEP_3)
	v_add_nc_u32_e32 v42, 1, v37
	v_sub_nc_u32_e32 v35, v20, v36
	v_mul_lo_u32 v36, v37, s38
	s_delay_alu instid0(VALU_DEP_2) | instskip(NEXT) | instid1(VALU_DEP_2)
	v_cmp_le_u32_e32 vcc_lo, s38, v35
	v_sub_nc_u32_e32 v36, v24, v36
	v_cndmask_b32_e32 v25, v25, v38, vcc_lo
	v_subrev_nc_u32_e32 v38, s38, v35
	v_add_nc_u32_e32 v23, v1, v13
	s_delay_alu instid0(VALU_DEP_4) | instskip(NEXT) | instid1(VALU_DEP_3)
	v_cmp_le_u32_e64 s0, s38, v36
	v_cndmask_b32_e32 v30, v35, v38, vcc_lo
	s_delay_alu instid0(VALU_DEP_3)
	v_ashrrev_i32_e32 v27, 31, v23
	v_xor_b32_e32 v23, s43, v29
	v_add_nc_u32_e32 v35, 1, v25
	v_cndmask_b32_e64 v37, v37, v42, s0
	v_cmp_le_u32_e64 s1, s38, v30
	v_add3_u32 v22, v27, v13, v1
	v_xor_b32_e32 v17, v17, v23
	v_xor_b32_e32 v32, s43, v27
	s_delay_alu instid0(VALU_DEP_4) | instskip(NEXT) | instid1(VALU_DEP_4)
	v_cndmask_b32_e64 v25, v25, v35, s1
	v_xor_b32_e32 v22, v22, v27
	s_delay_alu instid0(VALU_DEP_4) | instskip(NEXT) | instid1(VALU_DEP_3)
	v_sub_nc_u32_e32 v23, v17, v23
	v_xor_b32_e32 v17, v25, v31
	s_delay_alu instid0(VALU_DEP_3) | instskip(NEXT) | instid1(VALU_DEP_1)
	v_mul_hi_u32 v33, v22, v4
	v_mul_lo_u32 v39, v33, s38
	v_add_nc_u32_e32 v40, 1, v33
	s_delay_alu instid0(VALU_DEP_2) | instskip(NEXT) | instid1(VALU_DEP_1)
	v_sub_nc_u32_e32 v39, v22, v39
	v_cmp_le_u32_e32 vcc_lo, s38, v39
	v_subrev_nc_u32_e32 v38, s38, v39
	s_delay_alu instid0(VALU_DEP_4) | instskip(SKIP_1) | instid1(VALU_DEP_3)
	v_cndmask_b32_e32 v33, v33, v40, vcc_lo
	v_subrev_nc_u32_e32 v40, s38, v36
	v_cndmask_b32_e32 v30, v39, v38, vcc_lo
	v_add_nc_u32_e32 v38, 1, v37
	s_delay_alu instid0(VALU_DEP_4) | instskip(NEXT) | instid1(VALU_DEP_4)
	v_add_nc_u32_e32 v35, 1, v33
	v_cndmask_b32_e64 v36, v36, v40, s0
	s_delay_alu instid0(VALU_DEP_4) | instskip(NEXT) | instid1(VALU_DEP_3)
	v_cmp_le_u32_e32 vcc_lo, s38, v30
	v_cndmask_b32_e32 v25, v33, v35, vcc_lo
	s_delay_alu instid0(VALU_DEP_3)
	v_cmp_le_u32_e32 vcc_lo, s38, v36
	v_sub_nc_u32_e32 v36, v17, v31
	v_mul_lo_u32 v33, v23, s33
	v_sub_nc_u32_e32 v35, v16, v18
	v_xor_b32_e32 v17, v25, v32
	v_cndmask_b32_e32 v30, v37, v38, vcc_lo
	v_mul_lo_u32 v18, v36, s33
	s_delay_alu instid0(VALU_DEP_4) | instskip(NEXT) | instid1(VALU_DEP_3)
	v_mad_u64_u32 v[15:16], null, s56, v35, v[1:2]
	v_xor_b32_e32 v25, v30, v34
	v_sub_nc_u32_e32 v40, v17, v32
	v_sub_nc_u32_e32 v30, v14, v33
	v_mad_u64_u32 v[16:17], null, s57, v21, v[1:2]
	s_delay_alu instid0(VALU_DEP_4) | instskip(NEXT) | instid1(VALU_DEP_4)
	v_sub_nc_u32_e32 v25, v25, v34
	v_mul_lo_u32 v31, v40, s33
	v_sub_nc_u32_e32 v18, v2, v18
	v_add_nc_u32_e32 v17, v1, v30
	v_mul_lo_u32 v15, v15, s17
	v_mul_lo_u32 v32, v25, s33
	;; [unrolled: 1-line block ×3, first 2 shown]
	v_add_nc_u32_e32 v18, v1, v18
	v_mul_lo_u32 v17, v17, s25
	v_sub_nc_u32_e32 v30, v13, v31
	s_delay_alu instid0(VALU_DEP_3) | instskip(SKIP_1) | instid1(VALU_DEP_3)
	v_mul_lo_u32 v18, v18, s25
	v_sub_nc_u32_e32 v31, v3, v32
	v_add_nc_u32_e32 v34, v1, v30
	s_delay_alu instid0(VALU_DEP_2) | instskip(SKIP_1) | instid1(VALU_DEP_3)
	v_add_nc_u32_e32 v37, v1, v31
	v_mad_u64_u32 v[30:31], null, v35, s16, v[15:16]
	v_mul_lo_u32 v15, v34, s25
	v_mad_u64_u32 v[32:33], null, v23, s24, v[17:18]
	s_delay_alu instid0(VALU_DEP_4)
	v_mul_lo_u32 v17, v37, s25
	v_mad_u64_u32 v[34:35], null, v36, s24, v[18:19]
	v_ashrrev_i32_e32 v31, 31, v30
	v_mov_b32_e32 v23, 0
	v_mad_u64_u32 v[38:39], null, v40, s24, v[15:16]
	v_ashrrev_i32_e32 v33, 31, v32
	v_mad_u64_u32 v[36:37], null, v21, s28, v[16:17]
	v_mad_u64_u32 v[15:16], null, v25, s24, v[17:18]
	v_mov_b32_e32 v25, 0
	v_ashrrev_i32_e32 v35, 31, v34
	v_lshlrev_b64 v[17:18], 1, v[32:33]
	v_ashrrev_i32_e32 v39, 31, v38
	v_ashrrev_i32_e32 v37, 31, v36
	v_lshlrev_b64 v[30:31], 1, v[30:31]
	v_lshlrev_b64 v[32:33], 1, v[34:35]
	v_ashrrev_i32_e32 v16, 31, v15
	v_add_co_u32 v17, vcc_lo, s10, v17
	v_lshlrev_b64 v[34:35], 1, v[38:39]
	v_add_co_ci_u32_e32 v18, vcc_lo, s11, v18, vcc_lo
	s_delay_alu instid0(VALU_DEP_4)
	v_lshlrev_b64 v[15:16], 1, v[15:16]
	v_add_co_u32 v32, vcc_lo, s10, v32
	v_add_co_ci_u32_e32 v33, vcc_lo, s11, v33, vcc_lo
	v_add_co_u32 v34, vcc_lo, s10, v34
	v_add_co_ci_u32_e32 v35, vcc_lo, s11, v35, vcc_lo
	;; [unrolled: 2-line block ×3, first 2 shown]
	v_lshlrev_b64 v[15:16], 1, v[36:37]
	v_add_co_u32 v30, vcc_lo, s14, v30
	v_add_co_ci_u32_e32 v31, vcc_lo, s15, v31, vcc_lo
	s_delay_alu instid0(VALU_DEP_3) | instskip(NEXT) | instid1(VALU_DEP_4)
	v_add_co_u32 v36, vcc_lo, s18, v15
	v_add_co_ci_u32_e32 v37, vcc_lo, s19, v16, vcc_lo
	s_clause 0x3
	global_load_u16 v17, v[17:18], off
	global_load_u16 v15, v[32:33], off
	;; [unrolled: 1-line block ×6, first 2 shown]
	s_and_not1_b32 vcc_lo, exec_lo, s35
	s_cbranch_vccnz .LBB25_5
; %bb.4:                                ;   in Loop: Header=BB25_3 Depth=1
	v_mul_hi_u32 v25, v11, v9
	s_delay_alu instid0(VALU_DEP_1) | instskip(SKIP_1) | instid1(VALU_DEP_2)
	v_mul_lo_u32 v31, v25, s47
	v_add_nc_u32_e32 v32, 1, v25
	v_sub_nc_u32_e32 v31, v11, v31
	s_delay_alu instid0(VALU_DEP_1) | instskip(SKIP_1) | instid1(VALU_DEP_4)
	v_subrev_nc_u32_e32 v33, s47, v31
	v_cmp_le_u32_e32 vcc_lo, s47, v31
	v_cndmask_b32_e32 v25, v25, v32, vcc_lo
	s_delay_alu instid0(VALU_DEP_3) | instskip(SKIP_1) | instid1(VALU_DEP_3)
	v_cndmask_b32_e32 v31, v31, v33, vcc_lo
	v_xor_b32_e32 v33, s53, v12
	v_add_nc_u32_e32 v32, 1, v25
	s_delay_alu instid0(VALU_DEP_3) | instskip(NEXT) | instid1(VALU_DEP_2)
	v_cmp_le_u32_e32 vcc_lo, s47, v31
	v_cndmask_b32_e32 v25, v25, v32, vcc_lo
	s_delay_alu instid0(VALU_DEP_1) | instskip(NEXT) | instid1(VALU_DEP_1)
	v_xor_b32_e32 v25, v25, v33
	v_sub_nc_u32_e32 v33, v25, v33
	s_delay_alu instid0(VALU_DEP_1) | instskip(NEXT) | instid1(VALU_DEP_1)
	v_mad_u64_u32 v[31:32], null, s59, v33, v[1:2]
	v_mul_lo_u32 v25, v31, s9
	s_delay_alu instid0(VALU_DEP_1) | instskip(NEXT) | instid1(VALU_DEP_1)
	v_mad_u64_u32 v[31:32], null, v33, s8, v[25:26]
	v_ashrrev_i32_e32 v32, 31, v31
	s_delay_alu instid0(VALU_DEP_1) | instskip(NEXT) | instid1(VALU_DEP_1)
	v_lshlrev_b64 v[31:32], 1, v[31:32]
	v_add_co_u32 v31, vcc_lo, s4, v31
	s_delay_alu instid0(VALU_DEP_2)
	v_add_co_ci_u32_e32 v32, vcc_lo, s5, v32, vcc_lo
	global_load_u16 v25, v[31:32], off
	s_waitcnt vmcnt(0)
	v_cvt_f32_f16_e32 v25, v25
.LBB25_5:                               ;   in Loop: Header=BB25_3 Depth=1
	s_and_not1_b32 vcc_lo, exec_lo, s36
	s_cbranch_vccnz .LBB25_7
; %bb.6:                                ;   in Loop: Header=BB25_3 Depth=1
	v_mul_hi_u32 v23, v11, v10
	s_delay_alu instid0(VALU_DEP_1) | instskip(NEXT) | instid1(VALU_DEP_1)
	v_mul_lo_u32 v31, v23, s48
	v_sub_nc_u32_e32 v31, v11, v31
	s_delay_alu instid0(VALU_DEP_1) | instskip(SKIP_1) | instid1(VALU_DEP_2)
	v_subrev_nc_u32_e32 v33, s48, v31
	v_cmp_le_u32_e32 vcc_lo, s48, v31
	v_dual_cndmask_b32 v31, v31, v33 :: v_dual_add_nc_u32 v32, 1, v23
	s_delay_alu instid0(VALU_DEP_1) | instskip(SKIP_1) | instid1(VALU_DEP_3)
	v_cndmask_b32_e32 v23, v23, v32, vcc_lo
	v_xor_b32_e32 v33, s54, v12
	v_cmp_le_u32_e32 vcc_lo, s48, v31
	s_delay_alu instid0(VALU_DEP_3) | instskip(NEXT) | instid1(VALU_DEP_1)
	v_add_nc_u32_e32 v32, 1, v23
	v_cndmask_b32_e32 v23, v23, v32, vcc_lo
	s_delay_alu instid0(VALU_DEP_1) | instskip(NEXT) | instid1(VALU_DEP_1)
	v_xor_b32_e32 v23, v23, v33
	v_sub_nc_u32_e32 v33, v23, v33
	s_delay_alu instid0(VALU_DEP_1) | instskip(NEXT) | instid1(VALU_DEP_1)
	v_mad_u64_u32 v[31:32], null, s60, v33, v[1:2]
	v_mul_lo_u32 v23, v31, s21
	s_delay_alu instid0(VALU_DEP_1) | instskip(NEXT) | instid1(VALU_DEP_1)
	v_mad_u64_u32 v[31:32], null, v33, s20, v[23:24]
	v_ashrrev_i32_e32 v32, 31, v31
	s_delay_alu instid0(VALU_DEP_1) | instskip(NEXT) | instid1(VALU_DEP_1)
	v_lshlrev_b64 v[31:32], 1, v[31:32]
	v_add_co_u32 v31, vcc_lo, s6, v31
	s_delay_alu instid0(VALU_DEP_2)
	v_add_co_ci_u32_e32 v32, vcc_lo, s7, v32, vcc_lo
	global_load_u16 v23, v[31:32], off
	s_waitcnt vmcnt(0)
	v_cvt_f32_f16_e32 v23, v23
.LBB25_7:                               ;   in Loop: Header=BB25_3 Depth=1
	s_waitcnt vmcnt(0)
	v_cvt_f32_f16_e32 v30, v30
                                        ; implicit-def: $vgpr31
	s_delay_alu instid0(VALU_DEP_1) | instskip(NEXT) | instid1(VALU_DEP_1)
	v_cmp_ngt_f32_e64 s0, 0x3f200000, |v30|
	s_and_saveexec_b32 s1, s0
	s_delay_alu instid0(SALU_CYCLE_1)
	s_xor_b32 s0, exec_lo, s1
	s_cbranch_execz .LBB25_9
; %bb.8:                                ;   in Loop: Header=BB25_3 Depth=1
	v_add_f32_e64 v31, |v30|, |v30|
	s_delay_alu instid0(VALU_DEP_1) | instskip(SKIP_1) | instid1(VALU_DEP_2)
	v_mul_f32_e32 v32, 0x3fb8aa3b, v31
	v_cmp_ngt_f32_e32 vcc_lo, 0xc2ce8ed0, v31
	v_rndne_f32_e32 v33, v32
	v_fma_f32 v34, 0x3fb8aa3b, v31, -v32
	s_delay_alu instid0(VALU_DEP_2) | instskip(NEXT) | instid1(VALU_DEP_2)
	v_sub_f32_e32 v32, v32, v33
	v_fmac_f32_e32 v34, 0x32a5705f, v31
	v_cvt_i32_f32_e32 v33, v33
	s_delay_alu instid0(VALU_DEP_2) | instskip(NEXT) | instid1(VALU_DEP_1)
	v_add_f32_e32 v32, v32, v34
	v_exp_f32_e32 v32, v32
	s_waitcnt_depctr 0xfff
	v_ldexp_f32 v32, v32, v33
	s_delay_alu instid0(VALU_DEP_1) | instskip(SKIP_1) | instid1(VALU_DEP_2)
	v_cndmask_b32_e32 v32, 0, v32, vcc_lo
	v_cmp_nlt_f32_e32 vcc_lo, 0x42b17218, v31
	v_cndmask_b32_e32 v31, 0x7f800000, v32, vcc_lo
	s_delay_alu instid0(VALU_DEP_1) | instskip(NEXT) | instid1(VALU_DEP_1)
	v_add_f32_e32 v31, 1.0, v31
	v_rcp_f32_e32 v31, v31
	s_waitcnt_depctr 0xfff
	v_fma_f32 v31, v31, -2.0, 1.0
.LBB25_9:                               ;   in Loop: Header=BB25_3 Depth=1
	s_and_not1_saveexec_b32 s0, s0
	s_cbranch_execz .LBB25_2
; %bb.10:                               ;   in Loop: Header=BB25_3 Depth=1
	v_mul_f32_e32 v31, v30, v30
	s_delay_alu instid0(VALU_DEP_1) | instskip(NEXT) | instid1(VALU_DEP_1)
	v_fmaak_f32 v32, s61, v31, 0x3ca908c9
	v_fmaak_f32 v32, v31, v32, 0xbd5c1c4e
	s_delay_alu instid0(VALU_DEP_1) | instskip(NEXT) | instid1(VALU_DEP_1)
	v_fmaak_f32 v32, v31, v32, 0x3e088382
	v_fmaak_f32 v32, v31, v32, 0xbeaaaa99
	s_delay_alu instid0(VALU_DEP_1) | instskip(NEXT) | instid1(VALU_DEP_1)
	v_mul_f32_e64 v32, |v30|, v32
	v_fma_f32 v31, v31, v32, |v30|
	s_branch .LBB25_2
.LBB25_11:
	s_nop 0
	s_sendmsg sendmsg(MSG_DEALLOC_VGPRS)
	s_endpgm
	.section	.rodata,"a",@progbits
	.p2align	6, 0x0
	.amdhsa_kernel _ZN2at6native12_GLOBAL__N_16kernel18lstm_cell_backwardIN3c104HalfEfiLi2EEEvNS_4cuda6detail10TensorInfoIT_T1_EESB_SB_SB_SB_SB_SB_SA_SA_
		.amdhsa_group_segment_fixed_size 0
		.amdhsa_private_segment_fixed_size 0
		.amdhsa_kernarg_size 1776
		.amdhsa_user_sgpr_count 15
		.amdhsa_user_sgpr_dispatch_ptr 0
		.amdhsa_user_sgpr_queue_ptr 0
		.amdhsa_user_sgpr_kernarg_segment_ptr 1
		.amdhsa_user_sgpr_dispatch_id 0
		.amdhsa_user_sgpr_private_segment_size 0
		.amdhsa_wavefront_size32 1
		.amdhsa_uses_dynamic_stack 0
		.amdhsa_enable_private_segment 0
		.amdhsa_system_sgpr_workgroup_id_x 1
		.amdhsa_system_sgpr_workgroup_id_y 0
		.amdhsa_system_sgpr_workgroup_id_z 0
		.amdhsa_system_sgpr_workgroup_info 0
		.amdhsa_system_vgpr_workitem_id 0
		.amdhsa_next_free_vgpr 45
		.amdhsa_next_free_sgpr 63
		.amdhsa_reserve_vcc 1
		.amdhsa_float_round_mode_32 0
		.amdhsa_float_round_mode_16_64 0
		.amdhsa_float_denorm_mode_32 3
		.amdhsa_float_denorm_mode_16_64 3
		.amdhsa_dx10_clamp 1
		.amdhsa_ieee_mode 1
		.amdhsa_fp16_overflow 0
		.amdhsa_workgroup_processor_mode 1
		.amdhsa_memory_ordered 1
		.amdhsa_forward_progress 0
		.amdhsa_shared_vgpr_count 0
		.amdhsa_exception_fp_ieee_invalid_op 0
		.amdhsa_exception_fp_denorm_src 0
		.amdhsa_exception_fp_ieee_div_zero 0
		.amdhsa_exception_fp_ieee_overflow 0
		.amdhsa_exception_fp_ieee_underflow 0
		.amdhsa_exception_fp_ieee_inexact 0
		.amdhsa_exception_int_div_zero 0
	.end_amdhsa_kernel
	.section	.text._ZN2at6native12_GLOBAL__N_16kernel18lstm_cell_backwardIN3c104HalfEfiLi2EEEvNS_4cuda6detail10TensorInfoIT_T1_EESB_SB_SB_SB_SB_SB_SA_SA_,"axG",@progbits,_ZN2at6native12_GLOBAL__N_16kernel18lstm_cell_backwardIN3c104HalfEfiLi2EEEvNS_4cuda6detail10TensorInfoIT_T1_EESB_SB_SB_SB_SB_SB_SA_SA_,comdat
.Lfunc_end25:
	.size	_ZN2at6native12_GLOBAL__N_16kernel18lstm_cell_backwardIN3c104HalfEfiLi2EEEvNS_4cuda6detail10TensorInfoIT_T1_EESB_SB_SB_SB_SB_SB_SA_SA_, .Lfunc_end25-_ZN2at6native12_GLOBAL__N_16kernel18lstm_cell_backwardIN3c104HalfEfiLi2EEEvNS_4cuda6detail10TensorInfoIT_T1_EESB_SB_SB_SB_SB_SB_SA_SA_
                                        ; -- End function
	.section	.AMDGPU.csdata,"",@progbits
; Kernel info:
; codeLenInByte = 3468
; NumSgprs: 65
; NumVgprs: 45
; ScratchSize: 0
; MemoryBound: 0
; FloatMode: 240
; IeeeMode: 1
; LDSByteSize: 0 bytes/workgroup (compile time only)
; SGPRBlocks: 8
; VGPRBlocks: 5
; NumSGPRsForWavesPerEU: 65
; NumVGPRsForWavesPerEU: 45
; Occupancy: 16
; WaveLimiterHint : 1
; COMPUTE_PGM_RSRC2:SCRATCH_EN: 0
; COMPUTE_PGM_RSRC2:USER_SGPR: 15
; COMPUTE_PGM_RSRC2:TRAP_HANDLER: 0
; COMPUTE_PGM_RSRC2:TGID_X_EN: 1
; COMPUTE_PGM_RSRC2:TGID_Y_EN: 0
; COMPUTE_PGM_RSRC2:TGID_Z_EN: 0
; COMPUTE_PGM_RSRC2:TIDIG_COMP_CNT: 0
	.section	.text._ZN2at6native12_GLOBAL__N_16kernel18lstm_cell_backwardIN3c104HalfEflLi1EEEvNS_4cuda6detail10TensorInfoIT_T1_EESB_SB_SB_SB_SB_SB_SA_SA_,"axG",@progbits,_ZN2at6native12_GLOBAL__N_16kernel18lstm_cell_backwardIN3c104HalfEflLi1EEEvNS_4cuda6detail10TensorInfoIT_T1_EESB_SB_SB_SB_SB_SB_SA_SA_,comdat
	.globl	_ZN2at6native12_GLOBAL__N_16kernel18lstm_cell_backwardIN3c104HalfEflLi1EEEvNS_4cuda6detail10TensorInfoIT_T1_EESB_SB_SB_SB_SB_SB_SA_SA_ ; -- Begin function _ZN2at6native12_GLOBAL__N_16kernel18lstm_cell_backwardIN3c104HalfEflLi1EEEvNS_4cuda6detail10TensorInfoIT_T1_EESB_SB_SB_SB_SB_SB_SA_SA_
	.p2align	8
	.type	_ZN2at6native12_GLOBAL__N_16kernel18lstm_cell_backwardIN3c104HalfEflLi1EEEvNS_4cuda6detail10TensorInfoIT_T1_EESB_SB_SB_SB_SB_SB_SA_SA_,@function
_ZN2at6native12_GLOBAL__N_16kernel18lstm_cell_backwardIN3c104HalfEflLi1EEEvNS_4cuda6detail10TensorInfoIT_T1_EESB_SB_SB_SB_SB_SB_SA_SA_: ; @_ZN2at6native12_GLOBAL__N_16kernel18lstm_cell_backwardIN3c104HalfEflLi1EEEvNS_4cuda6detail10TensorInfoIT_T1_EESB_SB_SB_SB_SB_SB_SA_SA_
; %bb.0:
	s_clause 0x1
	s_load_b32 s8, s[0:1], 0xb7c
	s_load_b128 s[4:7], s[0:1], 0xb60
	v_mov_b32_e32 v1, 0
	s_add_u32 s2, s0, 0xb70
	s_addc_u32 s3, s1, 0
	s_waitcnt lgkmcnt(0)
	s_and_b32 s14, s8, 0xffff
	s_mov_b32 s8, exec_lo
	v_mad_u64_u32 v[3:4], null, s15, s14, v[0:1]
	v_mov_b32_e32 v4, v1
	s_delay_alu instid0(VALU_DEP_1)
	v_cmpx_gt_i64_e64 s[6:7], v[3:4]
	s_cbranch_execz .LBB26_15
; %bb.1:
	s_clause 0x2
	s_load_b64 s[16:17], s[0:1], 0x410
	s_load_b64 s[36:37], s[0:1], 0x340
	;; [unrolled: 1-line block ×3, first 2 shown]
	s_load_b32 s15, s[2:3], 0x0
	s_clause 0xa
	s_load_b64 s[22:23], s[0:1], 0x820
	s_load_b64 s[38:39], s[0:1], 0x4e0
	;; [unrolled: 1-line block ×11, first 2 shown]
	s_mul_i32 s33, s5, 3
	s_mul_hi_u32 s34, s4, 3
	s_mov_b32 s28, 0
	s_waitcnt lgkmcnt(0)
	v_mul_lo_u32 v0, 0, s16
	v_mul_lo_u32 v2, v3, s17
	v_mad_u64_u32 v[5:6], null, v3, s16, 0
	s_cmp_lg_u64 s[20:21], 0
	s_mul_i32 s29, s15, s14
	v_mul_lo_u32 v9, 0, s40
	v_mad_u64_u32 v[7:8], null, v3, s40, 0
	v_mad_u64_u32 v[11:12], null, v3, s26, 0
	s_delay_alu instid0(VALU_DEP_4) | instskip(SKIP_3) | instid1(VALU_DEP_4)
	v_add3_u32 v6, v6, v2, v0
	v_mul_lo_u32 v0, v3, s41
	v_mad_u64_u32 v[13:14], null, v3, s24, 0
	v_mul_lo_u32 v2, v3, s1
	v_lshlrev_b64 v[5:6], 1, v[5:6]
	s_cselect_b32 s30, -1, 0
	s_cmp_lg_u64 s[22:23], 0
	s_mul_i32 s1, s29, s1
	s_delay_alu instid0(VALU_DEP_4) | instskip(SKIP_3) | instid1(VALU_DEP_4)
	v_add3_u32 v8, v8, v0, v9
	v_mul_lo_u32 v0, 0, s0
	v_mad_u64_u32 v[9:10], null, v3, s0, 0
	v_add_co_u32 v5, vcc_lo, s36, v5
	v_lshlrev_b64 v[7:8], 1, v[7:8]
	v_add_co_ci_u32_e32 v6, vcc_lo, s37, v6, vcc_lo
	s_mul_hi_u32 s35, s29, s0
	s_delay_alu instid0(VALU_DEP_4) | instskip(SKIP_3) | instid1(VALU_DEP_4)
	v_add3_u32 v10, v10, v2, v0
	v_mul_lo_u32 v0, 0, s26
	v_mul_lo_u32 v2, v3, s27
	v_add_co_u32 v7, vcc_lo, s38, v7
	v_lshlrev_b64 v[9:10], 1, v[9:10]
	v_add_co_ci_u32_e32 v8, vcc_lo, s39, v8, vcc_lo
	s_cselect_b32 s31, -1, 0
	s_add_i32 s1, s35, s1
	s_delay_alu instid0(VALU_DEP_4) | instskip(SKIP_3) | instid1(VALU_DEP_4)
	v_add3_u32 v12, v12, v2, v0
	v_mul_lo_u32 v0, 0, s24
	v_mul_lo_u32 v2, v3, s25
	v_add_co_u32 v9, vcc_lo, s18, v9
	v_lshlrev_b64 v[11:12], 1, v[11:12]
	v_add_co_ci_u32_e32 v10, vcc_lo, s19, v10, vcc_lo
	s_mul_i32 s0, s29, s0
	s_mul_i32 s14, s29, s17
	s_delay_alu instid0(VALU_DEP_4) | instskip(NEXT) | instid1(VALU_DEP_3)
	v_add3_u32 v14, v14, v2, v0
	v_add_co_u32 v11, vcc_lo, s20, v11
	s_mul_hi_u32 s15, s29, s16
	s_lshl_b64 s[18:19], s[0:1], 1
	s_delay_alu instid0(VALU_DEP_2) | instskip(SKIP_4) | instid1(VALU_DEP_2)
	v_lshlrev_b64 v[13:14], 1, v[13:14]
	s_mul_i32 s0, s29, s27
	s_mul_hi_u32 s1, s29, s26
	v_add_co_ci_u32_e32 v12, vcc_lo, s21, v12, vcc_lo
	s_add_i32 s15, s15, s14
	v_add_co_u32 v13, vcc_lo, s22, v13
	s_mul_i32 s14, s29, s16
	s_mul_i32 s16, s29, s41
	s_mul_hi_u32 s17, s29, s40
	s_add_i32 s1, s1, s0
	s_mul_i32 s0, s29, s26
	s_mul_i32 s25, s29, s25
	s_mul_hi_u32 s26, s29, s24
	v_add_co_ci_u32_e32 v14, vcc_lo, s23, v14, vcc_lo
	s_add_i32 s17, s17, s16
	s_mul_i32 s16, s29, s40
	s_lshl_b64 s[20:21], s[0:1], 1
	s_add_i32 s1, s26, s25
	s_mul_i32 s0, s29, s24
	s_add_i32 s33, s34, s33
	s_mul_i32 s34, s4, 3
	s_lshl_b64 s[14:15], s[14:15], 1
	s_lshl_b64 s[16:17], s[16:17], 1
	;; [unrolled: 1-line block ×3, first 2 shown]
	s_ashr_i32 s24, s5, 31
	s_mov_b32 s1, 0xbbbac73d
	s_mov_b32 s35, 1.0
	s_branch .LBB26_3
.LBB26_2:                               ;   in Loop: Header=BB26_3 Depth=1
	s_or_b32 exec_lo, exec_lo, s0
	v_mul_lo_u32 v22, v22, s12
	v_mul_lo_u32 v34, v15, s13
	v_mad_u64_u32 v[30:31], null, v15, s12, 0
	v_mul_lo_u32 v15, v27, s12
	v_mul_lo_u32 v35, v18, s13
	v_mad_u64_u32 v[32:33], null, v18, s12, 0
	v_mul_lo_u32 v18, v26, s12
	v_mad_u64_u32 v[26:27], null, v20, s12, 0
	v_add3_u32 v31, v31, v34, v22
	v_mul_lo_u32 v22, v20, s13
	v_mul_lo_u32 v20, v16, s13
	v_add3_u32 v33, v33, v35, v15
	v_mad_u64_u32 v[34:35], null, v16, s12, 0
	v_lshlrev_b64 v[30:31], 1, v[30:31]
	v_add_co_u32 v13, s0, v13, s22
	v_add3_u32 v27, v27, v22, v18
	v_bfi_b32 v22, 0x7fffffff, v29, v28
	v_cvt_f32_f16_e32 v28, v2
	v_mul_lo_u32 v18, v24, s12
	v_lshlrev_b64 v[32:33], 1, v[32:33]
	v_add_co_u32 v30, vcc_lo, s10, v30
	s_delay_alu instid0(VALU_DEP_4)
	v_mul_f32_e32 v24, v23, v28
	v_fma_f32 v29, -v22, v22, 1.0
	v_add_co_ci_u32_e32 v31, vcc_lo, s11, v31, vcc_lo
	v_add3_u32 v35, v35, v20, v18
	v_add_co_u32 v15, vcc_lo, s10, v32
	v_cvt_f32_f16_e32 v20, v25
	v_cvt_f32_f16_e32 v32, v0
	v_fmac_f32_e32 v19, v24, v29
	v_lshlrev_b64 v[26:27], 1, v[26:27]
	v_cvt_f32_f16_e32 v18, v21
	v_cvt_f32_f16_e32 v29, v17
	v_sub_f32_e32 v32, 1.0, v32
	v_lshlrev_b64 v[24:25], 1, v[34:35]
	v_mul_f32_e32 v20, v19, v20
	v_add_co_ci_u32_e32 v16, vcc_lo, s11, v33, vcc_lo
	v_add_co_u32 v26, vcc_lo, s10, v26
	v_dual_mul_f32 v18, v19, v18 :: v_dual_sub_f32 v33, 1.0, v29
	v_add_co_ci_u32_e32 v27, vcc_lo, s11, v27, vcc_lo
	v_dual_mul_f32 v22, v23, v22 :: v_dual_sub_f32 v23, 1.0, v28
	v_dual_mul_f32 v28, v19, v29 :: v_dual_mul_f32 v29, v32, v20
	v_add_co_u32 v20, vcc_lo, s10, v24
	v_mul_f32_e32 v18, v33, v18
	v_fma_mix_f32 v32, -v21, v21, s35 op_sel_hi:[1,1,0]
	v_add_co_ci_u32_e32 v21, vcc_lo, s11, v25, vcc_lo
	v_add_co_u32 v3, vcc_lo, v3, s29
	v_mul_f32_e32 v22, v23, v22
	v_add_co_ci_u32_e32 v4, vcc_lo, 0, v4, vcc_lo
	v_add_co_u32 v5, vcc_lo, v5, s14
	v_fma_mixlo_f16 v17, v18, v17, 0 op_sel_hi:[0,1,0]
	v_fma_mixlo_f16 v18, v29, v0, 0 op_sel_hi:[0,1,0]
	v_add_co_ci_u32_e32 v6, vcc_lo, s15, v6, vcc_lo
	v_fma_mixlo_f16 v23, v32, v28, 0
	v_add_co_u32 v7, vcc_lo, v7, s16
	v_fma_mixlo_f16 v2, v22, v2, 0 op_sel_hi:[0,1,0]
	v_fma_mixlo_f16 v0, v19, v0, 0 op_sel_hi:[0,1,0]
	v_add_co_ci_u32_e32 v8, vcc_lo, s17, v8, vcc_lo
	s_clause 0x3
	global_store_b16 v[30:31], v17, off
	global_store_b16 v[15:16], v18, off
	;; [unrolled: 1-line block ×5, first 2 shown]
	v_add_co_u32 v9, vcc_lo, v9, s18
	v_add_co_ci_u32_e32 v10, vcc_lo, s19, v10, vcc_lo
	v_add_co_u32 v11, vcc_lo, v11, s20
	v_add_co_ci_u32_e32 v12, vcc_lo, s21, v12, vcc_lo
	v_cmp_le_i64_e32 vcc_lo, s[6:7], v[3:4]
	v_add_co_ci_u32_e64 v14, s0, s23, v14, s0
	s_or_b32 s28, vcc_lo, s28
	s_delay_alu instid0(SALU_CYCLE_1)
	s_and_not1_b32 exec_lo, exec_lo, s28
	s_cbranch_execz .LBB26_15
.LBB26_3:                               ; =>This Inner Loop Header: Depth=1
	v_or_b32_e32 v2, s5, v4
                                        ; implicit-def: $vgpr17_vgpr18
	s_mov_b32 s0, exec_lo
	s_delay_alu instid0(VALU_DEP_1)
	v_cmpx_ne_u64_e32 0, v[1:2]
	s_xor_b32 s36, exec_lo, s0
	s_cbranch_execz .LBB26_5
; %bb.4:                                ;   in Loop: Header=BB26_3 Depth=1
	s_add_u32 s26, s4, s24
	s_mov_b32 s25, s24
	s_addc_u32 s27, s5, s24
	s_delay_alu instid0(SALU_CYCLE_1) | instskip(NEXT) | instid1(SALU_CYCLE_1)
	s_xor_b64 s[26:27], s[26:27], s[24:25]
	v_cvt_f32_u32_e32 v0, s26
	v_cvt_f32_u32_e32 v2, s27
	s_sub_u32 s0, 0, s26
	s_subb_u32 s25, 0, s27
	s_delay_alu instid0(VALU_DEP_1) | instskip(NEXT) | instid1(VALU_DEP_1)
	v_fmac_f32_e32 v0, 0x4f800000, v2
	v_rcp_f32_e32 v0, v0
	s_waitcnt_depctr 0xfff
	v_mul_f32_e32 v0, 0x5f7ffffc, v0
	s_delay_alu instid0(VALU_DEP_1) | instskip(NEXT) | instid1(VALU_DEP_1)
	v_mul_f32_e32 v2, 0x2f800000, v0
	v_trunc_f32_e32 v2, v2
	s_delay_alu instid0(VALU_DEP_1) | instskip(SKIP_1) | instid1(VALU_DEP_2)
	v_fmac_f32_e32 v0, 0xcf800000, v2
	v_cvt_u32_f32_e32 v2, v2
	v_cvt_u32_f32_e32 v0, v0
	s_delay_alu instid0(VALU_DEP_2) | instskip(NEXT) | instid1(VALU_DEP_2)
	v_mul_lo_u32 v15, s0, v2
	v_mul_hi_u32 v16, s0, v0
	v_mul_lo_u32 v17, s25, v0
	s_delay_alu instid0(VALU_DEP_2) | instskip(SKIP_1) | instid1(VALU_DEP_2)
	v_add_nc_u32_e32 v15, v16, v15
	v_mul_lo_u32 v16, s0, v0
	v_add_nc_u32_e32 v15, v15, v17
	s_delay_alu instid0(VALU_DEP_2) | instskip(NEXT) | instid1(VALU_DEP_2)
	v_mul_hi_u32 v17, v0, v16
	v_mul_lo_u32 v18, v0, v15
	v_mul_hi_u32 v19, v0, v15
	v_mul_hi_u32 v20, v2, v16
	v_mul_lo_u32 v16, v2, v16
	v_mul_hi_u32 v21, v2, v15
	v_mul_lo_u32 v15, v2, v15
	v_add_co_u32 v17, vcc_lo, v17, v18
	v_add_co_ci_u32_e32 v18, vcc_lo, 0, v19, vcc_lo
	s_delay_alu instid0(VALU_DEP_2) | instskip(NEXT) | instid1(VALU_DEP_2)
	v_add_co_u32 v16, vcc_lo, v17, v16
	v_add_co_ci_u32_e32 v16, vcc_lo, v18, v20, vcc_lo
	v_add_co_ci_u32_e32 v17, vcc_lo, 0, v21, vcc_lo
	v_ashrrev_i32_e32 v21, 31, v4
	s_delay_alu instid0(VALU_DEP_3) | instskip(NEXT) | instid1(VALU_DEP_3)
	v_add_co_u32 v15, vcc_lo, v16, v15
	v_add_co_ci_u32_e32 v16, vcc_lo, 0, v17, vcc_lo
	s_delay_alu instid0(VALU_DEP_2) | instskip(NEXT) | instid1(VALU_DEP_2)
	v_add_co_u32 v0, vcc_lo, v0, v15
	v_add_co_ci_u32_e32 v2, vcc_lo, v2, v16, vcc_lo
	s_delay_alu instid0(VALU_DEP_2) | instskip(SKIP_1) | instid1(VALU_DEP_3)
	v_mul_hi_u32 v15, s0, v0
	v_mul_lo_u32 v17, s25, v0
	v_mul_lo_u32 v16, s0, v2
	s_delay_alu instid0(VALU_DEP_1) | instskip(SKIP_1) | instid1(VALU_DEP_2)
	v_add_nc_u32_e32 v15, v15, v16
	v_mul_lo_u32 v16, s0, v0
	v_add_nc_u32_e32 v15, v15, v17
	s_delay_alu instid0(VALU_DEP_2) | instskip(NEXT) | instid1(VALU_DEP_2)
	v_mul_hi_u32 v17, v0, v16
	v_mul_lo_u32 v18, v0, v15
	v_mul_hi_u32 v19, v0, v15
	v_mul_hi_u32 v20, v2, v16
	v_mul_lo_u32 v16, v2, v16
	v_mul_hi_u32 v22, v2, v15
	v_mul_lo_u32 v15, v2, v15
	v_add_co_u32 v17, vcc_lo, v17, v18
	v_add_co_ci_u32_e32 v18, vcc_lo, 0, v19, vcc_lo
	s_delay_alu instid0(VALU_DEP_2) | instskip(NEXT) | instid1(VALU_DEP_2)
	v_add_co_u32 v16, vcc_lo, v17, v16
	v_add_co_ci_u32_e32 v16, vcc_lo, v18, v20, vcc_lo
	v_add_co_ci_u32_e32 v17, vcc_lo, 0, v22, vcc_lo
	v_add_co_u32 v18, vcc_lo, v3, v21
	v_add_co_ci_u32_e32 v19, vcc_lo, v4, v21, vcc_lo
	s_delay_alu instid0(VALU_DEP_4) | instskip(NEXT) | instid1(VALU_DEP_4)
	v_add_co_u32 v15, vcc_lo, v16, v15
	v_add_co_ci_u32_e32 v16, vcc_lo, 0, v17, vcc_lo
	s_delay_alu instid0(VALU_DEP_4) | instskip(NEXT) | instid1(VALU_DEP_3)
	v_xor_b32_e32 v22, v18, v21
	v_add_co_u32 v0, vcc_lo, v0, v15
	s_delay_alu instid0(VALU_DEP_3) | instskip(SKIP_1) | instid1(VALU_DEP_3)
	v_add_co_ci_u32_e32 v2, vcc_lo, v2, v16, vcc_lo
	v_xor_b32_e32 v23, v19, v21
	v_mul_hi_u32 v24, v22, v0
	s_delay_alu instid0(VALU_DEP_3) | instskip(NEXT) | instid1(VALU_DEP_3)
	v_mad_u64_u32 v[15:16], null, v22, v2, 0
	v_mad_u64_u32 v[17:18], null, v23, v0, 0
	;; [unrolled: 1-line block ×3, first 2 shown]
	s_delay_alu instid0(VALU_DEP_3) | instskip(NEXT) | instid1(VALU_DEP_4)
	v_add_co_u32 v0, vcc_lo, v24, v15
	v_add_co_ci_u32_e32 v2, vcc_lo, 0, v16, vcc_lo
	s_delay_alu instid0(VALU_DEP_2) | instskip(NEXT) | instid1(VALU_DEP_2)
	v_add_co_u32 v0, vcc_lo, v0, v17
	v_add_co_ci_u32_e32 v0, vcc_lo, v2, v18, vcc_lo
	v_add_co_ci_u32_e32 v2, vcc_lo, 0, v20, vcc_lo
	s_delay_alu instid0(VALU_DEP_2) | instskip(NEXT) | instid1(VALU_DEP_2)
	v_add_co_u32 v0, vcc_lo, v0, v19
	v_add_co_ci_u32_e32 v2, vcc_lo, 0, v2, vcc_lo
	s_delay_alu instid0(VALU_DEP_2) | instskip(SKIP_1) | instid1(VALU_DEP_3)
	v_mul_lo_u32 v17, s27, v0
	v_mad_u64_u32 v[15:16], null, s26, v0, 0
	v_mul_lo_u32 v18, s26, v2
	s_delay_alu instid0(VALU_DEP_2) | instskip(NEXT) | instid1(VALU_DEP_2)
	v_sub_co_u32 v15, vcc_lo, v22, v15
	v_add3_u32 v16, v16, v18, v17
	s_delay_alu instid0(VALU_DEP_1) | instskip(NEXT) | instid1(VALU_DEP_1)
	v_sub_nc_u32_e32 v17, v23, v16
	v_subrev_co_ci_u32_e64 v17, s0, s27, v17, vcc_lo
	v_add_co_u32 v18, s0, v0, 2
	s_delay_alu instid0(VALU_DEP_1) | instskip(SKIP_3) | instid1(VALU_DEP_3)
	v_add_co_ci_u32_e64 v19, s0, 0, v2, s0
	v_sub_co_u32 v20, s0, v15, s26
	v_sub_co_ci_u32_e32 v16, vcc_lo, v23, v16, vcc_lo
	v_subrev_co_ci_u32_e64 v17, s0, 0, v17, s0
	v_cmp_le_u32_e32 vcc_lo, s26, v20
	s_delay_alu instid0(VALU_DEP_3) | instskip(SKIP_1) | instid1(VALU_DEP_4)
	v_cmp_eq_u32_e64 s0, s27, v16
	v_cndmask_b32_e64 v20, 0, -1, vcc_lo
	v_cmp_le_u32_e32 vcc_lo, s27, v17
	v_cndmask_b32_e64 v22, 0, -1, vcc_lo
	v_cmp_le_u32_e32 vcc_lo, s26, v15
	;; [unrolled: 2-line block ×3, first 2 shown]
	v_cndmask_b32_e64 v23, 0, -1, vcc_lo
	v_cmp_eq_u32_e32 vcc_lo, s27, v17
	s_delay_alu instid0(VALU_DEP_2) | instskip(SKIP_3) | instid1(VALU_DEP_3)
	v_cndmask_b32_e64 v15, v23, v15, s0
	v_cndmask_b32_e32 v17, v22, v20, vcc_lo
	v_add_co_u32 v20, vcc_lo, v0, 1
	v_add_co_ci_u32_e32 v22, vcc_lo, 0, v2, vcc_lo
	v_cmp_ne_u32_e32 vcc_lo, 0, v17
	s_delay_alu instid0(VALU_DEP_2) | instskip(SKIP_2) | instid1(VALU_DEP_3)
	v_dual_cndmask_b32 v16, v22, v19 :: v_dual_cndmask_b32 v17, v20, v18
	v_cmp_ne_u32_e32 vcc_lo, 0, v15
	v_xor_b32_e32 v15, s24, v21
	v_cndmask_b32_e32 v0, v0, v17, vcc_lo
	s_delay_alu instid0(VALU_DEP_4) | instskip(NEXT) | instid1(VALU_DEP_2)
	v_cndmask_b32_e32 v2, v2, v16, vcc_lo
	v_xor_b32_e32 v0, v0, v15
	s_delay_alu instid0(VALU_DEP_2) | instskip(NEXT) | instid1(VALU_DEP_2)
	v_xor_b32_e32 v2, v2, v15
	v_sub_co_u32 v17, vcc_lo, v0, v15
	s_delay_alu instid0(VALU_DEP_2)
	v_sub_co_ci_u32_e32 v18, vcc_lo, v2, v15, vcc_lo
.LBB26_5:                               ;   in Loop: Header=BB26_3 Depth=1
	s_and_not1_saveexec_b32 s0, s36
	s_cbranch_execz .LBB26_7
; %bb.6:                                ;   in Loop: Header=BB26_3 Depth=1
	v_cvt_f32_u32_e32 v0, s4
	s_sub_i32 s25, 0, s4
	v_mov_b32_e32 v18, v1
	s_delay_alu instid0(VALU_DEP_2) | instskip(SKIP_2) | instid1(VALU_DEP_1)
	v_rcp_iflag_f32_e32 v0, v0
	s_waitcnt_depctr 0xfff
	v_mul_f32_e32 v0, 0x4f7ffffe, v0
	v_cvt_u32_f32_e32 v0, v0
	s_delay_alu instid0(VALU_DEP_1) | instskip(NEXT) | instid1(VALU_DEP_1)
	v_mul_lo_u32 v2, s25, v0
	v_mul_hi_u32 v2, v0, v2
	s_delay_alu instid0(VALU_DEP_1) | instskip(NEXT) | instid1(VALU_DEP_1)
	v_add_nc_u32_e32 v0, v0, v2
	v_mul_hi_u32 v0, v3, v0
	s_delay_alu instid0(VALU_DEP_1) | instskip(SKIP_1) | instid1(VALU_DEP_2)
	v_mul_lo_u32 v2, v0, s4
	v_add_nc_u32_e32 v15, 1, v0
	v_sub_nc_u32_e32 v2, v3, v2
	s_delay_alu instid0(VALU_DEP_1) | instskip(SKIP_1) | instid1(VALU_DEP_4)
	v_cmp_le_u32_e32 vcc_lo, s4, v2
	v_subrev_nc_u32_e32 v16, s4, v2
	v_cndmask_b32_e32 v0, v0, v15, vcc_lo
	s_delay_alu instid0(VALU_DEP_1) | instskip(NEXT) | instid1(VALU_DEP_3)
	v_add_nc_u32_e32 v15, 1, v0
	v_cndmask_b32_e32 v2, v2, v16, vcc_lo
	s_delay_alu instid0(VALU_DEP_1) | instskip(NEXT) | instid1(VALU_DEP_3)
	v_cmp_le_u32_e32 vcc_lo, s4, v2
	v_cndmask_b32_e32 v17, v0, v15, vcc_lo
.LBB26_7:                               ;   in Loop: Header=BB26_3 Depth=1
	s_or_b32 exec_lo, exec_lo, s0
	s_delay_alu instid0(VALU_DEP_1) | instskip(SKIP_3) | instid1(VALU_DEP_4)
	v_mad_u64_u32 v[20:21], null, v17, 3, 0
	v_mad_u64_u32 v[15:16], null, s34, v17, v[3:4]
	v_mul_lo_u32 v2, s34, v18
	v_mul_lo_u32 v17, s33, v17
	v_mov_b32_e32 v0, v21
	s_delay_alu instid0(VALU_DEP_4) | instskip(NEXT) | instid1(VALU_DEP_3)
	v_mad_u64_u32 v[23:24], null, v15, s8, 0
	v_add3_u32 v22, v17, v16, v2
	s_delay_alu instid0(VALU_DEP_3) | instskip(SKIP_2) | instid1(VALU_DEP_4)
	v_mad_u64_u32 v[16:17], null, v18, 3, v[0:1]
	v_mul_lo_u32 v0, v15, s9
	v_add_co_u32 v17, vcc_lo, v20, 1
	v_mul_lo_u32 v2, v22, s8
	s_delay_alu instid0(VALU_DEP_2) | instskip(NEXT) | instid1(VALU_DEP_2)
	v_mad_u64_u32 v[18:19], null, s4, v17, v[3:4]
	v_add3_u32 v24, v24, v0, v2
	v_add_co_ci_u32_e32 v0, vcc_lo, 0, v16, vcc_lo
	v_add_co_u32 v25, vcc_lo, v20, 2
	v_mul_lo_u32 v2, s5, v17
	v_add_co_ci_u32_e32 v17, vcc_lo, 0, v16, vcc_lo
	s_delay_alu instid0(VALU_DEP_4)
	v_mul_lo_u32 v0, s4, v0
	v_add_co_u32 v27, vcc_lo, v20, 3
	v_mul_lo_u32 v26, s5, v25
	v_mad_u64_u32 v[20:21], null, s4, v25, v[3:4]
	v_add_co_ci_u32_e32 v25, vcc_lo, 0, v16, vcc_lo
	v_mul_lo_u32 v30, s4, v17
	v_mul_lo_u32 v34, s5, v27
	v_mad_u64_u32 v[16:17], null, s4, v27, v[3:4]
	v_add3_u32 v27, v2, v19, v0
	v_mul_lo_u32 v0, s4, v25
	v_mul_lo_u32 v2, v18, s9
	v_mad_u64_u32 v[28:29], null, v18, s8, 0
	s_delay_alu instid0(VALU_DEP_4)
	v_mul_lo_u32 v19, v27, s8
	v_add3_u32 v26, v26, v21, v30
	v_lshlrev_b64 v[30:31], 1, v[23:24]
	v_mul_lo_u32 v21, v20, s9
	v_add3_u32 v24, v34, v17, v0
	v_mad_u64_u32 v[32:33], null, v20, s8, 0
	v_mul_lo_u32 v23, v26, s8
	v_add3_u32 v29, v29, v2, v19
	v_mov_b32_e32 v19, 0
	v_mul_lo_u32 v0, v16, s9
	v_mad_u64_u32 v[34:35], null, v16, s8, 0
	v_mul_lo_u32 v2, v24, s8
	v_lshlrev_b64 v[28:29], 1, v[28:29]
	v_add3_u32 v33, v33, v21, v23
	v_add_co_u32 v30, vcc_lo, s2, v30
	v_add_co_ci_u32_e32 v31, vcc_lo, s3, v31, vcc_lo
	s_delay_alu instid0(VALU_DEP_3) | instskip(SKIP_3) | instid1(VALU_DEP_3)
	v_lshlrev_b64 v[32:33], 1, v[32:33]
	v_add3_u32 v35, v35, v0, v2
	v_add_co_u32 v28, vcc_lo, s2, v28
	v_add_co_ci_u32_e32 v29, vcc_lo, s3, v29, vcc_lo
	v_lshlrev_b64 v[34:35], 1, v[34:35]
	v_add_co_u32 v32, vcc_lo, s2, v32
	v_add_co_ci_u32_e32 v33, vcc_lo, s3, v33, vcc_lo
	v_mov_b32_e32 v23, 0
	s_delay_alu instid0(VALU_DEP_4)
	v_add_co_u32 v34, vcc_lo, s2, v34
	v_add_co_ci_u32_e32 v35, vcc_lo, s3, v35, vcc_lo
	s_clause 0x3
	global_load_u16 v17, v[30:31], off
	global_load_u16 v0, v[28:29], off
	;; [unrolled: 1-line block ×6, first 2 shown]
	s_and_not1_b32 vcc_lo, exec_lo, s30
	s_cbranch_vccnz .LBB26_9
; %bb.8:                                ;   in Loop: Header=BB26_3 Depth=1
	global_load_u16 v23, v[11:12], off
	s_waitcnt vmcnt(0)
	v_cvt_f32_f16_e32 v23, v23
.LBB26_9:                               ;   in Loop: Header=BB26_3 Depth=1
	s_and_not1_b32 vcc_lo, exec_lo, s31
	s_cbranch_vccnz .LBB26_11
; %bb.10:                               ;   in Loop: Header=BB26_3 Depth=1
	global_load_u16 v19, v[13:14], off
	s_waitcnt vmcnt(0)
	v_cvt_f32_f16_e32 v19, v19
.LBB26_11:                              ;   in Loop: Header=BB26_3 Depth=1
	s_waitcnt vmcnt(0)
	v_cvt_f32_f16_e32 v28, v28
                                        ; implicit-def: $vgpr29
	s_delay_alu instid0(VALU_DEP_1) | instskip(NEXT) | instid1(VALU_DEP_1)
	v_cmp_ngt_f32_e64 s0, 0x3f200000, |v28|
	s_and_saveexec_b32 s25, s0
	s_delay_alu instid0(SALU_CYCLE_1)
	s_xor_b32 s0, exec_lo, s25
	s_cbranch_execz .LBB26_13
; %bb.12:                               ;   in Loop: Header=BB26_3 Depth=1
	v_add_f32_e64 v29, |v28|, |v28|
	s_delay_alu instid0(VALU_DEP_1) | instskip(SKIP_1) | instid1(VALU_DEP_2)
	v_mul_f32_e32 v30, 0x3fb8aa3b, v29
	v_cmp_ngt_f32_e32 vcc_lo, 0xc2ce8ed0, v29
	v_rndne_f32_e32 v31, v30
	v_fma_f32 v32, 0x3fb8aa3b, v29, -v30
	s_delay_alu instid0(VALU_DEP_2) | instskip(NEXT) | instid1(VALU_DEP_2)
	v_sub_f32_e32 v30, v30, v31
	v_fmac_f32_e32 v32, 0x32a5705f, v29
	v_cvt_i32_f32_e32 v31, v31
	s_delay_alu instid0(VALU_DEP_2) | instskip(NEXT) | instid1(VALU_DEP_1)
	v_add_f32_e32 v30, v30, v32
	v_exp_f32_e32 v30, v30
	s_waitcnt_depctr 0xfff
	v_ldexp_f32 v30, v30, v31
	s_delay_alu instid0(VALU_DEP_1) | instskip(SKIP_1) | instid1(VALU_DEP_2)
	v_cndmask_b32_e32 v30, 0, v30, vcc_lo
	v_cmp_nlt_f32_e32 vcc_lo, 0x42b17218, v29
	v_cndmask_b32_e32 v29, 0x7f800000, v30, vcc_lo
	s_delay_alu instid0(VALU_DEP_1) | instskip(NEXT) | instid1(VALU_DEP_1)
	v_add_f32_e32 v29, 1.0, v29
	v_rcp_f32_e32 v29, v29
	s_waitcnt_depctr 0xfff
	v_fma_f32 v29, v29, -2.0, 1.0
.LBB26_13:                              ;   in Loop: Header=BB26_3 Depth=1
	s_and_not1_saveexec_b32 s0, s0
	s_cbranch_execz .LBB26_2
; %bb.14:                               ;   in Loop: Header=BB26_3 Depth=1
	v_mul_f32_e32 v29, v28, v28
	s_delay_alu instid0(VALU_DEP_1) | instskip(NEXT) | instid1(VALU_DEP_1)
	v_fmaak_f32 v30, s1, v29, 0x3ca908c9
	v_fmaak_f32 v30, v29, v30, 0xbd5c1c4e
	s_delay_alu instid0(VALU_DEP_1) | instskip(NEXT) | instid1(VALU_DEP_1)
	v_fmaak_f32 v30, v29, v30, 0x3e088382
	v_fmaak_f32 v30, v29, v30, 0xbeaaaa99
	s_delay_alu instid0(VALU_DEP_1) | instskip(NEXT) | instid1(VALU_DEP_1)
	v_mul_f32_e64 v30, |v28|, v30
	v_fma_f32 v29, v29, v30, |v28|
	s_branch .LBB26_2
.LBB26_15:
	s_nop 0
	s_sendmsg sendmsg(MSG_DEALLOC_VGPRS)
	s_endpgm
	.section	.rodata,"a",@progbits
	.p2align	6, 0x0
	.amdhsa_kernel _ZN2at6native12_GLOBAL__N_16kernel18lstm_cell_backwardIN3c104HalfEflLi1EEEvNS_4cuda6detail10TensorInfoIT_T1_EESB_SB_SB_SB_SB_SB_SA_SA_
		.amdhsa_group_segment_fixed_size 0
		.amdhsa_private_segment_fixed_size 0
		.amdhsa_kernarg_size 3184
		.amdhsa_user_sgpr_count 15
		.amdhsa_user_sgpr_dispatch_ptr 0
		.amdhsa_user_sgpr_queue_ptr 0
		.amdhsa_user_sgpr_kernarg_segment_ptr 1
		.amdhsa_user_sgpr_dispatch_id 0
		.amdhsa_user_sgpr_private_segment_size 0
		.amdhsa_wavefront_size32 1
		.amdhsa_uses_dynamic_stack 0
		.amdhsa_enable_private_segment 0
		.amdhsa_system_sgpr_workgroup_id_x 1
		.amdhsa_system_sgpr_workgroup_id_y 0
		.amdhsa_system_sgpr_workgroup_id_z 0
		.amdhsa_system_sgpr_workgroup_info 0
		.amdhsa_system_vgpr_workitem_id 0
		.amdhsa_next_free_vgpr 36
		.amdhsa_next_free_sgpr 42
		.amdhsa_reserve_vcc 1
		.amdhsa_float_round_mode_32 0
		.amdhsa_float_round_mode_16_64 0
		.amdhsa_float_denorm_mode_32 3
		.amdhsa_float_denorm_mode_16_64 3
		.amdhsa_dx10_clamp 1
		.amdhsa_ieee_mode 1
		.amdhsa_fp16_overflow 0
		.amdhsa_workgroup_processor_mode 1
		.amdhsa_memory_ordered 1
		.amdhsa_forward_progress 0
		.amdhsa_shared_vgpr_count 0
		.amdhsa_exception_fp_ieee_invalid_op 0
		.amdhsa_exception_fp_denorm_src 0
		.amdhsa_exception_fp_ieee_div_zero 0
		.amdhsa_exception_fp_ieee_overflow 0
		.amdhsa_exception_fp_ieee_underflow 0
		.amdhsa_exception_fp_ieee_inexact 0
		.amdhsa_exception_int_div_zero 0
	.end_amdhsa_kernel
	.section	.text._ZN2at6native12_GLOBAL__N_16kernel18lstm_cell_backwardIN3c104HalfEflLi1EEEvNS_4cuda6detail10TensorInfoIT_T1_EESB_SB_SB_SB_SB_SB_SA_SA_,"axG",@progbits,_ZN2at6native12_GLOBAL__N_16kernel18lstm_cell_backwardIN3c104HalfEflLi1EEEvNS_4cuda6detail10TensorInfoIT_T1_EESB_SB_SB_SB_SB_SB_SA_SA_,comdat
.Lfunc_end26:
	.size	_ZN2at6native12_GLOBAL__N_16kernel18lstm_cell_backwardIN3c104HalfEflLi1EEEvNS_4cuda6detail10TensorInfoIT_T1_EESB_SB_SB_SB_SB_SB_SA_SA_, .Lfunc_end26-_ZN2at6native12_GLOBAL__N_16kernel18lstm_cell_backwardIN3c104HalfEflLi1EEEvNS_4cuda6detail10TensorInfoIT_T1_EESB_SB_SB_SB_SB_SB_SA_SA_
                                        ; -- End function
	.section	.AMDGPU.csdata,"",@progbits
; Kernel info:
; codeLenInByte = 2932
; NumSgprs: 44
; NumVgprs: 36
; ScratchSize: 0
; MemoryBound: 0
; FloatMode: 240
; IeeeMode: 1
; LDSByteSize: 0 bytes/workgroup (compile time only)
; SGPRBlocks: 5
; VGPRBlocks: 4
; NumSGPRsForWavesPerEU: 44
; NumVGPRsForWavesPerEU: 36
; Occupancy: 16
; WaveLimiterHint : 1
; COMPUTE_PGM_RSRC2:SCRATCH_EN: 0
; COMPUTE_PGM_RSRC2:USER_SGPR: 15
; COMPUTE_PGM_RSRC2:TRAP_HANDLER: 0
; COMPUTE_PGM_RSRC2:TGID_X_EN: 1
; COMPUTE_PGM_RSRC2:TGID_Y_EN: 0
; COMPUTE_PGM_RSRC2:TGID_Z_EN: 0
; COMPUTE_PGM_RSRC2:TIDIG_COMP_CNT: 0
	.section	.text._ZN2at6native12_GLOBAL__N_16kernel18lstm_cell_backwardIN3c104HalfEflLi2EEEvNS_4cuda6detail10TensorInfoIT_T1_EESB_SB_SB_SB_SB_SB_SA_SA_,"axG",@progbits,_ZN2at6native12_GLOBAL__N_16kernel18lstm_cell_backwardIN3c104HalfEflLi2EEEvNS_4cuda6detail10TensorInfoIT_T1_EESB_SB_SB_SB_SB_SB_SA_SA_,comdat
	.globl	_ZN2at6native12_GLOBAL__N_16kernel18lstm_cell_backwardIN3c104HalfEflLi2EEEvNS_4cuda6detail10TensorInfoIT_T1_EESB_SB_SB_SB_SB_SB_SA_SA_ ; -- Begin function _ZN2at6native12_GLOBAL__N_16kernel18lstm_cell_backwardIN3c104HalfEflLi2EEEvNS_4cuda6detail10TensorInfoIT_T1_EESB_SB_SB_SB_SB_SB_SA_SA_
	.p2align	8
	.type	_ZN2at6native12_GLOBAL__N_16kernel18lstm_cell_backwardIN3c104HalfEflLi2EEEvNS_4cuda6detail10TensorInfoIT_T1_EESB_SB_SB_SB_SB_SB_SA_SA_,@function
_ZN2at6native12_GLOBAL__N_16kernel18lstm_cell_backwardIN3c104HalfEflLi2EEEvNS_4cuda6detail10TensorInfoIT_T1_EESB_SB_SB_SB_SB_SB_SA_SA_: ; @_ZN2at6native12_GLOBAL__N_16kernel18lstm_cell_backwardIN3c104HalfEflLi2EEEvNS_4cuda6detail10TensorInfoIT_T1_EESB_SB_SB_SB_SB_SB_SA_SA_
; %bb.0:
	s_clause 0x1
	s_load_b32 s2, s[0:1], 0xb7c
	s_load_b128 s[4:7], s[0:1], 0xb60
	v_mov_b32_e32 v1, 0
	s_add_u32 s16, s0, 0xb70
	s_addc_u32 s17, s1, 0
	s_waitcnt lgkmcnt(0)
	s_and_b32 s64, s2, 0xffff
	s_mov_b32 s2, exec_lo
	v_mad_u64_u32 v[3:4], null, s15, s64, v[0:1]
	v_mov_b32_e32 v4, v1
	s_delay_alu instid0(VALU_DEP_1)
	v_cmpx_gt_i64_e64 s[6:7], v[3:4]
	s_cbranch_execz .LBB27_68
; %bb.1:
	s_clause 0x6
	s_load_b64 s[2:3], s[0:1], 0x680
	s_load_b128 s[8:11], s[0:1], 0x750
	s_load_b64 s[34:35], s[0:1], 0x820
	s_load_b64 s[40:41], s[0:1], 0x0
	;; [unrolled: 1-line block ×3, first 2 shown]
	s_load_b128 s[12:15], s[0:1], 0xd0
	s_load_b64 s[44:45], s[0:1], 0x1a0
	s_load_b32 s65, s[16:17], 0x0
	s_clause 0xa
	s_load_b64 s[46:47], s[0:1], 0x1b0
	s_load_b128 s[16:19], s[0:1], 0x270
	s_load_b64 s[48:49], s[0:1], 0x340
	s_load_b64 s[50:51], s[0:1], 0x350
	s_load_b128 s[20:23], s[0:1], 0x410
	s_load_b64 s[52:53], s[0:1], 0x4e0
	;; [unrolled: 3-line block ×3, first 2 shown]
	s_load_b64 s[58:59], s[0:1], 0x9c0
	s_load_b64 s[60:61], s[0:1], 0x9d0
	v_cvt_f32_u32_e32 v0, s4
	s_clause 0x2
	s_load_b64 s[62:63], s[0:1], 0x830
	s_load_b128 s[28:31], s[0:1], 0x8f0
	s_load_b128 s[36:39], s[0:1], 0xa90
	s_waitcnt lgkmcnt(0)
	s_cmp_lg_u64 s[2:3], 0
	s_mul_i32 s0, s5, 3
	v_rcp_iflag_f32_e32 v0, v0
	s_cselect_b32 s33, -1, 0
	s_cmp_lg_u64 s[34:35], 0
	s_mul_i32 s68, s65, s64
	s_mul_hi_u32 s64, s4, 3
	s_cselect_b32 s1, -1, 0
	s_add_i32 s70, s64, s0
	s_sub_u32 s72, 0, s50
	s_subb_u32 s73, 0, s51
	s_mov_b32 s69, 0
	s_waitcnt_depctr 0xfff
	v_mul_f32_e32 v0, 0x4f7ffffe, v0
	s_sub_u32 s74, 0, s54
	s_subb_u32 s75, 0, s55
	s_mul_i32 s71, s4, 3
	s_sub_u32 s76, 0, s60
	s_subb_u32 s77, 0, s61
	s_sub_u32 s78, 0, s56
	v_cvt_u32_f32_e32 v0, v0
	s_subb_u32 s79, 0, s57
	s_sub_u32 s80, 0, s62
	s_subb_u32 s81, 0, s63
	s_mov_b32 s82, 0xbbbac73d
	s_mov_b32 s83, 1.0
	s_branch .LBB27_3
.LBB27_2:                               ;   in Loop: Header=BB27_3 Depth=1
	s_or_b32 exec_lo, exec_lo, s0
	v_mad_u64_u32 v[32:33], null, s76, v21, v[3:4]
	v_mul_lo_u32 v30, s76, v22
	v_mul_lo_u32 v34, s77, v21
	;; [unrolled: 1-line block ×6, first 2 shown]
	v_mad_u64_u32 v[35:36], null, v32, s38, 0
	v_add3_u32 v22, v34, v33, v30
	v_mad_u64_u32 v[33:34], null, v21, s36, 0
	v_mul_lo_u32 v30, v20, s46
	s_delay_alu instid0(VALU_DEP_3) | instskip(SKIP_1) | instid1(VALU_DEP_4)
	v_mul_lo_u32 v41, v22, s38
	v_mad_u64_u32 v[21:22], null, v19, s46, 0
	v_add3_u32 v34, v34, v38, v37
	v_mul_lo_u32 v38, v18, s46
	s_delay_alu instid0(VALU_DEP_4) | instskip(NEXT) | instid1(VALU_DEP_4)
	v_add3_u32 v36, v36, v40, v41
	v_add3_u32 v22, v22, v39, v30
	s_delay_alu instid0(VALU_DEP_4) | instskip(SKIP_2) | instid1(VALU_DEP_4)
	v_lshlrev_b64 v[32:33], 1, v[33:34]
	v_sub_co_u32 v11, vcc_lo, v11, v21
	v_mul_lo_u32 v39, v17, s47
	v_sub_co_ci_u32_e32 v12, vcc_lo, v12, v22, vcc_lo
	s_delay_alu instid0(VALU_DEP_4) | instskip(SKIP_2) | instid1(VALU_DEP_4)
	v_add_co_u32 v30, vcc_lo, s58, v32
	v_add_co_ci_u32_e32 v34, vcc_lo, s59, v33, vcc_lo
	v_add_co_u32 v37, vcc_lo, v3, v11
	v_add_co_ci_u32_e32 v32, vcc_lo, v4, v12, vcc_lo
	v_mad_u64_u32 v[11:12], null, v17, s46, 0
	v_lshlrev_b64 v[21:22], 1, v[35:36]
	s_delay_alu instid0(VALU_DEP_3)
	v_mul_lo_u32 v35, v32, s18
	v_mul_lo_u32 v40, v20, s16
	;; [unrolled: 1-line block ×3, first 2 shown]
	v_mad_u64_u32 v[32:33], null, v19, s16, 0
	v_add3_u32 v12, v12, v39, v38
	v_mul_lo_u32 v36, v37, s19
	v_mad_u64_u32 v[19:20], null, v37, s18, 0
	v_sub_co_u32 v9, vcc_lo, v9, v11
	v_add3_u32 v33, v33, v41, v40
	v_sub_co_ci_u32_e32 v10, vcc_lo, v10, v12, vcc_lo
	s_delay_alu instid0(VALU_DEP_3) | instskip(NEXT) | instid1(VALU_DEP_3)
	v_add_co_u32 v37, vcc_lo, v3, v9
	v_lshlrev_b64 v[11:12], 1, v[32:33]
	s_delay_alu instid0(VALU_DEP_3)
	v_add_co_ci_u32_e32 v38, vcc_lo, v4, v10, vcc_lo
	v_add_co_u32 v9, vcc_lo, v30, v21
	v_add3_u32 v20, v20, v36, v35
	v_mul_lo_u32 v35, v16, s46
	v_mul_lo_u32 v36, v15, s47
	v_mad_u64_u32 v[32:33], null, v15, s46, 0
	v_add_co_ci_u32_e32 v10, vcc_lo, v34, v22, vcc_lo
	v_mul_lo_u32 v34, v37, s19
	v_mad_u64_u32 v[21:22], null, v37, s18, 0
	v_add_co_u32 v37, vcc_lo, s44, v11
	v_mul_lo_u32 v30, v38, s18
	v_add_co_ci_u32_e32 v38, vcc_lo, s45, v12, vcc_lo
	v_mul_lo_u32 v39, v18, s16
	v_mul_lo_u32 v40, v17, s17
	v_mad_u64_u32 v[11:12], null, v17, s16, 0
	v_lshlrev_b64 v[17:18], 1, v[19:20]
	v_add3_u32 v19, v33, v36, v35
	v_sub_co_u32 v7, vcc_lo, v7, v32
	v_add3_u32 v22, v22, v34, v30
	v_mul_lo_u32 v34, v15, s17
	s_delay_alu instid0(VALU_DEP_4) | instskip(SKIP_2) | instid1(VALU_DEP_3)
	v_sub_co_ci_u32_e32 v8, vcc_lo, v8, v19, vcc_lo
	v_add3_u32 v12, v12, v40, v39
	v_add_co_u32 v30, vcc_lo, v3, v7
	v_add_co_ci_u32_e32 v19, vcc_lo, v4, v8, vcc_lo
	s_delay_alu instid0(VALU_DEP_3)
	v_lshlrev_b64 v[11:12], 1, v[11:12]
	v_add_co_u32 v7, vcc_lo, v37, v17
	v_add_co_ci_u32_e32 v8, vcc_lo, v38, v18, vcc_lo
	v_lshlrev_b64 v[17:18], 1, v[21:22]
	v_mul_lo_u32 v32, v19, s18
	v_mul_lo_u32 v33, v30, s19
	v_mad_u64_u32 v[19:20], null, v30, s18, 0
	v_mul_lo_u32 v30, v16, s16
	v_mad_u64_u32 v[21:22], null, v15, s16, 0
	v_mul_lo_u32 v35, v14, s46
	v_mul_lo_u32 v36, v13, s47
	v_mad_u64_u32 v[15:16], null, v13, s46, 0
	v_add_co_u32 v11, vcc_lo, s44, v11
	v_add_co_ci_u32_e32 v12, vcc_lo, s45, v12, vcc_lo
	v_add3_u32 v22, v22, v34, v30
	s_delay_alu instid0(VALU_DEP_3) | instskip(NEXT) | instid1(VALU_DEP_3)
	v_add_co_u32 v11, vcc_lo, v11, v17
	v_add_co_ci_u32_e32 v12, vcc_lo, v12, v18, vcc_lo
	v_add3_u32 v18, v16, v36, v35
	v_sub_co_u32 v15, vcc_lo, v5, v15
	v_lshlrev_b64 v[16:17], 1, v[21:22]
	v_mul_lo_u32 v21, v14, s16
	s_delay_alu instid0(VALU_DEP_4)
	v_sub_co_ci_u32_e32 v18, vcc_lo, v6, v18, vcc_lo
	v_mul_lo_u32 v22, v13, s17
	v_mad_u64_u32 v[5:6], null, v13, s16, 0
	v_add_co_u32 v30, vcc_lo, v3, v15
	v_add3_u32 v20, v20, v33, v32
	v_add_co_ci_u32_e32 v15, vcc_lo, v4, v18, vcc_lo
	v_add_co_u32 v18, vcc_lo, s44, v16
	s_delay_alu instid0(VALU_DEP_3) | instskip(SKIP_1) | instid1(VALU_DEP_4)
	v_lshlrev_b64 v[13:14], 1, v[19:20]
	v_add3_u32 v6, v6, v22, v21
	v_mul_lo_u32 v19, v15, s18
	v_mul_lo_u32 v20, v30, s19
	v_mad_u64_u32 v[15:16], null, v30, s18, 0
	v_add_co_ci_u32_e32 v17, vcc_lo, s45, v17, vcc_lo
	v_bfi_b32 v21, 0x7fffffff, v24, v23
	v_cvt_f32_f16_e32 v22, v28
	v_lshlrev_b64 v[5:6], 1, v[5:6]
	v_add_co_u32 v13, vcc_lo, v18, v13
	v_add_co_ci_u32_e32 v14, vcc_lo, v17, v14, vcc_lo
	v_fma_f32 v18, -v21, v21, 1.0
	v_cvt_f32_f16_e32 v24, v26
	v_mul_f32_e32 v17, v31, v22
	v_add3_u32 v16, v16, v20, v19
	v_add_co_u32 v19, vcc_lo, s44, v5
	v_cvt_f32_f16_e32 v23, v25
	s_delay_alu instid0(VALU_DEP_4) | instskip(SKIP_4) | instid1(VALU_DEP_4)
	v_fmac_f32_e32 v2, v17, v18
	v_cvt_f32_f16_e32 v17, v27
	v_cvt_f32_f16_e32 v18, v29
	v_add_co_ci_u32_e32 v20, vcc_lo, s45, v6, vcc_lo
	v_lshlrev_b64 v[5:6], 1, v[15:16]
	v_mul_f32_e32 v15, v2, v17
	s_delay_alu instid0(VALU_DEP_4) | instskip(SKIP_1) | instid1(VALU_DEP_4)
	v_dual_sub_f32 v17, 1.0, v23 :: v_dual_mul_f32 v16, v2, v18
	v_sub_f32_e32 v18, 1.0, v24
	v_add_co_u32 v5, vcc_lo, v19, v5
	v_mul_f32_e32 v19, v31, v21
	v_add_co_ci_u32_e32 v6, vcc_lo, v20, v6, vcc_lo
	s_delay_alu instid0(VALU_DEP_4) | instskip(SKIP_3) | instid1(VALU_DEP_3)
	v_mul_f32_e32 v16, v18, v16
	v_dual_sub_f32 v18, 1.0, v22 :: v_dual_mul_f32 v15, v17, v15
	v_add_co_u32 v3, vcc_lo, v3, s68
	v_add_co_ci_u32_e32 v4, vcc_lo, 0, v4, vcc_lo
	v_fma_mixlo_f16 v15, v15, v25, 0 op_sel_hi:[0,1,0]
	s_delay_alu instid0(VALU_DEP_4)
	v_mul_f32_e32 v18, v18, v19
	v_mul_f32_e32 v20, v2, v23
	v_fma_mix_f32 v17, -v27, v27, s83 op_sel_hi:[1,1,0]
	v_cmp_le_i64_e32 vcc_lo, s[6:7], v[3:4]
	v_fma_mixlo_f16 v16, v16, v26, 0 op_sel_hi:[0,1,0]
	global_store_b16 v[5:6], v15, off
	v_fma_mixlo_f16 v5, v18, v28, 0 op_sel_hi:[0,1,0]
	v_fma_mixlo_f16 v17, v17, v20, 0
	v_fma_mixlo_f16 v2, v2, v26, 0 op_sel_hi:[0,1,0]
	s_or_b32 s69, vcc_lo, s69
	s_clause 0x2
	global_store_b16 v[13:14], v16, off
	global_store_b16 v[11:12], v17, off
	;; [unrolled: 1-line block ×4, first 2 shown]
	s_and_not1_b32 exec_lo, exec_lo, s69
	s_cbranch_execz .LBB27_68
.LBB27_3:                               ; =>This Inner Loop Header: Depth=1
	v_or_b32_e32 v2, s5, v4
                                        ; implicit-def: $vgpr7_vgpr8
	s_mov_b32 s0, exec_lo
	s_delay_alu instid0(VALU_DEP_1)
	v_cmpx_ne_u64_e32 0, v[1:2]
	s_xor_b32 s84, exec_lo, s0
	s_cbranch_execz .LBB27_5
; %bb.4:                                ;   in Loop: Header=BB27_3 Depth=1
	s_ashr_i32 s64, s5, 31
	s_delay_alu instid0(SALU_CYCLE_1) | instskip(SKIP_2) | instid1(SALU_CYCLE_1)
	s_add_u32 s66, s4, s64
	s_mov_b32 s65, s64
	s_addc_u32 s67, s5, s64
	s_xor_b64 s[66:67], s[66:67], s[64:65]
	s_delay_alu instid0(SALU_CYCLE_1) | instskip(SKIP_3) | instid1(VALU_DEP_1)
	v_cvt_f32_u32_e32 v2, s66
	v_cvt_f32_u32_e32 v5, s67
	s_sub_u32 s0, 0, s66
	s_subb_u32 s65, 0, s67
	v_fmac_f32_e32 v2, 0x4f800000, v5
	s_delay_alu instid0(VALU_DEP_1) | instskip(SKIP_2) | instid1(VALU_DEP_1)
	v_rcp_f32_e32 v2, v2
	s_waitcnt_depctr 0xfff
	v_mul_f32_e32 v2, 0x5f7ffffc, v2
	v_mul_f32_e32 v5, 0x2f800000, v2
	s_delay_alu instid0(VALU_DEP_1) | instskip(NEXT) | instid1(VALU_DEP_1)
	v_trunc_f32_e32 v5, v5
	v_fmac_f32_e32 v2, 0xcf800000, v5
	v_cvt_u32_f32_e32 v5, v5
	s_delay_alu instid0(VALU_DEP_2) | instskip(NEXT) | instid1(VALU_DEP_2)
	v_cvt_u32_f32_e32 v2, v2
	v_mul_lo_u32 v6, s0, v5
	s_delay_alu instid0(VALU_DEP_2) | instskip(SKIP_1) | instid1(VALU_DEP_2)
	v_mul_hi_u32 v7, s0, v2
	v_mul_lo_u32 v8, s65, v2
	v_add_nc_u32_e32 v6, v7, v6
	v_mul_lo_u32 v7, s0, v2
	s_delay_alu instid0(VALU_DEP_2) | instskip(NEXT) | instid1(VALU_DEP_2)
	v_add_nc_u32_e32 v6, v6, v8
	v_mul_hi_u32 v8, v2, v7
	s_delay_alu instid0(VALU_DEP_2)
	v_mul_lo_u32 v9, v2, v6
	v_mul_hi_u32 v10, v2, v6
	v_mul_hi_u32 v11, v5, v7
	v_mul_lo_u32 v7, v5, v7
	v_mul_hi_u32 v12, v5, v6
	v_mul_lo_u32 v6, v5, v6
	v_add_co_u32 v8, vcc_lo, v8, v9
	v_add_co_ci_u32_e32 v9, vcc_lo, 0, v10, vcc_lo
	s_delay_alu instid0(VALU_DEP_2) | instskip(NEXT) | instid1(VALU_DEP_2)
	v_add_co_u32 v7, vcc_lo, v8, v7
	v_add_co_ci_u32_e32 v7, vcc_lo, v9, v11, vcc_lo
	v_add_co_ci_u32_e32 v8, vcc_lo, 0, v12, vcc_lo
	v_ashrrev_i32_e32 v11, 31, v4
	s_delay_alu instid0(VALU_DEP_3) | instskip(NEXT) | instid1(VALU_DEP_3)
	v_add_co_u32 v6, vcc_lo, v7, v6
	v_add_co_ci_u32_e32 v7, vcc_lo, 0, v8, vcc_lo
	s_delay_alu instid0(VALU_DEP_2) | instskip(NEXT) | instid1(VALU_DEP_2)
	v_add_co_u32 v2, vcc_lo, v2, v6
	v_add_co_ci_u32_e32 v5, vcc_lo, v5, v7, vcc_lo
	s_delay_alu instid0(VALU_DEP_2) | instskip(SKIP_1) | instid1(VALU_DEP_3)
	v_mul_hi_u32 v6, s0, v2
	v_mul_lo_u32 v8, s65, v2
	v_mul_lo_u32 v7, s0, v5
	s_delay_alu instid0(VALU_DEP_1) | instskip(SKIP_1) | instid1(VALU_DEP_2)
	v_add_nc_u32_e32 v6, v6, v7
	v_mul_lo_u32 v7, s0, v2
	v_add_nc_u32_e32 v6, v6, v8
	s_delay_alu instid0(VALU_DEP_2) | instskip(NEXT) | instid1(VALU_DEP_2)
	v_mul_hi_u32 v8, v2, v7
	v_mul_lo_u32 v9, v2, v6
	v_mul_hi_u32 v10, v2, v6
	v_mul_hi_u32 v12, v5, v7
	v_mul_lo_u32 v7, v5, v7
	v_mul_hi_u32 v13, v5, v6
	v_mul_lo_u32 v6, v5, v6
	v_add_co_u32 v8, vcc_lo, v8, v9
	v_add_co_ci_u32_e32 v9, vcc_lo, 0, v10, vcc_lo
	s_delay_alu instid0(VALU_DEP_2) | instskip(NEXT) | instid1(VALU_DEP_2)
	v_add_co_u32 v7, vcc_lo, v8, v7
	v_add_co_ci_u32_e32 v7, vcc_lo, v9, v12, vcc_lo
	v_add_co_ci_u32_e32 v8, vcc_lo, 0, v13, vcc_lo
	v_add_co_u32 v9, vcc_lo, v3, v11
	v_add_co_ci_u32_e32 v10, vcc_lo, v4, v11, vcc_lo
	s_delay_alu instid0(VALU_DEP_4) | instskip(NEXT) | instid1(VALU_DEP_4)
	v_add_co_u32 v6, vcc_lo, v7, v6
	v_add_co_ci_u32_e32 v7, vcc_lo, 0, v8, vcc_lo
	s_delay_alu instid0(VALU_DEP_4) | instskip(NEXT) | instid1(VALU_DEP_3)
	v_xor_b32_e32 v12, v9, v11
	v_add_co_u32 v2, vcc_lo, v2, v6
	s_delay_alu instid0(VALU_DEP_3) | instskip(SKIP_1) | instid1(VALU_DEP_3)
	v_add_co_ci_u32_e32 v13, vcc_lo, v5, v7, vcc_lo
	v_xor_b32_e32 v14, v10, v11
	v_mul_hi_u32 v15, v12, v2
	s_delay_alu instid0(VALU_DEP_3) | instskip(NEXT) | instid1(VALU_DEP_3)
	v_mad_u64_u32 v[5:6], null, v12, v13, 0
	v_mad_u64_u32 v[7:8], null, v14, v2, 0
	;; [unrolled: 1-line block ×3, first 2 shown]
	s_delay_alu instid0(VALU_DEP_3) | instskip(NEXT) | instid1(VALU_DEP_4)
	v_add_co_u32 v2, vcc_lo, v15, v5
	v_add_co_ci_u32_e32 v5, vcc_lo, 0, v6, vcc_lo
	s_delay_alu instid0(VALU_DEP_2) | instskip(NEXT) | instid1(VALU_DEP_2)
	v_add_co_u32 v2, vcc_lo, v2, v7
	v_add_co_ci_u32_e32 v2, vcc_lo, v5, v8, vcc_lo
	v_add_co_ci_u32_e32 v5, vcc_lo, 0, v10, vcc_lo
	s_delay_alu instid0(VALU_DEP_2) | instskip(NEXT) | instid1(VALU_DEP_2)
	v_add_co_u32 v2, vcc_lo, v2, v9
	v_add_co_ci_u32_e32 v7, vcc_lo, 0, v5, vcc_lo
	s_delay_alu instid0(VALU_DEP_2) | instskip(SKIP_1) | instid1(VALU_DEP_3)
	v_mul_lo_u32 v8, s67, v2
	v_mad_u64_u32 v[5:6], null, s66, v2, 0
	v_mul_lo_u32 v9, s66, v7
	s_delay_alu instid0(VALU_DEP_2) | instskip(NEXT) | instid1(VALU_DEP_2)
	v_sub_co_u32 v5, vcc_lo, v12, v5
	v_add3_u32 v6, v6, v9, v8
	s_delay_alu instid0(VALU_DEP_1) | instskip(NEXT) | instid1(VALU_DEP_1)
	v_sub_nc_u32_e32 v8, v14, v6
	v_subrev_co_ci_u32_e64 v8, s0, s67, v8, vcc_lo
	v_add_co_u32 v9, s0, v2, 2
	s_delay_alu instid0(VALU_DEP_1) | instskip(SKIP_3) | instid1(VALU_DEP_3)
	v_add_co_ci_u32_e64 v10, s0, 0, v7, s0
	v_sub_co_u32 v12, s0, v5, s66
	v_sub_co_ci_u32_e32 v6, vcc_lo, v14, v6, vcc_lo
	v_subrev_co_ci_u32_e64 v8, s0, 0, v8, s0
	v_cmp_le_u32_e32 vcc_lo, s66, v12
	s_delay_alu instid0(VALU_DEP_3) | instskip(SKIP_1) | instid1(VALU_DEP_4)
	v_cmp_eq_u32_e64 s0, s67, v6
	v_cndmask_b32_e64 v12, 0, -1, vcc_lo
	v_cmp_le_u32_e32 vcc_lo, s67, v8
	v_cndmask_b32_e64 v13, 0, -1, vcc_lo
	v_cmp_le_u32_e32 vcc_lo, s66, v5
	;; [unrolled: 2-line block ×3, first 2 shown]
	v_cndmask_b32_e64 v14, 0, -1, vcc_lo
	v_cmp_eq_u32_e32 vcc_lo, s67, v8
	s_delay_alu instid0(VALU_DEP_2) | instskip(SKIP_3) | instid1(VALU_DEP_3)
	v_cndmask_b32_e64 v5, v14, v5, s0
	v_cndmask_b32_e32 v8, v13, v12, vcc_lo
	v_add_co_u32 v12, vcc_lo, v2, 1
	v_add_co_ci_u32_e32 v13, vcc_lo, 0, v7, vcc_lo
	v_cmp_ne_u32_e32 vcc_lo, 0, v8
	s_delay_alu instid0(VALU_DEP_2) | instskip(NEXT) | instid1(VALU_DEP_4)
	v_cndmask_b32_e32 v6, v13, v10, vcc_lo
	v_cndmask_b32_e32 v8, v12, v9, vcc_lo
	v_cmp_ne_u32_e32 vcc_lo, 0, v5
	v_xor_b32_e32 v5, s64, v11
	s_delay_alu instid0(VALU_DEP_3) | instskip(SKIP_1) | instid1(VALU_DEP_2)
	v_cndmask_b32_e32 v2, v2, v8, vcc_lo
	v_cndmask_b32_e32 v6, v7, v6, vcc_lo
	v_xor_b32_e32 v2, v2, v5
	s_delay_alu instid0(VALU_DEP_2) | instskip(NEXT) | instid1(VALU_DEP_2)
	v_xor_b32_e32 v6, v6, v5
	v_sub_co_u32 v7, vcc_lo, v2, v5
	s_delay_alu instid0(VALU_DEP_2)
	v_sub_co_ci_u32_e32 v8, vcc_lo, v6, v5, vcc_lo
.LBB27_5:                               ;   in Loop: Header=BB27_3 Depth=1
	s_and_not1_saveexec_b32 s0, s84
	s_cbranch_execz .LBB27_7
; %bb.6:                                ;   in Loop: Header=BB27_3 Depth=1
	s_sub_i32 s64, 0, s4
	v_mov_b32_e32 v8, v1
	v_mul_lo_u32 v2, s64, v0
	s_delay_alu instid0(VALU_DEP_1) | instskip(NEXT) | instid1(VALU_DEP_1)
	v_mul_hi_u32 v2, v0, v2
	v_add_nc_u32_e32 v2, v0, v2
	s_delay_alu instid0(VALU_DEP_1) | instskip(NEXT) | instid1(VALU_DEP_1)
	v_mul_hi_u32 v2, v3, v2
	v_mul_lo_u32 v5, v2, s4
	v_add_nc_u32_e32 v6, 1, v2
	s_delay_alu instid0(VALU_DEP_2) | instskip(NEXT) | instid1(VALU_DEP_1)
	v_sub_nc_u32_e32 v5, v3, v5
	v_subrev_nc_u32_e32 v7, s4, v5
	v_cmp_le_u32_e32 vcc_lo, s4, v5
	s_delay_alu instid0(VALU_DEP_2) | instskip(NEXT) | instid1(VALU_DEP_1)
	v_dual_cndmask_b32 v5, v5, v7 :: v_dual_cndmask_b32 v2, v2, v6
	v_cmp_le_u32_e32 vcc_lo, s4, v5
	s_delay_alu instid0(VALU_DEP_2) | instskip(NEXT) | instid1(VALU_DEP_1)
	v_add_nc_u32_e32 v6, 1, v2
	v_cndmask_b32_e32 v7, v2, v6, vcc_lo
.LBB27_7:                               ;   in Loop: Header=BB27_3 Depth=1
	s_or_b32 exec_lo, exec_lo, s0
	s_delay_alu instid0(VALU_DEP_1) | instskip(SKIP_3) | instid1(VALU_DEP_1)
	v_mul_lo_u32 v2, s70, v7
	v_mul_lo_u32 v9, s71, v8
	v_mad_u64_u32 v[5:6], null, s71, v7, 0
	s_mov_b32 s0, exec_lo
	v_add3_u32 v6, v6, v9, v2
	s_delay_alu instid0(VALU_DEP_2) | instskip(NEXT) | instid1(VALU_DEP_2)
	v_add_co_u32 v16, vcc_lo, v3, v5
                                        ; implicit-def: $vgpr9_vgpr10
	v_add_co_ci_u32_e32 v18, vcc_lo, v4, v6, vcc_lo
	s_delay_alu instid0(VALU_DEP_1) | instskip(SKIP_1) | instid1(VALU_DEP_2)
	v_or_b32_e32 v2, s43, v18
	v_ashrrev_i32_e32 v15, 31, v18
	v_cmpx_ne_u64_e32 0, v[1:2]
	s_xor_b32 s84, exec_lo, s0
	s_cbranch_execz .LBB27_9
; %bb.8:                                ;   in Loop: Header=BB27_3 Depth=1
	s_ashr_i32 s64, s43, 31
	s_delay_alu instid0(SALU_CYCLE_1) | instskip(SKIP_2) | instid1(SALU_CYCLE_1)
	s_add_u32 s66, s42, s64
	s_mov_b32 s65, s64
	s_addc_u32 s67, s43, s64
	s_xor_b64 s[66:67], s[66:67], s[64:65]
	s_delay_alu instid0(SALU_CYCLE_1) | instskip(SKIP_3) | instid1(VALU_DEP_1)
	v_cvt_f32_u32_e32 v2, s66
	v_cvt_f32_u32_e32 v9, s67
	s_sub_u32 s0, 0, s66
	s_subb_u32 s65, 0, s67
	v_fmac_f32_e32 v2, 0x4f800000, v9
	s_delay_alu instid0(VALU_DEP_1) | instskip(SKIP_2) | instid1(VALU_DEP_1)
	v_rcp_f32_e32 v2, v2
	s_waitcnt_depctr 0xfff
	v_mul_f32_e32 v2, 0x5f7ffffc, v2
	v_mul_f32_e32 v9, 0x2f800000, v2
	s_delay_alu instid0(VALU_DEP_1) | instskip(NEXT) | instid1(VALU_DEP_1)
	v_trunc_f32_e32 v9, v9
	v_fmac_f32_e32 v2, 0xcf800000, v9
	v_cvt_u32_f32_e32 v9, v9
	s_delay_alu instid0(VALU_DEP_2) | instskip(NEXT) | instid1(VALU_DEP_2)
	v_cvt_u32_f32_e32 v2, v2
	v_mul_lo_u32 v10, s0, v9
	s_delay_alu instid0(VALU_DEP_2) | instskip(SKIP_1) | instid1(VALU_DEP_2)
	v_mul_hi_u32 v11, s0, v2
	v_mul_lo_u32 v12, s65, v2
	v_add_nc_u32_e32 v10, v11, v10
	v_mul_lo_u32 v11, s0, v2
	s_delay_alu instid0(VALU_DEP_2) | instskip(NEXT) | instid1(VALU_DEP_2)
	v_add_nc_u32_e32 v10, v10, v12
	v_mul_hi_u32 v12, v2, v11
	s_delay_alu instid0(VALU_DEP_2)
	v_mul_lo_u32 v13, v2, v10
	v_mul_hi_u32 v14, v2, v10
	v_mul_hi_u32 v17, v9, v11
	v_mul_lo_u32 v11, v9, v11
	v_mul_hi_u32 v19, v9, v10
	v_mul_lo_u32 v10, v9, v10
	v_add_co_u32 v12, vcc_lo, v12, v13
	v_add_co_ci_u32_e32 v13, vcc_lo, 0, v14, vcc_lo
	s_delay_alu instid0(VALU_DEP_2) | instskip(NEXT) | instid1(VALU_DEP_2)
	v_add_co_u32 v11, vcc_lo, v12, v11
	v_add_co_ci_u32_e32 v11, vcc_lo, v13, v17, vcc_lo
	v_add_co_ci_u32_e32 v12, vcc_lo, 0, v19, vcc_lo
	s_delay_alu instid0(VALU_DEP_2) | instskip(NEXT) | instid1(VALU_DEP_2)
	v_add_co_u32 v10, vcc_lo, v11, v10
	v_add_co_ci_u32_e32 v11, vcc_lo, 0, v12, vcc_lo
	s_delay_alu instid0(VALU_DEP_2) | instskip(NEXT) | instid1(VALU_DEP_2)
	v_add_co_u32 v2, vcc_lo, v2, v10
	v_add_co_ci_u32_e32 v9, vcc_lo, v9, v11, vcc_lo
	s_delay_alu instid0(VALU_DEP_2) | instskip(SKIP_1) | instid1(VALU_DEP_3)
	v_mul_hi_u32 v10, s0, v2
	v_mul_lo_u32 v12, s65, v2
	v_mul_lo_u32 v11, s0, v9
	s_delay_alu instid0(VALU_DEP_1) | instskip(SKIP_1) | instid1(VALU_DEP_2)
	v_add_nc_u32_e32 v10, v10, v11
	v_mul_lo_u32 v11, s0, v2
	v_add_nc_u32_e32 v10, v10, v12
	s_delay_alu instid0(VALU_DEP_2) | instskip(NEXT) | instid1(VALU_DEP_2)
	v_mul_hi_u32 v12, v2, v11
	v_mul_lo_u32 v13, v2, v10
	v_mul_hi_u32 v14, v2, v10
	v_mul_hi_u32 v17, v9, v11
	v_mul_lo_u32 v11, v9, v11
	v_mul_hi_u32 v19, v9, v10
	v_mul_lo_u32 v10, v9, v10
	v_add_co_u32 v12, vcc_lo, v12, v13
	v_add_co_ci_u32_e32 v13, vcc_lo, 0, v14, vcc_lo
	s_delay_alu instid0(VALU_DEP_2) | instskip(NEXT) | instid1(VALU_DEP_2)
	v_add_co_u32 v11, vcc_lo, v12, v11
	v_add_co_ci_u32_e32 v11, vcc_lo, v13, v17, vcc_lo
	v_add_co_ci_u32_e32 v12, vcc_lo, 0, v19, vcc_lo
	v_add_co_u32 v13, vcc_lo, v16, v15
	v_add_co_ci_u32_e32 v14, vcc_lo, v18, v15, vcc_lo
	s_delay_alu instid0(VALU_DEP_4) | instskip(NEXT) | instid1(VALU_DEP_4)
	v_add_co_u32 v10, vcc_lo, v11, v10
	v_add_co_ci_u32_e32 v11, vcc_lo, 0, v12, vcc_lo
	s_delay_alu instid0(VALU_DEP_4) | instskip(NEXT) | instid1(VALU_DEP_3)
	v_xor_b32_e32 v17, v13, v15
	v_add_co_u32 v2, vcc_lo, v2, v10
	s_delay_alu instid0(VALU_DEP_3) | instskip(SKIP_1) | instid1(VALU_DEP_3)
	v_add_co_ci_u32_e32 v19, vcc_lo, v9, v11, vcc_lo
	v_xor_b32_e32 v20, v14, v15
	v_mul_hi_u32 v21, v17, v2
	s_delay_alu instid0(VALU_DEP_3) | instskip(NEXT) | instid1(VALU_DEP_3)
	v_mad_u64_u32 v[9:10], null, v17, v19, 0
	v_mad_u64_u32 v[11:12], null, v20, v2, 0
	v_mad_u64_u32 v[13:14], null, v20, v19, 0
	s_delay_alu instid0(VALU_DEP_3) | instskip(NEXT) | instid1(VALU_DEP_4)
	v_add_co_u32 v2, vcc_lo, v21, v9
	v_add_co_ci_u32_e32 v9, vcc_lo, 0, v10, vcc_lo
	s_delay_alu instid0(VALU_DEP_2) | instskip(NEXT) | instid1(VALU_DEP_2)
	v_add_co_u32 v2, vcc_lo, v2, v11
	v_add_co_ci_u32_e32 v2, vcc_lo, v9, v12, vcc_lo
	v_add_co_ci_u32_e32 v9, vcc_lo, 0, v14, vcc_lo
	s_delay_alu instid0(VALU_DEP_2) | instskip(NEXT) | instid1(VALU_DEP_2)
	v_add_co_u32 v2, vcc_lo, v2, v13
	v_add_co_ci_u32_e32 v11, vcc_lo, 0, v9, vcc_lo
	s_delay_alu instid0(VALU_DEP_2) | instskip(SKIP_1) | instid1(VALU_DEP_3)
	v_mul_lo_u32 v12, s67, v2
	v_mad_u64_u32 v[9:10], null, s66, v2, 0
	v_mul_lo_u32 v13, s66, v11
	s_delay_alu instid0(VALU_DEP_2) | instskip(NEXT) | instid1(VALU_DEP_2)
	v_sub_co_u32 v9, vcc_lo, v17, v9
	v_add3_u32 v10, v10, v13, v12
	s_delay_alu instid0(VALU_DEP_1) | instskip(NEXT) | instid1(VALU_DEP_1)
	v_sub_nc_u32_e32 v12, v20, v10
	v_subrev_co_ci_u32_e64 v12, s0, s67, v12, vcc_lo
	v_add_co_u32 v13, s0, v2, 2
	s_delay_alu instid0(VALU_DEP_1) | instskip(SKIP_3) | instid1(VALU_DEP_3)
	v_add_co_ci_u32_e64 v14, s0, 0, v11, s0
	v_sub_co_u32 v17, s0, v9, s66
	v_sub_co_ci_u32_e32 v10, vcc_lo, v20, v10, vcc_lo
	v_subrev_co_ci_u32_e64 v12, s0, 0, v12, s0
	v_cmp_le_u32_e32 vcc_lo, s66, v17
	s_delay_alu instid0(VALU_DEP_3) | instskip(SKIP_1) | instid1(VALU_DEP_4)
	v_cmp_eq_u32_e64 s0, s67, v10
	v_cndmask_b32_e64 v17, 0, -1, vcc_lo
	v_cmp_le_u32_e32 vcc_lo, s67, v12
	v_cndmask_b32_e64 v19, 0, -1, vcc_lo
	v_cmp_le_u32_e32 vcc_lo, s66, v9
	;; [unrolled: 2-line block ×3, first 2 shown]
	v_cndmask_b32_e64 v20, 0, -1, vcc_lo
	v_cmp_eq_u32_e32 vcc_lo, s67, v12
	s_delay_alu instid0(VALU_DEP_2) | instskip(SKIP_3) | instid1(VALU_DEP_3)
	v_cndmask_b32_e64 v9, v20, v9, s0
	v_cndmask_b32_e32 v12, v19, v17, vcc_lo
	v_add_co_u32 v17, vcc_lo, v2, 1
	v_add_co_ci_u32_e32 v19, vcc_lo, 0, v11, vcc_lo
	v_cmp_ne_u32_e32 vcc_lo, 0, v12
	s_delay_alu instid0(VALU_DEP_2) | instskip(NEXT) | instid1(VALU_DEP_4)
	v_cndmask_b32_e32 v10, v19, v14, vcc_lo
	v_cndmask_b32_e32 v12, v17, v13, vcc_lo
	v_cmp_ne_u32_e32 vcc_lo, 0, v9
	v_xor_b32_e32 v13, s64, v15
	s_delay_alu instid0(VALU_DEP_3) | instskip(NEXT) | instid1(VALU_DEP_1)
	v_dual_cndmask_b32 v2, v2, v12 :: v_dual_cndmask_b32 v9, v11, v10
	v_xor_b32_e32 v2, v2, v13
	s_delay_alu instid0(VALU_DEP_2) | instskip(NEXT) | instid1(VALU_DEP_2)
	v_xor_b32_e32 v10, v9, v13
	v_sub_co_u32 v9, vcc_lo, v2, v13
	s_delay_alu instid0(VALU_DEP_2)
	v_sub_co_ci_u32_e32 v10, vcc_lo, v10, v13, vcc_lo
.LBB27_9:                               ;   in Loop: Header=BB27_3 Depth=1
	s_or_saveexec_b32 s0, s84
	v_cvt_f32_u32_e32 v28, s42
	s_xor_b32 exec_lo, exec_lo, s0
	s_cbranch_execz .LBB27_11
; %bb.10:                               ;   in Loop: Header=BB27_3 Depth=1
	s_delay_alu instid0(VALU_DEP_1) | instskip(SKIP_3) | instid1(VALU_DEP_1)
	v_rcp_iflag_f32_e32 v2, v28
	s_sub_i32 s64, 0, s42
	s_waitcnt_depctr 0xfff
	v_mul_f32_e32 v2, 0x4f7ffffe, v2
	v_cvt_u32_f32_e32 v2, v2
	s_delay_alu instid0(VALU_DEP_1) | instskip(NEXT) | instid1(VALU_DEP_1)
	v_mul_lo_u32 v9, s64, v2
	v_mul_hi_u32 v9, v2, v9
	s_delay_alu instid0(VALU_DEP_1) | instskip(NEXT) | instid1(VALU_DEP_1)
	v_add_nc_u32_e32 v2, v2, v9
	v_mul_hi_u32 v2, v16, v2
	s_delay_alu instid0(VALU_DEP_1) | instskip(SKIP_1) | instid1(VALU_DEP_2)
	v_mul_lo_u32 v9, v2, s42
	v_add_nc_u32_e32 v10, 1, v2
	v_sub_nc_u32_e32 v9, v16, v9
	s_delay_alu instid0(VALU_DEP_1) | instskip(SKIP_1) | instid1(VALU_DEP_2)
	v_subrev_nc_u32_e32 v11, s42, v9
	v_cmp_le_u32_e32 vcc_lo, s42, v9
	v_dual_cndmask_b32 v9, v9, v11 :: v_dual_cndmask_b32 v2, v2, v10
	s_delay_alu instid0(VALU_DEP_1) | instskip(NEXT) | instid1(VALU_DEP_2)
	v_cmp_le_u32_e32 vcc_lo, s42, v9
	v_add_nc_u32_e32 v10, 1, v2
	s_delay_alu instid0(VALU_DEP_1)
	v_dual_cndmask_b32 v9, v2, v10 :: v_dual_mov_b32 v10, v1
.LBB27_11:                              ;   in Loop: Header=BB27_3 Depth=1
	s_or_b32 exec_lo, exec_lo, s0
	s_delay_alu instid0(VALU_DEP_1) | instskip(NEXT) | instid1(VALU_DEP_2)
	v_mul_lo_u32 v2, v10, s42
	v_mul_lo_u32 v13, v9, s43
	v_mad_u64_u32 v[11:12], null, v9, s42, 0
	v_mul_lo_u32 v14, v10, s12
	v_mul_lo_u32 v17, v9, s13
	s_mov_b32 s0, exec_lo
	s_delay_alu instid0(VALU_DEP_3) | instskip(NEXT) | instid1(VALU_DEP_4)
	v_add3_u32 v2, v12, v13, v2
	v_sub_co_u32 v10, vcc_lo, v5, v11
	s_delay_alu instid0(VALU_DEP_2) | instskip(NEXT) | instid1(VALU_DEP_2)
	v_sub_co_ci_u32_e32 v2, vcc_lo, v6, v2, vcc_lo
	v_add_co_u32 v19, vcc_lo, v3, v10
	v_mad_u64_u32 v[10:11], null, v9, s12, 0
	s_delay_alu instid0(VALU_DEP_3) | instskip(NEXT) | instid1(VALU_DEP_3)
	v_add_co_ci_u32_e32 v2, vcc_lo, v4, v2, vcc_lo
	v_mul_lo_u32 v9, v19, s15
	v_mad_u64_u32 v[12:13], null, v19, s14, 0
	s_delay_alu instid0(VALU_DEP_3) | instskip(SKIP_1) | instid1(VALU_DEP_2)
	v_mul_lo_u32 v2, v2, s14
	v_add3_u32 v11, v11, v17, v14
	v_add3_u32 v13, v13, v9, v2
	s_delay_alu instid0(VALU_DEP_2) | instskip(NEXT) | instid1(VALU_DEP_2)
	v_lshlrev_b64 v[9:10], 1, v[10:11]
	v_lshlrev_b64 v[11:12], 1, v[12:13]
	s_delay_alu instid0(VALU_DEP_2) | instskip(NEXT) | instid1(VALU_DEP_3)
	v_add_co_u32 v2, vcc_lo, s40, v9
	v_add_co_ci_u32_e32 v10, vcc_lo, s41, v10, vcc_lo
	s_delay_alu instid0(VALU_DEP_2) | instskip(NEXT) | instid1(VALU_DEP_2)
	v_add_co_u32 v9, vcc_lo, v2, v11
	v_add_co_ci_u32_e32 v10, vcc_lo, v10, v12, vcc_lo
	v_mad_u64_u32 v[11:12], null, v7, 3, 0
	global_load_u16 v25, v[9:10], off
	v_mov_b32_e32 v2, v12
                                        ; implicit-def: $vgpr12_vgpr13
	s_delay_alu instid0(VALU_DEP_1) | instskip(SKIP_2) | instid1(VALU_DEP_3)
	v_mad_u64_u32 v[9:10], null, v8, 3, v[2:3]
	v_mul_lo_u32 v2, s5, v11
	v_mad_u64_u32 v[7:8], null, s4, v11, s[4:5]
	v_mul_lo_u32 v10, s4, v9
	s_delay_alu instid0(VALU_DEP_2) | instskip(NEXT) | instid1(VALU_DEP_2)
	v_add_co_u32 v19, vcc_lo, v3, v7
	v_add3_u32 v8, v2, v8, v10
	s_delay_alu instid0(VALU_DEP_1) | instskip(NEXT) | instid1(VALU_DEP_1)
	v_add_co_ci_u32_e32 v21, vcc_lo, v4, v8, vcc_lo
	v_or_b32_e32 v2, s43, v21
	v_ashrrev_i32_e32 v17, 31, v21
	s_delay_alu instid0(VALU_DEP_2)
	v_cmpx_ne_u64_e32 0, v[1:2]
	s_xor_b32 s84, exec_lo, s0
	s_cbranch_execz .LBB27_13
; %bb.12:                               ;   in Loop: Header=BB27_3 Depth=1
	s_ashr_i32 s64, s43, 31
	s_delay_alu instid0(SALU_CYCLE_1) | instskip(SKIP_2) | instid1(SALU_CYCLE_1)
	s_add_u32 s66, s42, s64
	s_mov_b32 s65, s64
	s_addc_u32 s67, s43, s64
	s_xor_b64 s[66:67], s[66:67], s[64:65]
	s_delay_alu instid0(SALU_CYCLE_1) | instskip(SKIP_3) | instid1(VALU_DEP_1)
	v_cvt_f32_u32_e32 v2, s66
	v_cvt_f32_u32_e32 v10, s67
	s_sub_u32 s0, 0, s66
	s_subb_u32 s65, 0, s67
	v_fmac_f32_e32 v2, 0x4f800000, v10
	s_delay_alu instid0(VALU_DEP_1) | instskip(SKIP_2) | instid1(VALU_DEP_1)
	v_rcp_f32_e32 v2, v2
	s_waitcnt_depctr 0xfff
	v_mul_f32_e32 v2, 0x5f7ffffc, v2
	v_mul_f32_e32 v10, 0x2f800000, v2
	s_delay_alu instid0(VALU_DEP_1) | instskip(NEXT) | instid1(VALU_DEP_1)
	v_trunc_f32_e32 v10, v10
	v_fmac_f32_e32 v2, 0xcf800000, v10
	v_cvt_u32_f32_e32 v10, v10
	s_delay_alu instid0(VALU_DEP_2) | instskip(NEXT) | instid1(VALU_DEP_2)
	v_cvt_u32_f32_e32 v2, v2
	v_mul_lo_u32 v12, s0, v10
	s_delay_alu instid0(VALU_DEP_2) | instskip(SKIP_1) | instid1(VALU_DEP_2)
	v_mul_hi_u32 v13, s0, v2
	v_mul_lo_u32 v14, s65, v2
	v_add_nc_u32_e32 v12, v13, v12
	v_mul_lo_u32 v13, s0, v2
	s_delay_alu instid0(VALU_DEP_2) | instskip(NEXT) | instid1(VALU_DEP_2)
	v_add_nc_u32_e32 v12, v12, v14
	v_mul_hi_u32 v14, v2, v13
	s_delay_alu instid0(VALU_DEP_2)
	v_mul_lo_u32 v20, v2, v12
	v_mul_hi_u32 v22, v2, v12
	v_mul_hi_u32 v23, v10, v13
	v_mul_lo_u32 v13, v10, v13
	v_mul_hi_u32 v24, v10, v12
	v_mul_lo_u32 v12, v10, v12
	v_add_co_u32 v14, vcc_lo, v14, v20
	v_add_co_ci_u32_e32 v20, vcc_lo, 0, v22, vcc_lo
	s_delay_alu instid0(VALU_DEP_2) | instskip(NEXT) | instid1(VALU_DEP_2)
	v_add_co_u32 v13, vcc_lo, v14, v13
	v_add_co_ci_u32_e32 v13, vcc_lo, v20, v23, vcc_lo
	v_add_co_ci_u32_e32 v14, vcc_lo, 0, v24, vcc_lo
	s_delay_alu instid0(VALU_DEP_2) | instskip(NEXT) | instid1(VALU_DEP_2)
	v_add_co_u32 v12, vcc_lo, v13, v12
	v_add_co_ci_u32_e32 v13, vcc_lo, 0, v14, vcc_lo
	s_delay_alu instid0(VALU_DEP_2) | instskip(NEXT) | instid1(VALU_DEP_2)
	v_add_co_u32 v2, vcc_lo, v2, v12
	v_add_co_ci_u32_e32 v10, vcc_lo, v10, v13, vcc_lo
	s_delay_alu instid0(VALU_DEP_2) | instskip(SKIP_1) | instid1(VALU_DEP_3)
	v_mul_hi_u32 v12, s0, v2
	v_mul_lo_u32 v14, s65, v2
	v_mul_lo_u32 v13, s0, v10
	s_delay_alu instid0(VALU_DEP_1) | instskip(SKIP_1) | instid1(VALU_DEP_2)
	v_add_nc_u32_e32 v12, v12, v13
	v_mul_lo_u32 v13, s0, v2
	v_add_nc_u32_e32 v12, v12, v14
	s_delay_alu instid0(VALU_DEP_2) | instskip(NEXT) | instid1(VALU_DEP_2)
	v_mul_hi_u32 v14, v2, v13
	v_mul_lo_u32 v20, v2, v12
	v_mul_hi_u32 v22, v2, v12
	v_mul_hi_u32 v23, v10, v13
	v_mul_lo_u32 v13, v10, v13
	v_mul_hi_u32 v24, v10, v12
	v_mul_lo_u32 v12, v10, v12
	v_add_co_u32 v14, vcc_lo, v14, v20
	v_add_co_ci_u32_e32 v20, vcc_lo, 0, v22, vcc_lo
	s_delay_alu instid0(VALU_DEP_2) | instskip(NEXT) | instid1(VALU_DEP_2)
	v_add_co_u32 v13, vcc_lo, v14, v13
	v_add_co_ci_u32_e32 v13, vcc_lo, v20, v23, vcc_lo
	v_add_co_ci_u32_e32 v14, vcc_lo, 0, v24, vcc_lo
	v_add_co_u32 v20, vcc_lo, v19, v17
	v_add_co_ci_u32_e32 v22, vcc_lo, v21, v17, vcc_lo
	s_delay_alu instid0(VALU_DEP_4) | instskip(NEXT) | instid1(VALU_DEP_4)
	v_add_co_u32 v12, vcc_lo, v13, v12
	v_add_co_ci_u32_e32 v13, vcc_lo, 0, v14, vcc_lo
	s_delay_alu instid0(VALU_DEP_4) | instskip(NEXT) | instid1(VALU_DEP_3)
	v_xor_b32_e32 v14, v20, v17
	v_add_co_u32 v2, vcc_lo, v2, v12
	s_delay_alu instid0(VALU_DEP_3) | instskip(SKIP_1) | instid1(VALU_DEP_3)
	v_add_co_ci_u32_e32 v10, vcc_lo, v10, v13, vcc_lo
	v_xor_b32_e32 v20, v22, v17
	v_mul_hi_u32 v24, v14, v2
	s_delay_alu instid0(VALU_DEP_3) | instskip(NEXT) | instid1(VALU_DEP_3)
	v_mad_u64_u32 v[12:13], null, v14, v10, 0
	v_mad_u64_u32 v[22:23], null, v20, v2, 0
	;; [unrolled: 1-line block ×3, first 2 shown]
	s_delay_alu instid0(VALU_DEP_3) | instskip(NEXT) | instid1(VALU_DEP_4)
	v_add_co_u32 v2, vcc_lo, v24, v12
	v_add_co_ci_u32_e32 v10, vcc_lo, 0, v13, vcc_lo
	s_delay_alu instid0(VALU_DEP_2) | instskip(NEXT) | instid1(VALU_DEP_2)
	v_add_co_u32 v2, vcc_lo, v2, v22
	v_add_co_ci_u32_e32 v2, vcc_lo, v10, v23, vcc_lo
	v_add_co_ci_u32_e32 v10, vcc_lo, 0, v27, vcc_lo
	s_delay_alu instid0(VALU_DEP_2) | instskip(NEXT) | instid1(VALU_DEP_2)
	v_add_co_u32 v2, vcc_lo, v2, v26
	v_add_co_ci_u32_e32 v10, vcc_lo, 0, v10, vcc_lo
	s_delay_alu instid0(VALU_DEP_2) | instskip(SKIP_1) | instid1(VALU_DEP_3)
	v_mul_lo_u32 v22, s67, v2
	v_mad_u64_u32 v[12:13], null, s66, v2, 0
	v_mul_lo_u32 v23, s66, v10
	s_delay_alu instid0(VALU_DEP_2) | instskip(NEXT) | instid1(VALU_DEP_2)
	v_sub_co_u32 v12, vcc_lo, v14, v12
	v_add3_u32 v13, v13, v23, v22
	s_delay_alu instid0(VALU_DEP_1) | instskip(NEXT) | instid1(VALU_DEP_1)
	v_sub_nc_u32_e32 v22, v20, v13
	v_subrev_co_ci_u32_e64 v14, s0, s67, v22, vcc_lo
	v_add_co_u32 v22, s0, v2, 2
	s_delay_alu instid0(VALU_DEP_1) | instskip(SKIP_3) | instid1(VALU_DEP_3)
	v_add_co_ci_u32_e64 v23, s0, 0, v10, s0
	v_sub_co_u32 v24, s0, v12, s66
	v_sub_co_ci_u32_e32 v13, vcc_lo, v20, v13, vcc_lo
	v_subrev_co_ci_u32_e64 v14, s0, 0, v14, s0
	v_cmp_le_u32_e32 vcc_lo, s66, v24
	s_delay_alu instid0(VALU_DEP_3) | instskip(SKIP_1) | instid1(VALU_DEP_4)
	v_cmp_eq_u32_e64 s0, s67, v13
	v_cndmask_b32_e64 v20, 0, -1, vcc_lo
	v_cmp_le_u32_e32 vcc_lo, s67, v14
	v_cndmask_b32_e64 v24, 0, -1, vcc_lo
	v_cmp_le_u32_e32 vcc_lo, s66, v12
	;; [unrolled: 2-line block ×3, first 2 shown]
	v_cndmask_b32_e64 v26, 0, -1, vcc_lo
	v_cmp_eq_u32_e32 vcc_lo, s67, v14
	s_delay_alu instid0(VALU_DEP_2) | instskip(SKIP_3) | instid1(VALU_DEP_3)
	v_cndmask_b32_e64 v12, v26, v12, s0
	v_cndmask_b32_e32 v14, v24, v20, vcc_lo
	v_add_co_u32 v20, vcc_lo, v2, 1
	v_add_co_ci_u32_e32 v24, vcc_lo, 0, v10, vcc_lo
	v_cmp_ne_u32_e32 vcc_lo, 0, v14
	s_delay_alu instid0(VALU_DEP_2) | instskip(NEXT) | instid1(VALU_DEP_4)
	v_cndmask_b32_e32 v13, v24, v23, vcc_lo
	v_cndmask_b32_e32 v14, v20, v22, vcc_lo
	v_cmp_ne_u32_e32 vcc_lo, 0, v12
	v_xor_b32_e32 v20, s64, v17
	s_delay_alu instid0(VALU_DEP_3) | instskip(SKIP_1) | instid1(VALU_DEP_2)
	v_cndmask_b32_e32 v2, v2, v14, vcc_lo
	v_cndmask_b32_e32 v10, v10, v13, vcc_lo
	v_xor_b32_e32 v2, v2, v20
	s_delay_alu instid0(VALU_DEP_2) | instskip(NEXT) | instid1(VALU_DEP_2)
	v_xor_b32_e32 v10, v10, v20
	v_sub_co_u32 v12, vcc_lo, v2, v20
	s_delay_alu instid0(VALU_DEP_2)
	v_sub_co_ci_u32_e32 v13, vcc_lo, v10, v20, vcc_lo
.LBB27_13:                              ;   in Loop: Header=BB27_3 Depth=1
	s_and_not1_saveexec_b32 s0, s84
	s_cbranch_execz .LBB27_15
; %bb.14:                               ;   in Loop: Header=BB27_3 Depth=1
	v_rcp_iflag_f32_e32 v2, v28
	s_sub_i32 s64, 0, s42
	s_waitcnt_depctr 0xfff
	v_mul_f32_e32 v2, 0x4f7ffffe, v2
	s_delay_alu instid0(VALU_DEP_1) | instskip(NEXT) | instid1(VALU_DEP_1)
	v_cvt_u32_f32_e32 v2, v2
	v_mul_lo_u32 v10, s64, v2
	s_delay_alu instid0(VALU_DEP_1) | instskip(NEXT) | instid1(VALU_DEP_1)
	v_mul_hi_u32 v10, v2, v10
	v_add_nc_u32_e32 v2, v2, v10
	s_delay_alu instid0(VALU_DEP_1) | instskip(NEXT) | instid1(VALU_DEP_1)
	v_mul_hi_u32 v2, v19, v2
	v_mul_lo_u32 v10, v2, s42
	v_add_nc_u32_e32 v12, 1, v2
	s_delay_alu instid0(VALU_DEP_2) | instskip(NEXT) | instid1(VALU_DEP_1)
	v_sub_nc_u32_e32 v10, v19, v10
	v_subrev_nc_u32_e32 v13, s42, v10
	v_cmp_le_u32_e32 vcc_lo, s42, v10
	s_delay_alu instid0(VALU_DEP_2) | instskip(SKIP_1) | instid1(VALU_DEP_2)
	v_dual_cndmask_b32 v10, v10, v13 :: v_dual_mov_b32 v13, v1
	v_cndmask_b32_e32 v2, v2, v12, vcc_lo
	v_cmp_le_u32_e32 vcc_lo, s42, v10
	s_delay_alu instid0(VALU_DEP_2) | instskip(NEXT) | instid1(VALU_DEP_1)
	v_add_nc_u32_e32 v12, 1, v2
	v_cndmask_b32_e32 v12, v2, v12, vcc_lo
.LBB27_15:                              ;   in Loop: Header=BB27_3 Depth=1
	s_or_b32 exec_lo, exec_lo, s0
	s_delay_alu instid0(VALU_DEP_1) | instskip(NEXT) | instid1(VALU_DEP_2)
	v_mul_lo_u32 v2, v13, s42
	v_mul_lo_u32 v10, v12, s43
	v_mad_u64_u32 v[22:23], null, v12, s42, 0
	v_mul_lo_u32 v20, v12, s13
	s_mov_b32 s0, exec_lo
	s_delay_alu instid0(VALU_DEP_2) | instskip(SKIP_1) | instid1(VALU_DEP_4)
	v_add3_u32 v2, v23, v10, v2
	v_mul_lo_u32 v10, v13, s12
	v_sub_co_u32 v13, vcc_lo, v7, v22
	s_delay_alu instid0(VALU_DEP_3) | instskip(NEXT) | instid1(VALU_DEP_2)
	v_sub_co_ci_u32_e32 v2, vcc_lo, v8, v2, vcc_lo
	v_add_co_u32 v24, vcc_lo, v3, v13
	v_mad_u64_u32 v[13:14], null, v12, s12, 0
	s_delay_alu instid0(VALU_DEP_3) | instskip(NEXT) | instid1(VALU_DEP_3)
	v_add_co_ci_u32_e32 v2, vcc_lo, v4, v2, vcc_lo
	v_mul_lo_u32 v12, v24, s15
	v_mad_u64_u32 v[22:23], null, v24, s14, 0
	s_delay_alu instid0(VALU_DEP_3) | instskip(SKIP_1) | instid1(VALU_DEP_2)
	v_mul_lo_u32 v2, v2, s14
	v_add3_u32 v14, v14, v20, v10
	v_add3_u32 v23, v23, v12, v2
	s_delay_alu instid0(VALU_DEP_2) | instskip(SKIP_1) | instid1(VALU_DEP_3)
	v_lshlrev_b64 v[12:13], 1, v[13:14]
	v_mov_b32_e32 v14, v9
	v_lshlrev_b64 v[22:23], 1, v[22:23]
	s_delay_alu instid0(VALU_DEP_3) | instskip(NEXT) | instid1(VALU_DEP_4)
	v_add_co_u32 v2, vcc_lo, s40, v12
	v_add_co_ci_u32_e32 v10, vcc_lo, s41, v13, vcc_lo
	s_delay_alu instid0(VALU_DEP_2) | instskip(NEXT) | instid1(VALU_DEP_2)
	v_add_co_u32 v12, vcc_lo, v2, v22
	v_add_co_ci_u32_e32 v13, vcc_lo, v10, v23, vcc_lo
	v_add_co_u32 v2, vcc_lo, v11, 2
	v_add_co_ci_u32_e32 v9, vcc_lo, 0, v14, vcc_lo
	global_load_u16 v26, v[12:13], off
	v_mul_lo_u32 v12, s5, v2
	v_mul_lo_u32 v13, s4, v9
	v_mad_u64_u32 v[9:10], null, s4, v2, 0
	s_delay_alu instid0(VALU_DEP_1) | instskip(NEXT) | instid1(VALU_DEP_2)
	v_add3_u32 v10, v10, v13, v12
	v_add_co_u32 v23, vcc_lo, v3, v9
                                        ; implicit-def: $vgpr12_vgpr13
	s_delay_alu instid0(VALU_DEP_2) | instskip(NEXT) | instid1(VALU_DEP_1)
	v_add_co_ci_u32_e32 v24, vcc_lo, v4, v10, vcc_lo
	v_or_b32_e32 v2, s43, v24
	v_ashrrev_i32_e32 v20, 31, v24
	s_delay_alu instid0(VALU_DEP_2)
	v_cmpx_ne_u64_e32 0, v[1:2]
	s_xor_b32 s84, exec_lo, s0
	s_cbranch_execz .LBB27_17
; %bb.16:                               ;   in Loop: Header=BB27_3 Depth=1
	s_ashr_i32 s64, s43, 31
	s_delay_alu instid0(SALU_CYCLE_1) | instskip(SKIP_2) | instid1(SALU_CYCLE_1)
	s_add_u32 s66, s42, s64
	s_mov_b32 s65, s64
	s_addc_u32 s67, s43, s64
	s_xor_b64 s[66:67], s[66:67], s[64:65]
	s_delay_alu instid0(SALU_CYCLE_1) | instskip(SKIP_3) | instid1(VALU_DEP_1)
	v_cvt_f32_u32_e32 v2, s66
	v_cvt_f32_u32_e32 v12, s67
	s_sub_u32 s0, 0, s66
	s_subb_u32 s65, 0, s67
	v_fmac_f32_e32 v2, 0x4f800000, v12
	s_delay_alu instid0(VALU_DEP_1) | instskip(SKIP_2) | instid1(VALU_DEP_1)
	v_rcp_f32_e32 v2, v2
	s_waitcnt_depctr 0xfff
	v_mul_f32_e32 v2, 0x5f7ffffc, v2
	v_mul_f32_e32 v12, 0x2f800000, v2
	s_delay_alu instid0(VALU_DEP_1) | instskip(NEXT) | instid1(VALU_DEP_1)
	v_trunc_f32_e32 v12, v12
	v_fmac_f32_e32 v2, 0xcf800000, v12
	v_cvt_u32_f32_e32 v12, v12
	s_delay_alu instid0(VALU_DEP_2) | instskip(NEXT) | instid1(VALU_DEP_2)
	v_cvt_u32_f32_e32 v2, v2
	v_mul_lo_u32 v13, s0, v12
	s_delay_alu instid0(VALU_DEP_2) | instskip(SKIP_1) | instid1(VALU_DEP_2)
	v_mul_hi_u32 v22, s0, v2
	v_mul_lo_u32 v27, s65, v2
	v_add_nc_u32_e32 v13, v22, v13
	v_mul_lo_u32 v22, s0, v2
	s_delay_alu instid0(VALU_DEP_2) | instskip(NEXT) | instid1(VALU_DEP_2)
	v_add_nc_u32_e32 v13, v13, v27
	v_mul_hi_u32 v27, v2, v22
	s_delay_alu instid0(VALU_DEP_2)
	v_mul_lo_u32 v29, v2, v13
	v_mul_hi_u32 v30, v2, v13
	v_mul_hi_u32 v31, v12, v22
	v_mul_lo_u32 v22, v12, v22
	v_mul_hi_u32 v32, v12, v13
	v_mul_lo_u32 v13, v12, v13
	v_add_co_u32 v27, vcc_lo, v27, v29
	v_add_co_ci_u32_e32 v29, vcc_lo, 0, v30, vcc_lo
	s_delay_alu instid0(VALU_DEP_2) | instskip(NEXT) | instid1(VALU_DEP_2)
	v_add_co_u32 v22, vcc_lo, v27, v22
	v_add_co_ci_u32_e32 v22, vcc_lo, v29, v31, vcc_lo
	v_add_co_ci_u32_e32 v27, vcc_lo, 0, v32, vcc_lo
	s_delay_alu instid0(VALU_DEP_2) | instskip(NEXT) | instid1(VALU_DEP_2)
	v_add_co_u32 v13, vcc_lo, v22, v13
	v_add_co_ci_u32_e32 v22, vcc_lo, 0, v27, vcc_lo
	s_delay_alu instid0(VALU_DEP_2) | instskip(NEXT) | instid1(VALU_DEP_2)
	v_add_co_u32 v2, vcc_lo, v2, v13
	v_add_co_ci_u32_e32 v12, vcc_lo, v12, v22, vcc_lo
	s_delay_alu instid0(VALU_DEP_2) | instskip(SKIP_1) | instid1(VALU_DEP_3)
	v_mul_hi_u32 v13, s0, v2
	v_mul_lo_u32 v27, s65, v2
	v_mul_lo_u32 v22, s0, v12
	s_delay_alu instid0(VALU_DEP_1) | instskip(SKIP_1) | instid1(VALU_DEP_2)
	v_add_nc_u32_e32 v13, v13, v22
	v_mul_lo_u32 v22, s0, v2
	v_add_nc_u32_e32 v13, v13, v27
	s_delay_alu instid0(VALU_DEP_2) | instskip(NEXT) | instid1(VALU_DEP_2)
	v_mul_hi_u32 v27, v2, v22
	v_mul_lo_u32 v29, v2, v13
	v_mul_hi_u32 v30, v2, v13
	v_mul_hi_u32 v31, v12, v22
	v_mul_lo_u32 v22, v12, v22
	v_mul_hi_u32 v32, v12, v13
	v_mul_lo_u32 v13, v12, v13
	v_add_co_u32 v27, vcc_lo, v27, v29
	v_add_co_ci_u32_e32 v29, vcc_lo, 0, v30, vcc_lo
	s_delay_alu instid0(VALU_DEP_2) | instskip(NEXT) | instid1(VALU_DEP_2)
	v_add_co_u32 v22, vcc_lo, v27, v22
	v_add_co_ci_u32_e32 v22, vcc_lo, v29, v31, vcc_lo
	v_add_co_ci_u32_e32 v27, vcc_lo, 0, v32, vcc_lo
	v_add_co_u32 v29, vcc_lo, v23, v20
	v_add_co_ci_u32_e32 v30, vcc_lo, v24, v20, vcc_lo
	s_delay_alu instid0(VALU_DEP_4) | instskip(NEXT) | instid1(VALU_DEP_4)
	v_add_co_u32 v13, vcc_lo, v22, v13
	v_add_co_ci_u32_e32 v22, vcc_lo, 0, v27, vcc_lo
	s_delay_alu instid0(VALU_DEP_4) | instskip(NEXT) | instid1(VALU_DEP_3)
	v_xor_b32_e32 v27, v29, v20
	v_add_co_u32 v2, vcc_lo, v2, v13
	s_delay_alu instid0(VALU_DEP_3) | instskip(SKIP_1) | instid1(VALU_DEP_3)
	v_add_co_ci_u32_e32 v22, vcc_lo, v12, v22, vcc_lo
	v_xor_b32_e32 v33, v30, v20
	v_mul_hi_u32 v34, v27, v2
	s_delay_alu instid0(VALU_DEP_3) | instskip(NEXT) | instid1(VALU_DEP_3)
	v_mad_u64_u32 v[12:13], null, v27, v22, 0
	v_mad_u64_u32 v[29:30], null, v33, v2, 0
	;; [unrolled: 1-line block ×3, first 2 shown]
	s_delay_alu instid0(VALU_DEP_3) | instskip(NEXT) | instid1(VALU_DEP_4)
	v_add_co_u32 v2, vcc_lo, v34, v12
	v_add_co_ci_u32_e32 v12, vcc_lo, 0, v13, vcc_lo
	s_delay_alu instid0(VALU_DEP_2) | instskip(NEXT) | instid1(VALU_DEP_2)
	v_add_co_u32 v2, vcc_lo, v2, v29
	v_add_co_ci_u32_e32 v2, vcc_lo, v12, v30, vcc_lo
	v_add_co_ci_u32_e32 v12, vcc_lo, 0, v32, vcc_lo
	s_delay_alu instid0(VALU_DEP_2) | instskip(NEXT) | instid1(VALU_DEP_2)
	v_add_co_u32 v2, vcc_lo, v2, v31
	v_add_co_ci_u32_e32 v22, vcc_lo, 0, v12, vcc_lo
	s_delay_alu instid0(VALU_DEP_2) | instskip(SKIP_1) | instid1(VALU_DEP_3)
	v_mul_lo_u32 v29, s67, v2
	v_mad_u64_u32 v[12:13], null, s66, v2, 0
	v_mul_lo_u32 v30, s66, v22
	s_delay_alu instid0(VALU_DEP_2) | instskip(NEXT) | instid1(VALU_DEP_2)
	v_sub_co_u32 v12, vcc_lo, v27, v12
	v_add3_u32 v13, v13, v30, v29
	s_delay_alu instid0(VALU_DEP_1) | instskip(NEXT) | instid1(VALU_DEP_1)
	v_sub_nc_u32_e32 v29, v33, v13
	v_subrev_co_ci_u32_e64 v27, s0, s67, v29, vcc_lo
	v_add_co_u32 v29, s0, v2, 2
	s_delay_alu instid0(VALU_DEP_1) | instskip(SKIP_3) | instid1(VALU_DEP_3)
	v_add_co_ci_u32_e64 v30, s0, 0, v22, s0
	v_sub_co_u32 v31, s0, v12, s66
	v_sub_co_ci_u32_e32 v13, vcc_lo, v33, v13, vcc_lo
	v_subrev_co_ci_u32_e64 v27, s0, 0, v27, s0
	v_cmp_le_u32_e32 vcc_lo, s66, v31
	s_delay_alu instid0(VALU_DEP_3) | instskip(SKIP_1) | instid1(VALU_DEP_4)
	v_cmp_eq_u32_e64 s0, s67, v13
	v_cndmask_b32_e64 v31, 0, -1, vcc_lo
	v_cmp_le_u32_e32 vcc_lo, s67, v27
	v_cndmask_b32_e64 v32, 0, -1, vcc_lo
	v_cmp_le_u32_e32 vcc_lo, s66, v12
	;; [unrolled: 2-line block ×3, first 2 shown]
	v_cndmask_b32_e64 v33, 0, -1, vcc_lo
	v_cmp_eq_u32_e32 vcc_lo, s67, v27
	s_delay_alu instid0(VALU_DEP_2) | instskip(SKIP_3) | instid1(VALU_DEP_3)
	v_cndmask_b32_e64 v12, v33, v12, s0
	v_cndmask_b32_e32 v27, v32, v31, vcc_lo
	v_add_co_u32 v31, vcc_lo, v2, 1
	v_add_co_ci_u32_e32 v32, vcc_lo, 0, v22, vcc_lo
	v_cmp_ne_u32_e32 vcc_lo, 0, v27
	s_delay_alu instid0(VALU_DEP_3) | instskip(NEXT) | instid1(VALU_DEP_3)
	v_cndmask_b32_e32 v27, v31, v29, vcc_lo
	v_cndmask_b32_e32 v13, v32, v30, vcc_lo
	v_cmp_ne_u32_e32 vcc_lo, 0, v12
	v_xor_b32_e32 v29, s64, v20
	s_delay_alu instid0(VALU_DEP_4) | instskip(NEXT) | instid1(VALU_DEP_4)
	v_cndmask_b32_e32 v2, v2, v27, vcc_lo
	v_cndmask_b32_e32 v12, v22, v13, vcc_lo
	s_delay_alu instid0(VALU_DEP_2) | instskip(NEXT) | instid1(VALU_DEP_2)
	v_xor_b32_e32 v2, v2, v29
	v_xor_b32_e32 v13, v12, v29
	s_delay_alu instid0(VALU_DEP_2) | instskip(NEXT) | instid1(VALU_DEP_2)
	v_sub_co_u32 v12, vcc_lo, v2, v29
	v_sub_co_ci_u32_e32 v13, vcc_lo, v13, v29, vcc_lo
.LBB27_17:                              ;   in Loop: Header=BB27_3 Depth=1
	s_and_not1_saveexec_b32 s0, s84
	s_cbranch_execz .LBB27_19
; %bb.18:                               ;   in Loop: Header=BB27_3 Depth=1
	v_rcp_iflag_f32_e32 v2, v28
	s_sub_i32 s64, 0, s42
	s_waitcnt_depctr 0xfff
	v_mul_f32_e32 v2, 0x4f7ffffe, v2
	s_delay_alu instid0(VALU_DEP_1) | instskip(NEXT) | instid1(VALU_DEP_1)
	v_cvt_u32_f32_e32 v2, v2
	v_mul_lo_u32 v12, s64, v2
	s_delay_alu instid0(VALU_DEP_1) | instskip(NEXT) | instid1(VALU_DEP_1)
	v_mul_hi_u32 v12, v2, v12
	v_add_nc_u32_e32 v2, v2, v12
	s_delay_alu instid0(VALU_DEP_1) | instskip(NEXT) | instid1(VALU_DEP_1)
	v_mul_hi_u32 v2, v23, v2
	v_mul_lo_u32 v12, v2, s42
	v_add_nc_u32_e32 v13, 1, v2
	s_delay_alu instid0(VALU_DEP_2) | instskip(NEXT) | instid1(VALU_DEP_1)
	v_sub_nc_u32_e32 v12, v23, v12
	v_subrev_nc_u32_e32 v22, s42, v12
	v_cmp_le_u32_e32 vcc_lo, s42, v12
	s_delay_alu instid0(VALU_DEP_2) | instskip(SKIP_1) | instid1(VALU_DEP_2)
	v_cndmask_b32_e32 v12, v12, v22, vcc_lo
	v_cndmask_b32_e32 v2, v2, v13, vcc_lo
	v_cmp_le_u32_e32 vcc_lo, s42, v12
	s_delay_alu instid0(VALU_DEP_2) | instskip(NEXT) | instid1(VALU_DEP_1)
	v_add_nc_u32_e32 v13, 1, v2
	v_dual_cndmask_b32 v12, v2, v13 :: v_dual_mov_b32 v13, v1
.LBB27_19:                              ;   in Loop: Header=BB27_3 Depth=1
	s_or_b32 exec_lo, exec_lo, s0
	s_delay_alu instid0(VALU_DEP_1) | instskip(NEXT) | instid1(VALU_DEP_2)
	v_mul_lo_u32 v2, v13, s42
	v_mul_lo_u32 v22, v12, s43
	v_mad_u64_u32 v[29:30], null, v12, s42, 0
	v_mul_lo_u32 v27, v12, s13
	s_mov_b32 s0, exec_lo
	s_delay_alu instid0(VALU_DEP_2) | instskip(SKIP_1) | instid1(VALU_DEP_4)
	v_add3_u32 v2, v30, v22, v2
	v_mul_lo_u32 v22, v13, s12
	v_sub_co_u32 v13, vcc_lo, v9, v29
	v_mad_u64_u32 v[29:30], null, v12, s12, 0
	s_delay_alu instid0(VALU_DEP_4) | instskip(NEXT) | instid1(VALU_DEP_3)
	v_sub_co_ci_u32_e32 v2, vcc_lo, v10, v2, vcc_lo
	v_add_co_u32 v31, vcc_lo, v3, v13
	s_delay_alu instid0(VALU_DEP_2) | instskip(NEXT) | instid1(VALU_DEP_2)
	v_add_co_ci_u32_e32 v2, vcc_lo, v4, v2, vcc_lo
	v_mul_lo_u32 v32, v31, s15
	v_mad_u64_u32 v[12:13], null, v31, s14, 0
	s_delay_alu instid0(VALU_DEP_3) | instskip(SKIP_1) | instid1(VALU_DEP_1)
	v_mul_lo_u32 v2, v2, s14
	v_add3_u32 v30, v30, v27, v22
	v_lshlrev_b64 v[29:30], 1, v[29:30]
	s_delay_alu instid0(VALU_DEP_3) | instskip(NEXT) | instid1(VALU_DEP_2)
	v_add3_u32 v13, v13, v32, v2
	v_add_co_u32 v2, vcc_lo, s40, v29
	s_delay_alu instid0(VALU_DEP_2) | instskip(NEXT) | instid1(VALU_DEP_4)
	v_lshlrev_b64 v[12:13], 1, v[12:13]
	v_add_co_ci_u32_e32 v22, vcc_lo, s41, v30, vcc_lo
	s_delay_alu instid0(VALU_DEP_2) | instskip(NEXT) | instid1(VALU_DEP_2)
	v_add_co_u32 v12, vcc_lo, v2, v12
	v_add_co_ci_u32_e32 v13, vcc_lo, v22, v13, vcc_lo
	v_add_co_u32 v2, vcc_lo, v11, 3
	v_add_co_ci_u32_e32 v11, vcc_lo, 0, v14, vcc_lo
	global_load_u16 v27, v[12:13], off
	v_mul_lo_u32 v13, s5, v2
	v_mul_lo_u32 v14, s4, v11
	v_mad_u64_u32 v[11:12], null, s4, v2, 0
	s_delay_alu instid0(VALU_DEP_1) | instskip(NEXT) | instid1(VALU_DEP_2)
	v_add3_u32 v12, v12, v14, v13
	v_add_co_u32 v29, vcc_lo, v3, v11
                                        ; implicit-def: $vgpr13_vgpr14
	s_delay_alu instid0(VALU_DEP_2) | instskip(NEXT) | instid1(VALU_DEP_1)
	v_add_co_ci_u32_e32 v30, vcc_lo, v4, v12, vcc_lo
	v_or_b32_e32 v2, s43, v30
	v_ashrrev_i32_e32 v22, 31, v30
	s_delay_alu instid0(VALU_DEP_2)
	v_cmpx_ne_u64_e32 0, v[1:2]
	s_xor_b32 s84, exec_lo, s0
	s_cbranch_execz .LBB27_21
; %bb.20:                               ;   in Loop: Header=BB27_3 Depth=1
	s_ashr_i32 s64, s43, 31
	s_delay_alu instid0(SALU_CYCLE_1) | instskip(SKIP_2) | instid1(SALU_CYCLE_1)
	s_add_u32 s66, s42, s64
	s_mov_b32 s65, s64
	s_addc_u32 s67, s43, s64
	s_xor_b64 s[66:67], s[66:67], s[64:65]
	s_delay_alu instid0(SALU_CYCLE_1) | instskip(SKIP_3) | instid1(VALU_DEP_1)
	v_cvt_f32_u32_e32 v2, s66
	v_cvt_f32_u32_e32 v13, s67
	s_sub_u32 s0, 0, s66
	s_subb_u32 s65, 0, s67
	v_fmac_f32_e32 v2, 0x4f800000, v13
	s_delay_alu instid0(VALU_DEP_1) | instskip(SKIP_2) | instid1(VALU_DEP_1)
	v_rcp_f32_e32 v2, v2
	s_waitcnt_depctr 0xfff
	v_mul_f32_e32 v2, 0x5f7ffffc, v2
	v_mul_f32_e32 v13, 0x2f800000, v2
	s_delay_alu instid0(VALU_DEP_1) | instskip(NEXT) | instid1(VALU_DEP_1)
	v_trunc_f32_e32 v13, v13
	v_fmac_f32_e32 v2, 0xcf800000, v13
	v_cvt_u32_f32_e32 v13, v13
	s_delay_alu instid0(VALU_DEP_2) | instskip(NEXT) | instid1(VALU_DEP_2)
	v_cvt_u32_f32_e32 v2, v2
	v_mul_lo_u32 v14, s0, v13
	s_delay_alu instid0(VALU_DEP_2) | instskip(SKIP_1) | instid1(VALU_DEP_2)
	v_mul_hi_u32 v28, s0, v2
	v_mul_lo_u32 v31, s65, v2
	v_add_nc_u32_e32 v14, v28, v14
	v_mul_lo_u32 v28, s0, v2
	s_delay_alu instid0(VALU_DEP_2) | instskip(NEXT) | instid1(VALU_DEP_2)
	v_add_nc_u32_e32 v14, v14, v31
	v_mul_hi_u32 v31, v2, v28
	s_delay_alu instid0(VALU_DEP_2)
	v_mul_lo_u32 v32, v2, v14
	v_mul_hi_u32 v33, v2, v14
	v_mul_hi_u32 v34, v13, v28
	v_mul_lo_u32 v28, v13, v28
	v_mul_hi_u32 v35, v13, v14
	v_mul_lo_u32 v14, v13, v14
	v_add_co_u32 v31, vcc_lo, v31, v32
	v_add_co_ci_u32_e32 v32, vcc_lo, 0, v33, vcc_lo
	s_delay_alu instid0(VALU_DEP_2) | instskip(NEXT) | instid1(VALU_DEP_2)
	v_add_co_u32 v28, vcc_lo, v31, v28
	v_add_co_ci_u32_e32 v28, vcc_lo, v32, v34, vcc_lo
	v_add_co_ci_u32_e32 v31, vcc_lo, 0, v35, vcc_lo
	s_delay_alu instid0(VALU_DEP_2) | instskip(NEXT) | instid1(VALU_DEP_2)
	v_add_co_u32 v14, vcc_lo, v28, v14
	v_add_co_ci_u32_e32 v28, vcc_lo, 0, v31, vcc_lo
	s_delay_alu instid0(VALU_DEP_2) | instskip(NEXT) | instid1(VALU_DEP_2)
	v_add_co_u32 v2, vcc_lo, v2, v14
	v_add_co_ci_u32_e32 v13, vcc_lo, v13, v28, vcc_lo
	s_delay_alu instid0(VALU_DEP_2) | instskip(SKIP_1) | instid1(VALU_DEP_3)
	v_mul_hi_u32 v14, s0, v2
	v_mul_lo_u32 v31, s65, v2
	v_mul_lo_u32 v28, s0, v13
	s_delay_alu instid0(VALU_DEP_1) | instskip(SKIP_1) | instid1(VALU_DEP_2)
	v_add_nc_u32_e32 v14, v14, v28
	v_mul_lo_u32 v28, s0, v2
	v_add_nc_u32_e32 v14, v14, v31
	s_delay_alu instid0(VALU_DEP_2) | instskip(NEXT) | instid1(VALU_DEP_2)
	v_mul_hi_u32 v31, v2, v28
	v_mul_lo_u32 v32, v2, v14
	v_mul_hi_u32 v33, v2, v14
	v_mul_hi_u32 v34, v13, v28
	v_mul_lo_u32 v28, v13, v28
	v_mul_hi_u32 v35, v13, v14
	v_mul_lo_u32 v14, v13, v14
	v_add_co_u32 v31, vcc_lo, v31, v32
	v_add_co_ci_u32_e32 v32, vcc_lo, 0, v33, vcc_lo
	s_delay_alu instid0(VALU_DEP_2) | instskip(NEXT) | instid1(VALU_DEP_2)
	v_add_co_u32 v28, vcc_lo, v31, v28
	v_add_co_ci_u32_e32 v28, vcc_lo, v32, v34, vcc_lo
	v_add_co_ci_u32_e32 v31, vcc_lo, 0, v35, vcc_lo
	v_add_co_u32 v32, vcc_lo, v29, v22
	v_add_co_ci_u32_e32 v33, vcc_lo, v30, v22, vcc_lo
	s_delay_alu instid0(VALU_DEP_4) | instskip(NEXT) | instid1(VALU_DEP_4)
	v_add_co_u32 v14, vcc_lo, v28, v14
	v_add_co_ci_u32_e32 v28, vcc_lo, 0, v31, vcc_lo
	s_delay_alu instid0(VALU_DEP_4) | instskip(NEXT) | instid1(VALU_DEP_3)
	v_xor_b32_e32 v35, v32, v22
	v_add_co_u32 v2, vcc_lo, v2, v14
	s_delay_alu instid0(VALU_DEP_3) | instskip(SKIP_1) | instid1(VALU_DEP_3)
	v_add_co_ci_u32_e32 v28, vcc_lo, v13, v28, vcc_lo
	v_xor_b32_e32 v36, v33, v22
	v_mul_hi_u32 v37, v35, v2
	s_delay_alu instid0(VALU_DEP_3) | instskip(NEXT) | instid1(VALU_DEP_3)
	v_mad_u64_u32 v[13:14], null, v35, v28, 0
	v_mad_u64_u32 v[31:32], null, v36, v2, 0
	;; [unrolled: 1-line block ×3, first 2 shown]
	s_delay_alu instid0(VALU_DEP_3) | instskip(NEXT) | instid1(VALU_DEP_4)
	v_add_co_u32 v2, vcc_lo, v37, v13
	v_add_co_ci_u32_e32 v13, vcc_lo, 0, v14, vcc_lo
	s_delay_alu instid0(VALU_DEP_2) | instskip(NEXT) | instid1(VALU_DEP_2)
	v_add_co_u32 v2, vcc_lo, v2, v31
	v_add_co_ci_u32_e32 v2, vcc_lo, v13, v32, vcc_lo
	v_add_co_ci_u32_e32 v13, vcc_lo, 0, v34, vcc_lo
	s_delay_alu instid0(VALU_DEP_2) | instskip(NEXT) | instid1(VALU_DEP_2)
	v_add_co_u32 v2, vcc_lo, v2, v33
	v_add_co_ci_u32_e32 v28, vcc_lo, 0, v13, vcc_lo
	s_delay_alu instid0(VALU_DEP_2) | instskip(SKIP_1) | instid1(VALU_DEP_3)
	v_mul_lo_u32 v31, s67, v2
	v_mad_u64_u32 v[13:14], null, s66, v2, 0
	v_mul_lo_u32 v32, s66, v28
	s_delay_alu instid0(VALU_DEP_2) | instskip(NEXT) | instid1(VALU_DEP_2)
	v_sub_co_u32 v13, vcc_lo, v35, v13
	v_add3_u32 v14, v14, v32, v31
	s_delay_alu instid0(VALU_DEP_1) | instskip(NEXT) | instid1(VALU_DEP_1)
	v_sub_nc_u32_e32 v31, v36, v14
	v_subrev_co_ci_u32_e64 v31, s0, s67, v31, vcc_lo
	v_add_co_u32 v32, s0, v2, 2
	s_delay_alu instid0(VALU_DEP_1) | instskip(SKIP_3) | instid1(VALU_DEP_3)
	v_add_co_ci_u32_e64 v33, s0, 0, v28, s0
	v_sub_co_u32 v34, s0, v13, s66
	v_sub_co_ci_u32_e32 v14, vcc_lo, v36, v14, vcc_lo
	v_subrev_co_ci_u32_e64 v31, s0, 0, v31, s0
	v_cmp_le_u32_e32 vcc_lo, s66, v34
	s_delay_alu instid0(VALU_DEP_3) | instskip(SKIP_1) | instid1(VALU_DEP_4)
	v_cmp_eq_u32_e64 s0, s67, v14
	v_cndmask_b32_e64 v34, 0, -1, vcc_lo
	v_cmp_le_u32_e32 vcc_lo, s67, v31
	v_cndmask_b32_e64 v35, 0, -1, vcc_lo
	v_cmp_le_u32_e32 vcc_lo, s66, v13
	;; [unrolled: 2-line block ×3, first 2 shown]
	v_cndmask_b32_e64 v36, 0, -1, vcc_lo
	v_cmp_eq_u32_e32 vcc_lo, s67, v31
	s_delay_alu instid0(VALU_DEP_2) | instskip(SKIP_3) | instid1(VALU_DEP_3)
	v_cndmask_b32_e64 v13, v36, v13, s0
	v_cndmask_b32_e32 v31, v35, v34, vcc_lo
	v_add_co_u32 v34, vcc_lo, v2, 1
	v_add_co_ci_u32_e32 v35, vcc_lo, 0, v28, vcc_lo
	v_cmp_ne_u32_e32 vcc_lo, 0, v31
	s_delay_alu instid0(VALU_DEP_2) | instskip(SKIP_2) | instid1(VALU_DEP_3)
	v_dual_cndmask_b32 v14, v35, v33 :: v_dual_cndmask_b32 v31, v34, v32
	v_cmp_ne_u32_e32 vcc_lo, 0, v13
	v_xor_b32_e32 v32, s64, v22
	v_dual_cndmask_b32 v13, v28, v14 :: v_dual_cndmask_b32 v2, v2, v31
                                        ; implicit-def: $vgpr28
	s_delay_alu instid0(VALU_DEP_1) | instskip(NEXT) | instid1(VALU_DEP_2)
	v_xor_b32_e32 v14, v13, v32
	v_xor_b32_e32 v2, v2, v32
	s_delay_alu instid0(VALU_DEP_1) | instskip(NEXT) | instid1(VALU_DEP_3)
	v_sub_co_u32 v13, vcc_lo, v2, v32
	v_sub_co_ci_u32_e32 v14, vcc_lo, v14, v32, vcc_lo
.LBB27_21:                              ;   in Loop: Header=BB27_3 Depth=1
	s_and_not1_saveexec_b32 s0, s84
	s_cbranch_execz .LBB27_23
; %bb.22:                               ;   in Loop: Header=BB27_3 Depth=1
	v_rcp_iflag_f32_e32 v2, v28
	s_sub_i32 s64, 0, s42
	s_waitcnt_depctr 0xfff
	v_mul_f32_e32 v2, 0x4f7ffffe, v2
	s_delay_alu instid0(VALU_DEP_1) | instskip(NEXT) | instid1(VALU_DEP_1)
	v_cvt_u32_f32_e32 v2, v2
	v_mul_lo_u32 v13, s64, v2
	s_delay_alu instid0(VALU_DEP_1) | instskip(NEXT) | instid1(VALU_DEP_1)
	v_mul_hi_u32 v13, v2, v13
	v_add_nc_u32_e32 v2, v2, v13
	s_delay_alu instid0(VALU_DEP_1) | instskip(NEXT) | instid1(VALU_DEP_1)
	v_mul_hi_u32 v2, v29, v2
	v_mul_lo_u32 v13, v2, s42
	v_add_nc_u32_e32 v14, 1, v2
	s_delay_alu instid0(VALU_DEP_2) | instskip(NEXT) | instid1(VALU_DEP_1)
	v_sub_nc_u32_e32 v13, v29, v13
	v_subrev_nc_u32_e32 v28, s42, v13
	v_cmp_le_u32_e32 vcc_lo, s42, v13
	s_delay_alu instid0(VALU_DEP_2) | instskip(NEXT) | instid1(VALU_DEP_1)
	v_dual_cndmask_b32 v13, v13, v28 :: v_dual_cndmask_b32 v2, v2, v14
	v_cmp_le_u32_e32 vcc_lo, s42, v13
	s_delay_alu instid0(VALU_DEP_2) | instskip(NEXT) | instid1(VALU_DEP_1)
	v_add_nc_u32_e32 v14, 1, v2
	v_dual_cndmask_b32 v13, v2, v14 :: v_dual_mov_b32 v14, v1
.LBB27_23:                              ;   in Loop: Header=BB27_3 Depth=1
	s_or_b32 exec_lo, exec_lo, s0
	s_delay_alu instid0(VALU_DEP_1) | instskip(NEXT) | instid1(VALU_DEP_2)
	v_mul_lo_u32 v2, v14, s42
	v_mul_lo_u32 v28, v13, s43
	v_mad_u64_u32 v[31:32], null, v13, s42, 0
	v_mul_lo_u32 v33, v13, s13
	s_mov_b32 s0, exec_lo
	s_delay_alu instid0(VALU_DEP_2) | instskip(SKIP_1) | instid1(VALU_DEP_4)
	v_add3_u32 v2, v32, v28, v2
	v_mul_lo_u32 v28, v14, s12
	v_sub_co_u32 v14, vcc_lo, v11, v31
	v_mad_u64_u32 v[31:32], null, v13, s12, 0
	s_delay_alu instid0(VALU_DEP_4) | instskip(NEXT) | instid1(VALU_DEP_3)
	v_sub_co_ci_u32_e32 v2, vcc_lo, v12, v2, vcc_lo
	v_add_co_u32 v34, vcc_lo, v3, v14
	s_delay_alu instid0(VALU_DEP_2) | instskip(NEXT) | instid1(VALU_DEP_2)
	v_add_co_ci_u32_e32 v2, vcc_lo, v4, v2, vcc_lo
	v_mul_lo_u32 v35, v34, s15
	v_mad_u64_u32 v[13:14], null, v34, s14, 0
	s_delay_alu instid0(VALU_DEP_3) | instskip(SKIP_1) | instid1(VALU_DEP_1)
	v_mul_lo_u32 v2, v2, s14
	v_add3_u32 v32, v32, v33, v28
	v_lshlrev_b64 v[31:32], 1, v[31:32]
	s_delay_alu instid0(VALU_DEP_3) | instskip(NEXT) | instid1(VALU_DEP_2)
	v_add3_u32 v14, v14, v35, v2
	v_add_co_u32 v2, vcc_lo, s40, v31
	s_delay_alu instid0(VALU_DEP_2) | instskip(NEXT) | instid1(VALU_DEP_4)
	v_lshlrev_b64 v[13:14], 1, v[13:14]
	v_add_co_ci_u32_e32 v28, vcc_lo, s41, v32, vcc_lo
	s_delay_alu instid0(VALU_DEP_2) | instskip(NEXT) | instid1(VALU_DEP_2)
	v_add_co_u32 v13, vcc_lo, v2, v13
	v_add_co_ci_u32_e32 v14, vcc_lo, v28, v14, vcc_lo
	v_or_b32_e32 v2, s47, v18
	global_load_u16 v28, v[13:14], off
                                        ; implicit-def: $vgpr13_vgpr14
	v_cmpx_ne_u64_e32 0, v[1:2]
	s_xor_b32 s84, exec_lo, s0
	s_cbranch_execz .LBB27_25
; %bb.24:                               ;   in Loop: Header=BB27_3 Depth=1
	s_ashr_i32 s64, s47, 31
	s_delay_alu instid0(SALU_CYCLE_1) | instskip(SKIP_2) | instid1(SALU_CYCLE_1)
	s_add_u32 s66, s46, s64
	s_mov_b32 s65, s64
	s_addc_u32 s67, s47, s64
	s_xor_b64 s[66:67], s[66:67], s[64:65]
	s_delay_alu instid0(SALU_CYCLE_1) | instskip(SKIP_3) | instid1(VALU_DEP_1)
	v_cvt_f32_u32_e32 v2, s66
	v_cvt_f32_u32_e32 v13, s67
	s_sub_u32 s0, 0, s66
	s_subb_u32 s65, 0, s67
	v_fmac_f32_e32 v2, 0x4f800000, v13
	s_delay_alu instid0(VALU_DEP_1) | instskip(SKIP_2) | instid1(VALU_DEP_1)
	v_rcp_f32_e32 v2, v2
	s_waitcnt_depctr 0xfff
	v_mul_f32_e32 v2, 0x5f7ffffc, v2
	v_mul_f32_e32 v13, 0x2f800000, v2
	s_delay_alu instid0(VALU_DEP_1) | instskip(NEXT) | instid1(VALU_DEP_1)
	v_trunc_f32_e32 v13, v13
	v_fmac_f32_e32 v2, 0xcf800000, v13
	v_cvt_u32_f32_e32 v13, v13
	s_delay_alu instid0(VALU_DEP_2) | instskip(NEXT) | instid1(VALU_DEP_2)
	v_cvt_u32_f32_e32 v2, v2
	v_mul_lo_u32 v14, s0, v13
	s_delay_alu instid0(VALU_DEP_2) | instskip(SKIP_1) | instid1(VALU_DEP_2)
	v_mul_hi_u32 v31, s0, v2
	v_mul_lo_u32 v32, s65, v2
	v_add_nc_u32_e32 v14, v31, v14
	v_mul_lo_u32 v31, s0, v2
	s_delay_alu instid0(VALU_DEP_2) | instskip(NEXT) | instid1(VALU_DEP_2)
	v_add_nc_u32_e32 v14, v14, v32
	v_mul_hi_u32 v32, v2, v31
	s_delay_alu instid0(VALU_DEP_2)
	v_mul_lo_u32 v33, v2, v14
	v_mul_hi_u32 v34, v2, v14
	v_mul_hi_u32 v35, v13, v31
	v_mul_lo_u32 v31, v13, v31
	v_mul_hi_u32 v36, v13, v14
	v_mul_lo_u32 v14, v13, v14
	v_add_co_u32 v32, vcc_lo, v32, v33
	v_add_co_ci_u32_e32 v33, vcc_lo, 0, v34, vcc_lo
	s_delay_alu instid0(VALU_DEP_2) | instskip(NEXT) | instid1(VALU_DEP_2)
	v_add_co_u32 v31, vcc_lo, v32, v31
	v_add_co_ci_u32_e32 v31, vcc_lo, v33, v35, vcc_lo
	v_add_co_ci_u32_e32 v32, vcc_lo, 0, v36, vcc_lo
	s_delay_alu instid0(VALU_DEP_2) | instskip(NEXT) | instid1(VALU_DEP_2)
	v_add_co_u32 v14, vcc_lo, v31, v14
	v_add_co_ci_u32_e32 v31, vcc_lo, 0, v32, vcc_lo
	s_delay_alu instid0(VALU_DEP_2) | instskip(NEXT) | instid1(VALU_DEP_2)
	v_add_co_u32 v2, vcc_lo, v2, v14
	v_add_co_ci_u32_e32 v13, vcc_lo, v13, v31, vcc_lo
	s_delay_alu instid0(VALU_DEP_2) | instskip(SKIP_1) | instid1(VALU_DEP_3)
	v_mul_hi_u32 v14, s0, v2
	v_mul_lo_u32 v32, s65, v2
	v_mul_lo_u32 v31, s0, v13
	s_delay_alu instid0(VALU_DEP_1) | instskip(SKIP_1) | instid1(VALU_DEP_2)
	v_add_nc_u32_e32 v14, v14, v31
	v_mul_lo_u32 v31, s0, v2
	v_add_nc_u32_e32 v14, v14, v32
	s_delay_alu instid0(VALU_DEP_2) | instskip(NEXT) | instid1(VALU_DEP_2)
	v_mul_hi_u32 v32, v2, v31
	v_mul_lo_u32 v33, v2, v14
	v_mul_hi_u32 v34, v2, v14
	v_mul_hi_u32 v35, v13, v31
	v_mul_lo_u32 v31, v13, v31
	v_mul_hi_u32 v36, v13, v14
	v_mul_lo_u32 v14, v13, v14
	v_add_co_u32 v32, vcc_lo, v32, v33
	v_add_co_ci_u32_e32 v33, vcc_lo, 0, v34, vcc_lo
	s_delay_alu instid0(VALU_DEP_2) | instskip(NEXT) | instid1(VALU_DEP_2)
	v_add_co_u32 v31, vcc_lo, v32, v31
	v_add_co_ci_u32_e32 v31, vcc_lo, v33, v35, vcc_lo
	v_add_co_ci_u32_e32 v32, vcc_lo, 0, v36, vcc_lo
	v_add_co_u32 v16, vcc_lo, v16, v15
	v_add_co_ci_u32_e32 v18, vcc_lo, v18, v15, vcc_lo
	s_delay_alu instid0(VALU_DEP_4) | instskip(NEXT) | instid1(VALU_DEP_4)
	v_add_co_u32 v14, vcc_lo, v31, v14
	v_add_co_ci_u32_e32 v31, vcc_lo, 0, v32, vcc_lo
	s_delay_alu instid0(VALU_DEP_4) | instskip(NEXT) | instid1(VALU_DEP_3)
	v_xor_b32_e32 v16, v16, v15
	v_add_co_u32 v2, vcc_lo, v2, v14
	s_delay_alu instid0(VALU_DEP_3) | instskip(SKIP_1) | instid1(VALU_DEP_3)
	v_add_co_ci_u32_e32 v35, vcc_lo, v13, v31, vcc_lo
	v_xor_b32_e32 v18, v18, v15
	v_mul_hi_u32 v36, v16, v2
	v_xor_b32_e32 v15, s64, v15
	s_delay_alu instid0(VALU_DEP_4) | instskip(NEXT) | instid1(VALU_DEP_4)
	v_mad_u64_u32 v[13:14], null, v16, v35, 0
	v_mad_u64_u32 v[31:32], null, v18, v2, 0
	;; [unrolled: 1-line block ×3, first 2 shown]
	s_delay_alu instid0(VALU_DEP_3) | instskip(NEXT) | instid1(VALU_DEP_4)
	v_add_co_u32 v2, vcc_lo, v36, v13
	v_add_co_ci_u32_e32 v13, vcc_lo, 0, v14, vcc_lo
	s_delay_alu instid0(VALU_DEP_2) | instskip(NEXT) | instid1(VALU_DEP_2)
	v_add_co_u32 v2, vcc_lo, v2, v31
	v_add_co_ci_u32_e32 v2, vcc_lo, v13, v32, vcc_lo
	v_add_co_ci_u32_e32 v13, vcc_lo, 0, v34, vcc_lo
	s_delay_alu instid0(VALU_DEP_2) | instskip(NEXT) | instid1(VALU_DEP_2)
	v_add_co_u32 v2, vcc_lo, v2, v33
	v_add_co_ci_u32_e32 v31, vcc_lo, 0, v13, vcc_lo
	s_delay_alu instid0(VALU_DEP_2) | instskip(SKIP_1) | instid1(VALU_DEP_3)
	v_mul_lo_u32 v32, s67, v2
	v_mad_u64_u32 v[13:14], null, s66, v2, 0
	v_mul_lo_u32 v33, s66, v31
	s_delay_alu instid0(VALU_DEP_2) | instskip(NEXT) | instid1(VALU_DEP_2)
	v_sub_co_u32 v13, vcc_lo, v16, v13
	v_add3_u32 v14, v14, v33, v32
	s_delay_alu instid0(VALU_DEP_1) | instskip(NEXT) | instid1(VALU_DEP_1)
	v_sub_nc_u32_e32 v32, v18, v14
	v_subrev_co_ci_u32_e64 v16, s0, s67, v32, vcc_lo
	v_add_co_u32 v32, s0, v2, 2
	s_delay_alu instid0(VALU_DEP_1) | instskip(SKIP_3) | instid1(VALU_DEP_3)
	v_add_co_ci_u32_e64 v33, s0, 0, v31, s0
	v_sub_co_u32 v34, s0, v13, s66
	v_sub_co_ci_u32_e32 v14, vcc_lo, v18, v14, vcc_lo
	v_subrev_co_ci_u32_e64 v16, s0, 0, v16, s0
	v_cmp_le_u32_e32 vcc_lo, s66, v34
	s_delay_alu instid0(VALU_DEP_3) | instskip(SKIP_1) | instid1(VALU_DEP_4)
	v_cmp_eq_u32_e64 s0, s67, v14
	v_cndmask_b32_e64 v18, 0, -1, vcc_lo
	v_cmp_le_u32_e32 vcc_lo, s67, v16
	v_cndmask_b32_e64 v34, 0, -1, vcc_lo
	v_cmp_le_u32_e32 vcc_lo, s66, v13
	;; [unrolled: 2-line block ×3, first 2 shown]
	v_cndmask_b32_e64 v35, 0, -1, vcc_lo
	v_cmp_eq_u32_e32 vcc_lo, s67, v16
	s_delay_alu instid0(VALU_DEP_2) | instskip(SKIP_3) | instid1(VALU_DEP_3)
	v_cndmask_b32_e64 v13, v35, v13, s0
	v_cndmask_b32_e32 v16, v34, v18, vcc_lo
	v_add_co_u32 v18, vcc_lo, v2, 1
	v_add_co_ci_u32_e32 v34, vcc_lo, 0, v31, vcc_lo
	v_cmp_ne_u32_e32 vcc_lo, 0, v16
	s_delay_alu instid0(VALU_DEP_2) | instskip(NEXT) | instid1(VALU_DEP_4)
	v_cndmask_b32_e32 v14, v34, v33, vcc_lo
	v_cndmask_b32_e32 v16, v18, v32, vcc_lo
	v_cmp_ne_u32_e32 vcc_lo, 0, v13
	s_delay_alu instid0(VALU_DEP_2) | instskip(NEXT) | instid1(VALU_DEP_1)
	v_dual_cndmask_b32 v2, v2, v16 :: v_dual_cndmask_b32 v13, v31, v14
                                        ; implicit-def: $vgpr16
	v_xor_b32_e32 v2, v2, v15
	s_delay_alu instid0(VALU_DEP_2) | instskip(NEXT) | instid1(VALU_DEP_2)
	v_xor_b32_e32 v14, v13, v15
	v_sub_co_u32 v13, vcc_lo, v2, v15
	s_delay_alu instid0(VALU_DEP_2)
	v_sub_co_ci_u32_e32 v14, vcc_lo, v14, v15, vcc_lo
.LBB27_25:                              ;   in Loop: Header=BB27_3 Depth=1
	s_or_saveexec_b32 s0, s84
	v_cvt_f32_u32_e32 v31, s46
	s_xor_b32 exec_lo, exec_lo, s0
	s_cbranch_execz .LBB27_27
; %bb.26:                               ;   in Loop: Header=BB27_3 Depth=1
	s_delay_alu instid0(VALU_DEP_1) | instskip(SKIP_3) | instid1(VALU_DEP_1)
	v_rcp_iflag_f32_e32 v2, v31
	s_sub_i32 s64, 0, s46
	s_waitcnt_depctr 0xfff
	v_mul_f32_e32 v2, 0x4f7ffffe, v2
	v_cvt_u32_f32_e32 v2, v2
	s_delay_alu instid0(VALU_DEP_1) | instskip(NEXT) | instid1(VALU_DEP_1)
	v_mul_lo_u32 v13, s64, v2
	v_mul_hi_u32 v13, v2, v13
	s_delay_alu instid0(VALU_DEP_1) | instskip(NEXT) | instid1(VALU_DEP_1)
	v_add_nc_u32_e32 v2, v2, v13
	v_mul_hi_u32 v2, v16, v2
	s_delay_alu instid0(VALU_DEP_1) | instskip(SKIP_1) | instid1(VALU_DEP_2)
	v_mul_lo_u32 v13, v2, s46
	v_add_nc_u32_e32 v14, 1, v2
	v_sub_nc_u32_e32 v13, v16, v13
	s_delay_alu instid0(VALU_DEP_1) | instskip(SKIP_1) | instid1(VALU_DEP_2)
	v_subrev_nc_u32_e32 v15, s46, v13
	v_cmp_le_u32_e32 vcc_lo, s46, v13
	v_dual_cndmask_b32 v13, v13, v15 :: v_dual_cndmask_b32 v2, v2, v14
	s_delay_alu instid0(VALU_DEP_1) | instskip(NEXT) | instid1(VALU_DEP_2)
	v_cmp_le_u32_e32 vcc_lo, s46, v13
	v_add_nc_u32_e32 v14, 1, v2
	s_delay_alu instid0(VALU_DEP_1)
	v_dual_cndmask_b32 v13, v2, v14 :: v_dual_mov_b32 v14, v1
.LBB27_27:                              ;   in Loop: Header=BB27_3 Depth=1
	s_or_b32 exec_lo, exec_lo, s0
	v_or_b32_e32 v2, s47, v21
                                        ; implicit-def: $vgpr15_vgpr16
	s_mov_b32 s0, exec_lo
	s_delay_alu instid0(VALU_DEP_1)
	v_cmpx_ne_u64_e32 0, v[1:2]
	s_xor_b32 s84, exec_lo, s0
	s_cbranch_execz .LBB27_29
; %bb.28:                               ;   in Loop: Header=BB27_3 Depth=1
	s_ashr_i32 s64, s47, 31
	s_delay_alu instid0(SALU_CYCLE_1) | instskip(SKIP_2) | instid1(SALU_CYCLE_1)
	s_add_u32 s66, s46, s64
	s_mov_b32 s65, s64
	s_addc_u32 s67, s47, s64
	s_xor_b64 s[66:67], s[66:67], s[64:65]
	s_delay_alu instid0(SALU_CYCLE_1) | instskip(SKIP_3) | instid1(VALU_DEP_1)
	v_cvt_f32_u32_e32 v2, s66
	v_cvt_f32_u32_e32 v15, s67
	s_sub_u32 s0, 0, s66
	s_subb_u32 s65, 0, s67
	v_fmac_f32_e32 v2, 0x4f800000, v15
	s_delay_alu instid0(VALU_DEP_1) | instskip(SKIP_2) | instid1(VALU_DEP_1)
	v_rcp_f32_e32 v2, v2
	s_waitcnt_depctr 0xfff
	v_mul_f32_e32 v2, 0x5f7ffffc, v2
	v_mul_f32_e32 v15, 0x2f800000, v2
	s_delay_alu instid0(VALU_DEP_1) | instskip(NEXT) | instid1(VALU_DEP_1)
	v_trunc_f32_e32 v15, v15
	v_fmac_f32_e32 v2, 0xcf800000, v15
	v_cvt_u32_f32_e32 v15, v15
	s_delay_alu instid0(VALU_DEP_2) | instskip(NEXT) | instid1(VALU_DEP_2)
	v_cvt_u32_f32_e32 v2, v2
	v_mul_lo_u32 v16, s0, v15
	s_delay_alu instid0(VALU_DEP_2) | instskip(SKIP_1) | instid1(VALU_DEP_2)
	v_mul_hi_u32 v18, s0, v2
	v_mul_lo_u32 v32, s65, v2
	v_add_nc_u32_e32 v16, v18, v16
	v_mul_lo_u32 v18, s0, v2
	s_delay_alu instid0(VALU_DEP_2) | instskip(NEXT) | instid1(VALU_DEP_2)
	v_add_nc_u32_e32 v16, v16, v32
	v_mul_hi_u32 v32, v2, v18
	s_delay_alu instid0(VALU_DEP_2)
	v_mul_lo_u32 v33, v2, v16
	v_mul_hi_u32 v34, v2, v16
	v_mul_hi_u32 v35, v15, v18
	v_mul_lo_u32 v18, v15, v18
	v_mul_hi_u32 v36, v15, v16
	v_mul_lo_u32 v16, v15, v16
	v_add_co_u32 v32, vcc_lo, v32, v33
	v_add_co_ci_u32_e32 v33, vcc_lo, 0, v34, vcc_lo
	s_delay_alu instid0(VALU_DEP_2) | instskip(NEXT) | instid1(VALU_DEP_2)
	v_add_co_u32 v18, vcc_lo, v32, v18
	v_add_co_ci_u32_e32 v18, vcc_lo, v33, v35, vcc_lo
	v_add_co_ci_u32_e32 v32, vcc_lo, 0, v36, vcc_lo
	s_delay_alu instid0(VALU_DEP_2) | instskip(NEXT) | instid1(VALU_DEP_2)
	v_add_co_u32 v16, vcc_lo, v18, v16
	v_add_co_ci_u32_e32 v18, vcc_lo, 0, v32, vcc_lo
	s_delay_alu instid0(VALU_DEP_2) | instskip(NEXT) | instid1(VALU_DEP_2)
	v_add_co_u32 v2, vcc_lo, v2, v16
	v_add_co_ci_u32_e32 v15, vcc_lo, v15, v18, vcc_lo
	s_delay_alu instid0(VALU_DEP_2) | instskip(SKIP_1) | instid1(VALU_DEP_3)
	v_mul_hi_u32 v16, s0, v2
	v_mul_lo_u32 v32, s65, v2
	v_mul_lo_u32 v18, s0, v15
	s_delay_alu instid0(VALU_DEP_1) | instskip(SKIP_1) | instid1(VALU_DEP_2)
	v_add_nc_u32_e32 v16, v16, v18
	v_mul_lo_u32 v18, s0, v2
	v_add_nc_u32_e32 v16, v16, v32
	s_delay_alu instid0(VALU_DEP_2) | instskip(NEXT) | instid1(VALU_DEP_2)
	v_mul_hi_u32 v32, v2, v18
	v_mul_lo_u32 v33, v2, v16
	v_mul_hi_u32 v34, v2, v16
	v_mul_hi_u32 v35, v15, v18
	v_mul_lo_u32 v18, v15, v18
	v_mul_hi_u32 v36, v15, v16
	v_mul_lo_u32 v16, v15, v16
	v_add_co_u32 v32, vcc_lo, v32, v33
	v_add_co_ci_u32_e32 v33, vcc_lo, 0, v34, vcc_lo
	s_delay_alu instid0(VALU_DEP_2) | instskip(NEXT) | instid1(VALU_DEP_2)
	v_add_co_u32 v18, vcc_lo, v32, v18
	v_add_co_ci_u32_e32 v18, vcc_lo, v33, v35, vcc_lo
	v_add_co_ci_u32_e32 v32, vcc_lo, 0, v36, vcc_lo
	v_add_co_u32 v19, vcc_lo, v19, v17
	v_add_co_ci_u32_e32 v21, vcc_lo, v21, v17, vcc_lo
	s_delay_alu instid0(VALU_DEP_4) | instskip(NEXT) | instid1(VALU_DEP_4)
	v_add_co_u32 v16, vcc_lo, v18, v16
	v_add_co_ci_u32_e32 v18, vcc_lo, 0, v32, vcc_lo
	s_delay_alu instid0(VALU_DEP_4) | instskip(NEXT) | instid1(VALU_DEP_3)
	v_xor_b32_e32 v34, v19, v17
	v_add_co_u32 v2, vcc_lo, v2, v16
	s_delay_alu instid0(VALU_DEP_3) | instskip(SKIP_1) | instid1(VALU_DEP_3)
	v_add_co_ci_u32_e32 v35, vcc_lo, v15, v18, vcc_lo
	v_xor_b32_e32 v21, v21, v17
	v_mul_hi_u32 v36, v34, v2
	v_xor_b32_e32 v17, s64, v17
	s_delay_alu instid0(VALU_DEP_4) | instskip(NEXT) | instid1(VALU_DEP_4)
	v_mad_u64_u32 v[15:16], null, v34, v35, 0
	v_mad_u64_u32 v[18:19], null, v21, v2, 0
	;; [unrolled: 1-line block ×3, first 2 shown]
	s_delay_alu instid0(VALU_DEP_3) | instskip(NEXT) | instid1(VALU_DEP_4)
	v_add_co_u32 v2, vcc_lo, v36, v15
	v_add_co_ci_u32_e32 v15, vcc_lo, 0, v16, vcc_lo
	s_delay_alu instid0(VALU_DEP_2) | instskip(NEXT) | instid1(VALU_DEP_2)
	v_add_co_u32 v2, vcc_lo, v2, v18
	v_add_co_ci_u32_e32 v2, vcc_lo, v15, v19, vcc_lo
	v_add_co_ci_u32_e32 v15, vcc_lo, 0, v33, vcc_lo
	s_delay_alu instid0(VALU_DEP_2) | instskip(NEXT) | instid1(VALU_DEP_2)
	v_add_co_u32 v2, vcc_lo, v2, v32
	v_add_co_ci_u32_e32 v18, vcc_lo, 0, v15, vcc_lo
	s_delay_alu instid0(VALU_DEP_2) | instskip(SKIP_1) | instid1(VALU_DEP_3)
	v_mul_lo_u32 v19, s67, v2
	v_mad_u64_u32 v[15:16], null, s66, v2, 0
	v_mul_lo_u32 v32, s66, v18
	s_delay_alu instid0(VALU_DEP_2) | instskip(NEXT) | instid1(VALU_DEP_2)
	v_sub_co_u32 v15, vcc_lo, v34, v15
	v_add3_u32 v16, v16, v32, v19
	s_delay_alu instid0(VALU_DEP_1) | instskip(NEXT) | instid1(VALU_DEP_1)
	v_sub_nc_u32_e32 v19, v21, v16
	v_subrev_co_ci_u32_e64 v19, s0, s67, v19, vcc_lo
	v_add_co_u32 v32, s0, v2, 2
	s_delay_alu instid0(VALU_DEP_1) | instskip(SKIP_3) | instid1(VALU_DEP_3)
	v_add_co_ci_u32_e64 v33, s0, 0, v18, s0
	v_sub_co_u32 v34, s0, v15, s66
	v_sub_co_ci_u32_e32 v16, vcc_lo, v21, v16, vcc_lo
	v_subrev_co_ci_u32_e64 v19, s0, 0, v19, s0
	v_cmp_le_u32_e32 vcc_lo, s66, v34
	s_delay_alu instid0(VALU_DEP_3) | instskip(SKIP_1) | instid1(VALU_DEP_4)
	v_cmp_eq_u32_e64 s0, s67, v16
	v_cndmask_b32_e64 v21, 0, -1, vcc_lo
	v_cmp_le_u32_e32 vcc_lo, s67, v19
	v_cndmask_b32_e64 v34, 0, -1, vcc_lo
	v_cmp_le_u32_e32 vcc_lo, s66, v15
	;; [unrolled: 2-line block ×3, first 2 shown]
	v_cndmask_b32_e64 v35, 0, -1, vcc_lo
	v_cmp_eq_u32_e32 vcc_lo, s67, v19
	s_delay_alu instid0(VALU_DEP_2) | instskip(SKIP_3) | instid1(VALU_DEP_3)
	v_cndmask_b32_e64 v15, v35, v15, s0
	v_cndmask_b32_e32 v19, v34, v21, vcc_lo
	v_add_co_u32 v21, vcc_lo, v2, 1
	v_add_co_ci_u32_e32 v34, vcc_lo, 0, v18, vcc_lo
	v_cmp_ne_u32_e32 vcc_lo, 0, v19
	s_delay_alu instid0(VALU_DEP_2) | instskip(SKIP_1) | instid1(VALU_DEP_2)
	v_dual_cndmask_b32 v16, v34, v33 :: v_dual_cndmask_b32 v19, v21, v32
	v_cmp_ne_u32_e32 vcc_lo, 0, v15
	v_cndmask_b32_e32 v15, v18, v16, vcc_lo
	s_delay_alu instid0(VALU_DEP_3) | instskip(NEXT) | instid1(VALU_DEP_2)
	v_cndmask_b32_e32 v2, v2, v19, vcc_lo
                                        ; implicit-def: $vgpr19
	v_xor_b32_e32 v16, v15, v17
	s_delay_alu instid0(VALU_DEP_2) | instskip(NEXT) | instid1(VALU_DEP_1)
	v_xor_b32_e32 v2, v2, v17
	v_sub_co_u32 v15, vcc_lo, v2, v17
	s_delay_alu instid0(VALU_DEP_3)
	v_sub_co_ci_u32_e32 v16, vcc_lo, v16, v17, vcc_lo
.LBB27_29:                              ;   in Loop: Header=BB27_3 Depth=1
	s_and_not1_saveexec_b32 s0, s84
	s_cbranch_execz .LBB27_31
; %bb.30:                               ;   in Loop: Header=BB27_3 Depth=1
	v_rcp_iflag_f32_e32 v2, v31
	s_sub_i32 s64, 0, s46
	s_waitcnt_depctr 0xfff
	v_mul_f32_e32 v2, 0x4f7ffffe, v2
	s_delay_alu instid0(VALU_DEP_1) | instskip(NEXT) | instid1(VALU_DEP_1)
	v_cvt_u32_f32_e32 v2, v2
	v_mul_lo_u32 v15, s64, v2
	s_delay_alu instid0(VALU_DEP_1) | instskip(NEXT) | instid1(VALU_DEP_1)
	v_mul_hi_u32 v15, v2, v15
	v_add_nc_u32_e32 v2, v2, v15
	s_delay_alu instid0(VALU_DEP_1) | instskip(NEXT) | instid1(VALU_DEP_1)
	v_mul_hi_u32 v2, v19, v2
	v_mul_lo_u32 v15, v2, s46
	v_add_nc_u32_e32 v16, 1, v2
	s_delay_alu instid0(VALU_DEP_2) | instskip(NEXT) | instid1(VALU_DEP_1)
	v_sub_nc_u32_e32 v15, v19, v15
	v_subrev_nc_u32_e32 v17, s46, v15
	v_cmp_le_u32_e32 vcc_lo, s46, v15
	s_delay_alu instid0(VALU_DEP_2) | instskip(NEXT) | instid1(VALU_DEP_1)
	v_dual_cndmask_b32 v15, v15, v17 :: v_dual_cndmask_b32 v2, v2, v16
	v_cmp_le_u32_e32 vcc_lo, s46, v15
	s_delay_alu instid0(VALU_DEP_2) | instskip(NEXT) | instid1(VALU_DEP_1)
	v_add_nc_u32_e32 v16, 1, v2
	v_dual_cndmask_b32 v15, v2, v16 :: v_dual_mov_b32 v16, v1
.LBB27_31:                              ;   in Loop: Header=BB27_3 Depth=1
	s_or_b32 exec_lo, exec_lo, s0
	v_or_b32_e32 v2, s47, v24
                                        ; implicit-def: $vgpr17_vgpr18
	s_mov_b32 s0, exec_lo
	s_delay_alu instid0(VALU_DEP_1)
	v_cmpx_ne_u64_e32 0, v[1:2]
	s_xor_b32 s84, exec_lo, s0
	s_cbranch_execz .LBB27_33
; %bb.32:                               ;   in Loop: Header=BB27_3 Depth=1
	s_ashr_i32 s64, s47, 31
	s_delay_alu instid0(SALU_CYCLE_1) | instskip(SKIP_2) | instid1(SALU_CYCLE_1)
	s_add_u32 s66, s46, s64
	s_mov_b32 s65, s64
	s_addc_u32 s67, s47, s64
	s_xor_b64 s[66:67], s[66:67], s[64:65]
	s_delay_alu instid0(SALU_CYCLE_1) | instskip(SKIP_3) | instid1(VALU_DEP_1)
	v_cvt_f32_u32_e32 v2, s66
	v_cvt_f32_u32_e32 v17, s67
	s_sub_u32 s0, 0, s66
	s_subb_u32 s65, 0, s67
	v_fmac_f32_e32 v2, 0x4f800000, v17
	s_delay_alu instid0(VALU_DEP_1) | instskip(SKIP_2) | instid1(VALU_DEP_1)
	v_rcp_f32_e32 v2, v2
	s_waitcnt_depctr 0xfff
	v_mul_f32_e32 v2, 0x5f7ffffc, v2
	v_mul_f32_e32 v17, 0x2f800000, v2
	s_delay_alu instid0(VALU_DEP_1) | instskip(NEXT) | instid1(VALU_DEP_1)
	v_trunc_f32_e32 v17, v17
	v_fmac_f32_e32 v2, 0xcf800000, v17
	v_cvt_u32_f32_e32 v17, v17
	s_delay_alu instid0(VALU_DEP_2) | instskip(NEXT) | instid1(VALU_DEP_2)
	v_cvt_u32_f32_e32 v2, v2
	v_mul_lo_u32 v18, s0, v17
	s_delay_alu instid0(VALU_DEP_2) | instskip(SKIP_1) | instid1(VALU_DEP_2)
	v_mul_hi_u32 v19, s0, v2
	v_mul_lo_u32 v21, s65, v2
	v_add_nc_u32_e32 v18, v19, v18
	v_mul_lo_u32 v19, s0, v2
	s_delay_alu instid0(VALU_DEP_2) | instskip(NEXT) | instid1(VALU_DEP_2)
	v_add_nc_u32_e32 v18, v18, v21
	v_mul_hi_u32 v21, v2, v19
	s_delay_alu instid0(VALU_DEP_2)
	v_mul_lo_u32 v32, v2, v18
	v_mul_hi_u32 v33, v2, v18
	v_mul_hi_u32 v34, v17, v19
	v_mul_lo_u32 v19, v17, v19
	v_mul_hi_u32 v35, v17, v18
	v_mul_lo_u32 v18, v17, v18
	v_add_co_u32 v21, vcc_lo, v21, v32
	v_add_co_ci_u32_e32 v32, vcc_lo, 0, v33, vcc_lo
	s_delay_alu instid0(VALU_DEP_2) | instskip(NEXT) | instid1(VALU_DEP_2)
	v_add_co_u32 v19, vcc_lo, v21, v19
	v_add_co_ci_u32_e32 v19, vcc_lo, v32, v34, vcc_lo
	v_add_co_ci_u32_e32 v21, vcc_lo, 0, v35, vcc_lo
	s_delay_alu instid0(VALU_DEP_2) | instskip(NEXT) | instid1(VALU_DEP_2)
	v_add_co_u32 v18, vcc_lo, v19, v18
	v_add_co_ci_u32_e32 v19, vcc_lo, 0, v21, vcc_lo
	s_delay_alu instid0(VALU_DEP_2) | instskip(NEXT) | instid1(VALU_DEP_2)
	v_add_co_u32 v2, vcc_lo, v2, v18
	v_add_co_ci_u32_e32 v17, vcc_lo, v17, v19, vcc_lo
	s_delay_alu instid0(VALU_DEP_2) | instskip(SKIP_1) | instid1(VALU_DEP_3)
	v_mul_hi_u32 v18, s0, v2
	v_mul_lo_u32 v21, s65, v2
	v_mul_lo_u32 v19, s0, v17
	s_delay_alu instid0(VALU_DEP_1) | instskip(SKIP_1) | instid1(VALU_DEP_2)
	v_add_nc_u32_e32 v18, v18, v19
	v_mul_lo_u32 v19, s0, v2
	v_add_nc_u32_e32 v18, v18, v21
	s_delay_alu instid0(VALU_DEP_2) | instskip(NEXT) | instid1(VALU_DEP_2)
	v_mul_hi_u32 v21, v2, v19
	v_mul_lo_u32 v32, v2, v18
	v_mul_hi_u32 v33, v2, v18
	v_mul_hi_u32 v34, v17, v19
	v_mul_lo_u32 v19, v17, v19
	v_mul_hi_u32 v35, v17, v18
	v_mul_lo_u32 v18, v17, v18
	v_add_co_u32 v21, vcc_lo, v21, v32
	v_add_co_ci_u32_e32 v32, vcc_lo, 0, v33, vcc_lo
	s_delay_alu instid0(VALU_DEP_2) | instskip(NEXT) | instid1(VALU_DEP_2)
	v_add_co_u32 v19, vcc_lo, v21, v19
	v_add_co_ci_u32_e32 v19, vcc_lo, v32, v34, vcc_lo
	v_add_co_ci_u32_e32 v21, vcc_lo, 0, v35, vcc_lo
	v_add_co_u32 v23, vcc_lo, v23, v20
	v_add_co_ci_u32_e32 v24, vcc_lo, v24, v20, vcc_lo
	s_delay_alu instid0(VALU_DEP_4) | instskip(NEXT) | instid1(VALU_DEP_4)
	v_add_co_u32 v18, vcc_lo, v19, v18
	v_add_co_ci_u32_e32 v19, vcc_lo, 0, v21, vcc_lo
	s_delay_alu instid0(VALU_DEP_4) | instskip(NEXT) | instid1(VALU_DEP_3)
	v_xor_b32_e32 v21, v23, v20
	v_add_co_u32 v2, vcc_lo, v2, v18
	s_delay_alu instid0(VALU_DEP_3) | instskip(SKIP_1) | instid1(VALU_DEP_3)
	v_add_co_ci_u32_e32 v19, vcc_lo, v17, v19, vcc_lo
	v_xor_b32_e32 v34, v24, v20
	v_mul_hi_u32 v35, v21, v2
	v_xor_b32_e32 v20, s64, v20
	s_delay_alu instid0(VALU_DEP_4) | instskip(NEXT) | instid1(VALU_DEP_4)
	v_mad_u64_u32 v[17:18], null, v21, v19, 0
	v_mad_u64_u32 v[23:24], null, v34, v2, 0
	v_mad_u64_u32 v[32:33], null, v34, v19, 0
	s_delay_alu instid0(VALU_DEP_3) | instskip(NEXT) | instid1(VALU_DEP_4)
	v_add_co_u32 v2, vcc_lo, v35, v17
	v_add_co_ci_u32_e32 v17, vcc_lo, 0, v18, vcc_lo
	s_delay_alu instid0(VALU_DEP_2) | instskip(NEXT) | instid1(VALU_DEP_2)
	v_add_co_u32 v2, vcc_lo, v2, v23
	v_add_co_ci_u32_e32 v2, vcc_lo, v17, v24, vcc_lo
	v_add_co_ci_u32_e32 v17, vcc_lo, 0, v33, vcc_lo
	s_delay_alu instid0(VALU_DEP_2) | instskip(NEXT) | instid1(VALU_DEP_2)
	v_add_co_u32 v2, vcc_lo, v2, v32
	v_add_co_ci_u32_e32 v19, vcc_lo, 0, v17, vcc_lo
	s_delay_alu instid0(VALU_DEP_2) | instskip(SKIP_1) | instid1(VALU_DEP_3)
	v_mul_lo_u32 v23, s67, v2
	v_mad_u64_u32 v[17:18], null, s66, v2, 0
	v_mul_lo_u32 v24, s66, v19
	s_delay_alu instid0(VALU_DEP_2) | instskip(NEXT) | instid1(VALU_DEP_2)
	v_sub_co_u32 v17, vcc_lo, v21, v17
	v_add3_u32 v18, v18, v24, v23
	s_delay_alu instid0(VALU_DEP_1) | instskip(NEXT) | instid1(VALU_DEP_1)
	v_sub_nc_u32_e32 v23, v34, v18
	v_subrev_co_ci_u32_e64 v21, s0, s67, v23, vcc_lo
	v_add_co_u32 v23, s0, v2, 2
	s_delay_alu instid0(VALU_DEP_1) | instskip(SKIP_3) | instid1(VALU_DEP_3)
	v_add_co_ci_u32_e64 v24, s0, 0, v19, s0
	v_sub_co_u32 v32, s0, v17, s66
	v_sub_co_ci_u32_e32 v18, vcc_lo, v34, v18, vcc_lo
	v_subrev_co_ci_u32_e64 v21, s0, 0, v21, s0
	v_cmp_le_u32_e32 vcc_lo, s66, v32
	s_delay_alu instid0(VALU_DEP_3) | instskip(SKIP_1) | instid1(VALU_DEP_4)
	v_cmp_eq_u32_e64 s0, s67, v18
	v_cndmask_b32_e64 v32, 0, -1, vcc_lo
	v_cmp_le_u32_e32 vcc_lo, s67, v21
	v_cndmask_b32_e64 v33, 0, -1, vcc_lo
	v_cmp_le_u32_e32 vcc_lo, s66, v17
	;; [unrolled: 2-line block ×3, first 2 shown]
	v_cndmask_b32_e64 v34, 0, -1, vcc_lo
	v_cmp_eq_u32_e32 vcc_lo, s67, v21
	s_delay_alu instid0(VALU_DEP_2) | instskip(SKIP_3) | instid1(VALU_DEP_3)
	v_cndmask_b32_e64 v17, v34, v17, s0
	v_cndmask_b32_e32 v21, v33, v32, vcc_lo
	v_add_co_u32 v32, vcc_lo, v2, 1
	v_add_co_ci_u32_e32 v33, vcc_lo, 0, v19, vcc_lo
	v_cmp_ne_u32_e32 vcc_lo, 0, v21
	s_delay_alu instid0(VALU_DEP_2) | instskip(SKIP_1) | instid1(VALU_DEP_2)
	v_dual_cndmask_b32 v18, v33, v24 :: v_dual_cndmask_b32 v21, v32, v23
	v_cmp_ne_u32_e32 vcc_lo, 0, v17
                                        ; implicit-def: $vgpr23
	v_dual_cndmask_b32 v17, v19, v18 :: v_dual_cndmask_b32 v2, v2, v21
	s_delay_alu instid0(VALU_DEP_1) | instskip(NEXT) | instid1(VALU_DEP_2)
	v_xor_b32_e32 v18, v17, v20
	v_xor_b32_e32 v2, v2, v20
	s_delay_alu instid0(VALU_DEP_1) | instskip(NEXT) | instid1(VALU_DEP_3)
	v_sub_co_u32 v17, vcc_lo, v2, v20
	v_sub_co_ci_u32_e32 v18, vcc_lo, v18, v20, vcc_lo
.LBB27_33:                              ;   in Loop: Header=BB27_3 Depth=1
	s_and_not1_saveexec_b32 s0, s84
	s_cbranch_execz .LBB27_35
; %bb.34:                               ;   in Loop: Header=BB27_3 Depth=1
	v_rcp_iflag_f32_e32 v2, v31
	s_sub_i32 s64, 0, s46
	s_waitcnt_depctr 0xfff
	v_mul_f32_e32 v2, 0x4f7ffffe, v2
	s_delay_alu instid0(VALU_DEP_1) | instskip(NEXT) | instid1(VALU_DEP_1)
	v_cvt_u32_f32_e32 v2, v2
	v_mul_lo_u32 v17, s64, v2
	s_delay_alu instid0(VALU_DEP_1) | instskip(NEXT) | instid1(VALU_DEP_1)
	v_mul_hi_u32 v17, v2, v17
	v_add_nc_u32_e32 v2, v2, v17
	s_delay_alu instid0(VALU_DEP_1) | instskip(NEXT) | instid1(VALU_DEP_1)
	v_mul_hi_u32 v2, v23, v2
	v_mul_lo_u32 v17, v2, s46
	v_add_nc_u32_e32 v18, 1, v2
	s_delay_alu instid0(VALU_DEP_2) | instskip(NEXT) | instid1(VALU_DEP_1)
	v_sub_nc_u32_e32 v17, v23, v17
	v_subrev_nc_u32_e32 v19, s46, v17
	v_cmp_le_u32_e32 vcc_lo, s46, v17
	s_delay_alu instid0(VALU_DEP_2) | instskip(NEXT) | instid1(VALU_DEP_1)
	v_dual_cndmask_b32 v17, v17, v19 :: v_dual_cndmask_b32 v2, v2, v18
	v_cmp_le_u32_e32 vcc_lo, s46, v17
	s_delay_alu instid0(VALU_DEP_2) | instskip(NEXT) | instid1(VALU_DEP_1)
	v_add_nc_u32_e32 v18, 1, v2
	v_dual_cndmask_b32 v17, v2, v18 :: v_dual_mov_b32 v18, v1
.LBB27_35:                              ;   in Loop: Header=BB27_3 Depth=1
	s_or_b32 exec_lo, exec_lo, s0
	v_or_b32_e32 v2, s47, v30
                                        ; implicit-def: $vgpr19_vgpr20
	s_mov_b32 s0, exec_lo
	s_delay_alu instid0(VALU_DEP_1)
	v_cmpx_ne_u64_e32 0, v[1:2]
	s_xor_b32 s84, exec_lo, s0
	s_cbranch_execz .LBB27_37
; %bb.36:                               ;   in Loop: Header=BB27_3 Depth=1
	s_ashr_i32 s64, s47, 31
	s_delay_alu instid0(SALU_CYCLE_1) | instskip(SKIP_2) | instid1(SALU_CYCLE_1)
	s_add_u32 s66, s46, s64
	s_mov_b32 s65, s64
	s_addc_u32 s67, s47, s64
	s_xor_b64 s[66:67], s[66:67], s[64:65]
	s_delay_alu instid0(SALU_CYCLE_1) | instskip(SKIP_3) | instid1(VALU_DEP_1)
	v_cvt_f32_u32_e32 v2, s66
	v_cvt_f32_u32_e32 v19, s67
	s_sub_u32 s0, 0, s66
	s_subb_u32 s65, 0, s67
	v_fmac_f32_e32 v2, 0x4f800000, v19
	s_delay_alu instid0(VALU_DEP_1) | instskip(SKIP_2) | instid1(VALU_DEP_1)
	v_rcp_f32_e32 v2, v2
	s_waitcnt_depctr 0xfff
	v_mul_f32_e32 v2, 0x5f7ffffc, v2
	v_mul_f32_e32 v19, 0x2f800000, v2
	s_delay_alu instid0(VALU_DEP_1) | instskip(NEXT) | instid1(VALU_DEP_1)
	v_trunc_f32_e32 v19, v19
	v_fmac_f32_e32 v2, 0xcf800000, v19
	v_cvt_u32_f32_e32 v19, v19
	s_delay_alu instid0(VALU_DEP_2) | instskip(NEXT) | instid1(VALU_DEP_2)
	v_cvt_u32_f32_e32 v2, v2
	v_mul_lo_u32 v20, s0, v19
	s_delay_alu instid0(VALU_DEP_2) | instskip(SKIP_1) | instid1(VALU_DEP_2)
	v_mul_hi_u32 v21, s0, v2
	v_mul_lo_u32 v23, s65, v2
	v_add_nc_u32_e32 v20, v21, v20
	v_mul_lo_u32 v21, s0, v2
	s_delay_alu instid0(VALU_DEP_2) | instskip(NEXT) | instid1(VALU_DEP_2)
	v_add_nc_u32_e32 v20, v20, v23
	v_mul_hi_u32 v23, v2, v21
	s_delay_alu instid0(VALU_DEP_2)
	v_mul_lo_u32 v24, v2, v20
	v_mul_hi_u32 v31, v2, v20
	v_mul_hi_u32 v32, v19, v21
	v_mul_lo_u32 v21, v19, v21
	v_mul_hi_u32 v33, v19, v20
	v_mul_lo_u32 v20, v19, v20
	v_add_co_u32 v23, vcc_lo, v23, v24
	v_add_co_ci_u32_e32 v24, vcc_lo, 0, v31, vcc_lo
	s_delay_alu instid0(VALU_DEP_2) | instskip(NEXT) | instid1(VALU_DEP_2)
	v_add_co_u32 v21, vcc_lo, v23, v21
	v_add_co_ci_u32_e32 v21, vcc_lo, v24, v32, vcc_lo
	v_add_co_ci_u32_e32 v23, vcc_lo, 0, v33, vcc_lo
	s_delay_alu instid0(VALU_DEP_2) | instskip(NEXT) | instid1(VALU_DEP_2)
	v_add_co_u32 v20, vcc_lo, v21, v20
	v_add_co_ci_u32_e32 v21, vcc_lo, 0, v23, vcc_lo
	s_delay_alu instid0(VALU_DEP_2) | instskip(NEXT) | instid1(VALU_DEP_2)
	v_add_co_u32 v2, vcc_lo, v2, v20
	v_add_co_ci_u32_e32 v19, vcc_lo, v19, v21, vcc_lo
	s_delay_alu instid0(VALU_DEP_2) | instskip(SKIP_1) | instid1(VALU_DEP_3)
	v_mul_hi_u32 v20, s0, v2
	v_mul_lo_u32 v23, s65, v2
	v_mul_lo_u32 v21, s0, v19
	s_delay_alu instid0(VALU_DEP_1) | instskip(SKIP_1) | instid1(VALU_DEP_2)
	v_add_nc_u32_e32 v20, v20, v21
	v_mul_lo_u32 v21, s0, v2
	v_add_nc_u32_e32 v20, v20, v23
	s_delay_alu instid0(VALU_DEP_2) | instskip(NEXT) | instid1(VALU_DEP_2)
	v_mul_hi_u32 v23, v2, v21
	v_mul_lo_u32 v24, v2, v20
	v_mul_hi_u32 v31, v2, v20
	v_mul_hi_u32 v32, v19, v21
	v_mul_lo_u32 v21, v19, v21
	v_mul_hi_u32 v33, v19, v20
	v_mul_lo_u32 v20, v19, v20
	v_add_co_u32 v23, vcc_lo, v23, v24
	v_add_co_ci_u32_e32 v24, vcc_lo, 0, v31, vcc_lo
	s_delay_alu instid0(VALU_DEP_2) | instskip(NEXT) | instid1(VALU_DEP_2)
	v_add_co_u32 v21, vcc_lo, v23, v21
	v_add_co_ci_u32_e32 v21, vcc_lo, v24, v32, vcc_lo
	v_add_co_ci_u32_e32 v23, vcc_lo, 0, v33, vcc_lo
	v_add_co_u32 v24, vcc_lo, v29, v22
	v_add_co_ci_u32_e32 v29, vcc_lo, v30, v22, vcc_lo
	s_delay_alu instid0(VALU_DEP_4) | instskip(NEXT) | instid1(VALU_DEP_4)
	v_add_co_u32 v20, vcc_lo, v21, v20
	v_add_co_ci_u32_e32 v21, vcc_lo, 0, v23, vcc_lo
	s_delay_alu instid0(VALU_DEP_4) | instskip(NEXT) | instid1(VALU_DEP_3)
	v_xor_b32_e32 v31, v24, v22
	v_add_co_u32 v2, vcc_lo, v2, v20
	s_delay_alu instid0(VALU_DEP_3) | instskip(SKIP_1) | instid1(VALU_DEP_3)
	v_add_co_ci_u32_e32 v21, vcc_lo, v19, v21, vcc_lo
	v_xor_b32_e32 v32, v29, v22
	v_mul_hi_u32 v33, v31, v2
	v_xor_b32_e32 v22, s64, v22
	s_delay_alu instid0(VALU_DEP_4) | instskip(NEXT) | instid1(VALU_DEP_4)
	v_mad_u64_u32 v[19:20], null, v31, v21, 0
	v_mad_u64_u32 v[23:24], null, v32, v2, 0
	;; [unrolled: 1-line block ×3, first 2 shown]
	s_delay_alu instid0(VALU_DEP_3) | instskip(NEXT) | instid1(VALU_DEP_4)
	v_add_co_u32 v2, vcc_lo, v33, v19
	v_add_co_ci_u32_e32 v19, vcc_lo, 0, v20, vcc_lo
	s_delay_alu instid0(VALU_DEP_2) | instskip(NEXT) | instid1(VALU_DEP_2)
	v_add_co_u32 v2, vcc_lo, v2, v23
	v_add_co_ci_u32_e32 v2, vcc_lo, v19, v24, vcc_lo
	v_add_co_ci_u32_e32 v19, vcc_lo, 0, v30, vcc_lo
	s_delay_alu instid0(VALU_DEP_2) | instskip(NEXT) | instid1(VALU_DEP_2)
	v_add_co_u32 v2, vcc_lo, v2, v29
	v_add_co_ci_u32_e32 v21, vcc_lo, 0, v19, vcc_lo
	s_delay_alu instid0(VALU_DEP_2) | instskip(SKIP_1) | instid1(VALU_DEP_3)
	v_mul_lo_u32 v23, s67, v2
	v_mad_u64_u32 v[19:20], null, s66, v2, 0
	v_mul_lo_u32 v24, s66, v21
	s_delay_alu instid0(VALU_DEP_2) | instskip(NEXT) | instid1(VALU_DEP_2)
	v_sub_co_u32 v19, vcc_lo, v31, v19
	v_add3_u32 v20, v20, v24, v23
	s_delay_alu instid0(VALU_DEP_1) | instskip(NEXT) | instid1(VALU_DEP_1)
	v_sub_nc_u32_e32 v23, v32, v20
	v_subrev_co_ci_u32_e64 v23, s0, s67, v23, vcc_lo
	v_add_co_u32 v24, s0, v2, 2
	s_delay_alu instid0(VALU_DEP_1) | instskip(SKIP_3) | instid1(VALU_DEP_3)
	v_add_co_ci_u32_e64 v29, s0, 0, v21, s0
	v_sub_co_u32 v30, s0, v19, s66
	v_sub_co_ci_u32_e32 v20, vcc_lo, v32, v20, vcc_lo
	v_subrev_co_ci_u32_e64 v23, s0, 0, v23, s0
	v_cmp_le_u32_e32 vcc_lo, s66, v30
	s_delay_alu instid0(VALU_DEP_3) | instskip(SKIP_1) | instid1(VALU_DEP_4)
	v_cmp_eq_u32_e64 s0, s67, v20
	v_cndmask_b32_e64 v30, 0, -1, vcc_lo
	v_cmp_le_u32_e32 vcc_lo, s67, v23
	v_cndmask_b32_e64 v31, 0, -1, vcc_lo
	v_cmp_le_u32_e32 vcc_lo, s66, v19
	;; [unrolled: 2-line block ×3, first 2 shown]
	v_cndmask_b32_e64 v32, 0, -1, vcc_lo
	v_cmp_eq_u32_e32 vcc_lo, s67, v23
	s_delay_alu instid0(VALU_DEP_2) | instskip(SKIP_3) | instid1(VALU_DEP_3)
	v_cndmask_b32_e64 v19, v32, v19, s0
	v_cndmask_b32_e32 v23, v31, v30, vcc_lo
	v_add_co_u32 v30, vcc_lo, v2, 1
	v_add_co_ci_u32_e32 v31, vcc_lo, 0, v21, vcc_lo
	v_cmp_ne_u32_e32 vcc_lo, 0, v23
	s_delay_alu instid0(VALU_DEP_2) | instskip(SKIP_1) | instid1(VALU_DEP_2)
	v_dual_cndmask_b32 v20, v31, v29 :: v_dual_cndmask_b32 v23, v30, v24
	v_cmp_ne_u32_e32 vcc_lo, 0, v19
                                        ; implicit-def: $vgpr31
                                        ; implicit-def: $vgpr29
	v_dual_cndmask_b32 v19, v21, v20 :: v_dual_cndmask_b32 v2, v2, v23
	s_delay_alu instid0(VALU_DEP_1) | instskip(NEXT) | instid1(VALU_DEP_2)
	v_xor_b32_e32 v20, v19, v22
	v_xor_b32_e32 v2, v2, v22
	s_delay_alu instid0(VALU_DEP_1) | instskip(NEXT) | instid1(VALU_DEP_3)
	v_sub_co_u32 v19, vcc_lo, v2, v22
	v_sub_co_ci_u32_e32 v20, vcc_lo, v20, v22, vcc_lo
.LBB27_37:                              ;   in Loop: Header=BB27_3 Depth=1
	s_and_not1_saveexec_b32 s0, s84
	s_cbranch_execz .LBB27_39
; %bb.38:                               ;   in Loop: Header=BB27_3 Depth=1
	v_rcp_iflag_f32_e32 v2, v31
	s_sub_i32 s64, 0, s46
	s_waitcnt_depctr 0xfff
	v_mul_f32_e32 v2, 0x4f7ffffe, v2
	s_delay_alu instid0(VALU_DEP_1) | instskip(NEXT) | instid1(VALU_DEP_1)
	v_cvt_u32_f32_e32 v2, v2
	v_mul_lo_u32 v19, s64, v2
	s_delay_alu instid0(VALU_DEP_1) | instskip(NEXT) | instid1(VALU_DEP_1)
	v_mul_hi_u32 v19, v2, v19
	v_add_nc_u32_e32 v2, v2, v19
	s_delay_alu instid0(VALU_DEP_1) | instskip(NEXT) | instid1(VALU_DEP_1)
	v_mul_hi_u32 v2, v29, v2
	v_mul_lo_u32 v19, v2, s46
	v_add_nc_u32_e32 v20, 1, v2
	s_delay_alu instid0(VALU_DEP_2) | instskip(NEXT) | instid1(VALU_DEP_1)
	v_sub_nc_u32_e32 v19, v29, v19
	v_subrev_nc_u32_e32 v21, s46, v19
	v_cmp_le_u32_e32 vcc_lo, s46, v19
	s_delay_alu instid0(VALU_DEP_2) | instskip(NEXT) | instid1(VALU_DEP_1)
	v_dual_cndmask_b32 v19, v19, v21 :: v_dual_cndmask_b32 v2, v2, v20
	v_cmp_le_u32_e32 vcc_lo, s46, v19
	s_delay_alu instid0(VALU_DEP_2) | instskip(NEXT) | instid1(VALU_DEP_1)
	v_add_nc_u32_e32 v20, 1, v2
	v_dual_cndmask_b32 v19, v2, v20 :: v_dual_mov_b32 v20, v1
.LBB27_39:                              ;   in Loop: Header=BB27_3 Depth=1
	s_or_b32 exec_lo, exec_lo, s0
	v_or_b32_e32 v2, s51, v4
                                        ; implicit-def: $vgpr21_vgpr22
	s_mov_b32 s0, exec_lo
	s_delay_alu instid0(VALU_DEP_1)
	v_cmpx_ne_u64_e32 0, v[1:2]
	s_xor_b32 s84, exec_lo, s0
	s_cbranch_execz .LBB27_41
; %bb.40:                               ;   in Loop: Header=BB27_3 Depth=1
	s_ashr_i32 s64, s51, 31
	s_delay_alu instid0(SALU_CYCLE_1) | instskip(SKIP_2) | instid1(SALU_CYCLE_1)
	s_add_u32 s66, s50, s64
	s_mov_b32 s65, s64
	s_addc_u32 s67, s51, s64
	s_xor_b64 s[66:67], s[66:67], s[64:65]
	s_delay_alu instid0(SALU_CYCLE_1) | instskip(SKIP_3) | instid1(VALU_DEP_1)
	v_cvt_f32_u32_e32 v2, s66
	v_cvt_f32_u32_e32 v21, s67
	s_sub_u32 s0, 0, s66
	s_subb_u32 s65, 0, s67
	v_fmac_f32_e32 v2, 0x4f800000, v21
	s_delay_alu instid0(VALU_DEP_1) | instskip(SKIP_2) | instid1(VALU_DEP_1)
	v_rcp_f32_e32 v2, v2
	s_waitcnt_depctr 0xfff
	v_mul_f32_e32 v2, 0x5f7ffffc, v2
	v_mul_f32_e32 v21, 0x2f800000, v2
	s_delay_alu instid0(VALU_DEP_1) | instskip(NEXT) | instid1(VALU_DEP_1)
	v_trunc_f32_e32 v21, v21
	v_fmac_f32_e32 v2, 0xcf800000, v21
	v_cvt_u32_f32_e32 v21, v21
	s_delay_alu instid0(VALU_DEP_2) | instskip(NEXT) | instid1(VALU_DEP_2)
	v_cvt_u32_f32_e32 v2, v2
	v_mul_lo_u32 v22, s0, v21
	s_delay_alu instid0(VALU_DEP_2) | instskip(SKIP_1) | instid1(VALU_DEP_2)
	v_mul_hi_u32 v23, s0, v2
	v_mul_lo_u32 v24, s65, v2
	v_add_nc_u32_e32 v22, v23, v22
	v_mul_lo_u32 v23, s0, v2
	s_delay_alu instid0(VALU_DEP_2) | instskip(NEXT) | instid1(VALU_DEP_2)
	v_add_nc_u32_e32 v22, v22, v24
	v_mul_hi_u32 v24, v2, v23
	s_delay_alu instid0(VALU_DEP_2)
	v_mul_lo_u32 v29, v2, v22
	v_mul_hi_u32 v30, v2, v22
	v_mul_hi_u32 v31, v21, v23
	v_mul_lo_u32 v23, v21, v23
	v_mul_hi_u32 v32, v21, v22
	v_mul_lo_u32 v22, v21, v22
	v_add_co_u32 v24, vcc_lo, v24, v29
	v_add_co_ci_u32_e32 v29, vcc_lo, 0, v30, vcc_lo
	s_delay_alu instid0(VALU_DEP_2) | instskip(NEXT) | instid1(VALU_DEP_2)
	v_add_co_u32 v23, vcc_lo, v24, v23
	v_add_co_ci_u32_e32 v23, vcc_lo, v29, v31, vcc_lo
	v_add_co_ci_u32_e32 v24, vcc_lo, 0, v32, vcc_lo
	v_ashrrev_i32_e32 v31, 31, v4
	s_delay_alu instid0(VALU_DEP_3) | instskip(NEXT) | instid1(VALU_DEP_3)
	v_add_co_u32 v22, vcc_lo, v23, v22
	v_add_co_ci_u32_e32 v23, vcc_lo, 0, v24, vcc_lo
	s_delay_alu instid0(VALU_DEP_2) | instskip(NEXT) | instid1(VALU_DEP_2)
	v_add_co_u32 v2, vcc_lo, v2, v22
	v_add_co_ci_u32_e32 v21, vcc_lo, v21, v23, vcc_lo
	s_delay_alu instid0(VALU_DEP_2) | instskip(SKIP_1) | instid1(VALU_DEP_3)
	v_mul_hi_u32 v22, s0, v2
	v_mul_lo_u32 v24, s65, v2
	v_mul_lo_u32 v23, s0, v21
	s_delay_alu instid0(VALU_DEP_1) | instskip(SKIP_1) | instid1(VALU_DEP_2)
	v_add_nc_u32_e32 v22, v22, v23
	v_mul_lo_u32 v23, s0, v2
	v_add_nc_u32_e32 v22, v22, v24
	s_delay_alu instid0(VALU_DEP_2) | instskip(NEXT) | instid1(VALU_DEP_2)
	v_mul_hi_u32 v24, v2, v23
	v_mul_lo_u32 v29, v2, v22
	v_mul_hi_u32 v30, v2, v22
	v_mul_hi_u32 v32, v21, v23
	v_mul_lo_u32 v23, v21, v23
	v_mul_hi_u32 v33, v21, v22
	v_mul_lo_u32 v22, v21, v22
	v_add_co_u32 v24, vcc_lo, v24, v29
	v_add_co_ci_u32_e32 v29, vcc_lo, 0, v30, vcc_lo
	s_delay_alu instid0(VALU_DEP_2) | instskip(NEXT) | instid1(VALU_DEP_2)
	v_add_co_u32 v23, vcc_lo, v24, v23
	v_add_co_ci_u32_e32 v23, vcc_lo, v29, v32, vcc_lo
	v_add_co_ci_u32_e32 v24, vcc_lo, 0, v33, vcc_lo
	v_add_co_u32 v29, vcc_lo, v3, v31
	v_add_co_ci_u32_e32 v30, vcc_lo, v4, v31, vcc_lo
	s_delay_alu instid0(VALU_DEP_4) | instskip(NEXT) | instid1(VALU_DEP_4)
	v_add_co_u32 v22, vcc_lo, v23, v22
	v_add_co_ci_u32_e32 v23, vcc_lo, 0, v24, vcc_lo
	s_delay_alu instid0(VALU_DEP_4) | instskip(NEXT) | instid1(VALU_DEP_3)
	v_xor_b32_e32 v32, v29, v31
	v_add_co_u32 v2, vcc_lo, v2, v22
	s_delay_alu instid0(VALU_DEP_3) | instskip(SKIP_1) | instid1(VALU_DEP_3)
	v_add_co_ci_u32_e32 v33, vcc_lo, v21, v23, vcc_lo
	v_xor_b32_e32 v34, v30, v31
	v_mul_hi_u32 v35, v32, v2
	s_delay_alu instid0(VALU_DEP_3) | instskip(NEXT) | instid1(VALU_DEP_3)
	v_mad_u64_u32 v[21:22], null, v32, v33, 0
	v_mad_u64_u32 v[23:24], null, v34, v2, 0
	v_mad_u64_u32 v[29:30], null, v34, v33, 0
	s_delay_alu instid0(VALU_DEP_3) | instskip(NEXT) | instid1(VALU_DEP_4)
	v_add_co_u32 v2, vcc_lo, v35, v21
	v_add_co_ci_u32_e32 v21, vcc_lo, 0, v22, vcc_lo
	s_delay_alu instid0(VALU_DEP_2) | instskip(NEXT) | instid1(VALU_DEP_2)
	v_add_co_u32 v2, vcc_lo, v2, v23
	v_add_co_ci_u32_e32 v2, vcc_lo, v21, v24, vcc_lo
	v_add_co_ci_u32_e32 v21, vcc_lo, 0, v30, vcc_lo
	s_delay_alu instid0(VALU_DEP_2) | instskip(NEXT) | instid1(VALU_DEP_2)
	v_add_co_u32 v2, vcc_lo, v2, v29
	v_add_co_ci_u32_e32 v23, vcc_lo, 0, v21, vcc_lo
	s_delay_alu instid0(VALU_DEP_2) | instskip(SKIP_1) | instid1(VALU_DEP_3)
	v_mul_lo_u32 v24, s67, v2
	v_mad_u64_u32 v[21:22], null, s66, v2, 0
	v_mul_lo_u32 v29, s66, v23
	s_delay_alu instid0(VALU_DEP_2) | instskip(NEXT) | instid1(VALU_DEP_2)
	v_sub_co_u32 v21, vcc_lo, v32, v21
	v_add3_u32 v22, v22, v29, v24
	s_delay_alu instid0(VALU_DEP_1) | instskip(NEXT) | instid1(VALU_DEP_1)
	v_sub_nc_u32_e32 v24, v34, v22
	v_subrev_co_ci_u32_e64 v24, s0, s67, v24, vcc_lo
	v_add_co_u32 v29, s0, v2, 2
	s_delay_alu instid0(VALU_DEP_1) | instskip(SKIP_3) | instid1(VALU_DEP_3)
	v_add_co_ci_u32_e64 v30, s0, 0, v23, s0
	v_sub_co_u32 v32, s0, v21, s66
	v_sub_co_ci_u32_e32 v22, vcc_lo, v34, v22, vcc_lo
	v_subrev_co_ci_u32_e64 v24, s0, 0, v24, s0
	v_cmp_le_u32_e32 vcc_lo, s66, v32
	s_delay_alu instid0(VALU_DEP_3) | instskip(SKIP_1) | instid1(VALU_DEP_4)
	v_cmp_eq_u32_e64 s0, s67, v22
	v_cndmask_b32_e64 v32, 0, -1, vcc_lo
	v_cmp_le_u32_e32 vcc_lo, s67, v24
	v_cndmask_b32_e64 v33, 0, -1, vcc_lo
	v_cmp_le_u32_e32 vcc_lo, s66, v21
	v_cndmask_b32_e64 v21, 0, -1, vcc_lo
	v_cmp_le_u32_e32 vcc_lo, s67, v22
	v_cndmask_b32_e64 v34, 0, -1, vcc_lo
	v_cmp_eq_u32_e32 vcc_lo, s67, v24
	s_delay_alu instid0(VALU_DEP_2) | instskip(SKIP_3) | instid1(VALU_DEP_3)
	v_cndmask_b32_e64 v21, v34, v21, s0
	v_cndmask_b32_e32 v24, v33, v32, vcc_lo
	v_add_co_u32 v32, vcc_lo, v2, 1
	v_add_co_ci_u32_e32 v33, vcc_lo, 0, v23, vcc_lo
	v_cmp_ne_u32_e32 vcc_lo, 0, v24
	s_delay_alu instid0(VALU_DEP_2) | instskip(NEXT) | instid1(VALU_DEP_4)
	v_cndmask_b32_e32 v22, v33, v30, vcc_lo
	v_cndmask_b32_e32 v24, v32, v29, vcc_lo
	v_cmp_ne_u32_e32 vcc_lo, 0, v21
	v_xor_b32_e32 v29, s64, v31
	s_delay_alu instid0(VALU_DEP_3) | instskip(NEXT) | instid1(VALU_DEP_1)
	v_dual_cndmask_b32 v2, v2, v24 :: v_dual_cndmask_b32 v21, v23, v22
	v_xor_b32_e32 v2, v2, v29
	s_delay_alu instid0(VALU_DEP_2) | instskip(NEXT) | instid1(VALU_DEP_2)
	v_xor_b32_e32 v22, v21, v29
	v_sub_co_u32 v21, vcc_lo, v2, v29
	s_delay_alu instid0(VALU_DEP_2)
	v_sub_co_ci_u32_e32 v22, vcc_lo, v22, v29, vcc_lo
.LBB27_41:                              ;   in Loop: Header=BB27_3 Depth=1
	s_and_not1_saveexec_b32 s0, s84
	s_cbranch_execz .LBB27_43
; %bb.42:                               ;   in Loop: Header=BB27_3 Depth=1
	v_cvt_f32_u32_e32 v2, s50
	s_sub_i32 s64, 0, s50
	s_delay_alu instid0(VALU_DEP_1) | instskip(SKIP_2) | instid1(VALU_DEP_1)
	v_rcp_iflag_f32_e32 v2, v2
	s_waitcnt_depctr 0xfff
	v_mul_f32_e32 v2, 0x4f7ffffe, v2
	v_cvt_u32_f32_e32 v2, v2
	s_delay_alu instid0(VALU_DEP_1) | instskip(NEXT) | instid1(VALU_DEP_1)
	v_mul_lo_u32 v21, s64, v2
	v_mul_hi_u32 v21, v2, v21
	s_delay_alu instid0(VALU_DEP_1) | instskip(NEXT) | instid1(VALU_DEP_1)
	v_add_nc_u32_e32 v2, v2, v21
	v_mul_hi_u32 v2, v3, v2
	s_delay_alu instid0(VALU_DEP_1) | instskip(SKIP_1) | instid1(VALU_DEP_2)
	v_mul_lo_u32 v21, v2, s50
	v_add_nc_u32_e32 v22, 1, v2
	v_sub_nc_u32_e32 v21, v3, v21
	s_delay_alu instid0(VALU_DEP_1) | instskip(SKIP_1) | instid1(VALU_DEP_2)
	v_subrev_nc_u32_e32 v23, s50, v21
	v_cmp_le_u32_e32 vcc_lo, s50, v21
	v_dual_cndmask_b32 v21, v21, v23 :: v_dual_cndmask_b32 v2, v2, v22
	s_delay_alu instid0(VALU_DEP_1) | instskip(NEXT) | instid1(VALU_DEP_2)
	v_cmp_le_u32_e32 vcc_lo, s50, v21
	v_add_nc_u32_e32 v22, 1, v2
	s_delay_alu instid0(VALU_DEP_1)
	v_dual_cndmask_b32 v21, v2, v22 :: v_dual_mov_b32 v22, v1
.LBB27_43:                              ;   in Loop: Header=BB27_3 Depth=1
	s_or_b32 exec_lo, exec_lo, s0
	s_delay_alu instid0(VALU_DEP_1) | instskip(NEXT) | instid1(VALU_DEP_2)
	v_mad_u64_u32 v[23:24], null, s72, v21, v[3:4]
	v_mul_lo_u32 v2, s72, v22
	v_mul_lo_u32 v29, s73, v21
	;; [unrolled: 1-line block ×4, first 2 shown]
	s_mov_b32 s0, exec_lo
	s_delay_alu instid0(VALU_DEP_3) | instskip(SKIP_3) | instid1(VALU_DEP_4)
	v_add3_u32 v2, v29, v24, v2
	v_mad_u64_u32 v[29:30], null, v21, s20, 0
	v_mul_lo_u32 v24, v23, s23
	v_mad_u64_u32 v[21:22], null, v23, s22, 0
	v_mul_lo_u32 v2, v2, s22
	s_delay_alu instid0(VALU_DEP_4) | instskip(NEXT) | instid1(VALU_DEP_2)
	v_add3_u32 v30, v30, v32, v31
	v_add3_u32 v22, v22, v24, v2
	s_delay_alu instid0(VALU_DEP_2) | instskip(NEXT) | instid1(VALU_DEP_2)
	v_lshlrev_b64 v[23:24], 1, v[29:30]
	v_lshlrev_b64 v[21:22], 1, v[21:22]
	s_delay_alu instid0(VALU_DEP_2) | instskip(NEXT) | instid1(VALU_DEP_3)
	v_add_co_u32 v2, vcc_lo, s48, v23
	v_add_co_ci_u32_e32 v23, vcc_lo, s49, v24, vcc_lo
	s_delay_alu instid0(VALU_DEP_2) | instskip(NEXT) | instid1(VALU_DEP_2)
	v_add_co_u32 v21, vcc_lo, v2, v21
	v_add_co_ci_u32_e32 v22, vcc_lo, v23, v22, vcc_lo
	v_or_b32_e32 v2, s55, v4
	global_load_u16 v29, v[21:22], off
                                        ; implicit-def: $vgpr21_vgpr22
	v_cmpx_ne_u64_e32 0, v[1:2]
	s_xor_b32 s84, exec_lo, s0
	s_cbranch_execz .LBB27_45
; %bb.44:                               ;   in Loop: Header=BB27_3 Depth=1
	s_ashr_i32 s64, s55, 31
	s_delay_alu instid0(SALU_CYCLE_1) | instskip(SKIP_2) | instid1(SALU_CYCLE_1)
	s_add_u32 s66, s54, s64
	s_mov_b32 s65, s64
	s_addc_u32 s67, s55, s64
	s_xor_b64 s[66:67], s[66:67], s[64:65]
	s_delay_alu instid0(SALU_CYCLE_1) | instskip(SKIP_3) | instid1(VALU_DEP_1)
	v_cvt_f32_u32_e32 v2, s66
	v_cvt_f32_u32_e32 v21, s67
	s_sub_u32 s0, 0, s66
	s_subb_u32 s65, 0, s67
	v_fmac_f32_e32 v2, 0x4f800000, v21
	s_delay_alu instid0(VALU_DEP_1) | instskip(SKIP_2) | instid1(VALU_DEP_1)
	v_rcp_f32_e32 v2, v2
	s_waitcnt_depctr 0xfff
	v_mul_f32_e32 v2, 0x5f7ffffc, v2
	v_mul_f32_e32 v21, 0x2f800000, v2
	s_delay_alu instid0(VALU_DEP_1) | instskip(NEXT) | instid1(VALU_DEP_1)
	v_trunc_f32_e32 v21, v21
	v_fmac_f32_e32 v2, 0xcf800000, v21
	v_cvt_u32_f32_e32 v21, v21
	s_delay_alu instid0(VALU_DEP_2) | instskip(NEXT) | instid1(VALU_DEP_2)
	v_cvt_u32_f32_e32 v2, v2
	v_mul_lo_u32 v22, s0, v21
	s_delay_alu instid0(VALU_DEP_2) | instskip(SKIP_1) | instid1(VALU_DEP_2)
	v_mul_hi_u32 v23, s0, v2
	v_mul_lo_u32 v24, s65, v2
	v_add_nc_u32_e32 v22, v23, v22
	v_mul_lo_u32 v23, s0, v2
	s_delay_alu instid0(VALU_DEP_2) | instskip(NEXT) | instid1(VALU_DEP_2)
	v_add_nc_u32_e32 v22, v22, v24
	v_mul_hi_u32 v24, v2, v23
	s_delay_alu instid0(VALU_DEP_2)
	v_mul_lo_u32 v30, v2, v22
	v_mul_hi_u32 v31, v2, v22
	v_mul_hi_u32 v32, v21, v23
	v_mul_lo_u32 v23, v21, v23
	v_mul_hi_u32 v33, v21, v22
	v_mul_lo_u32 v22, v21, v22
	v_add_co_u32 v24, vcc_lo, v24, v30
	v_add_co_ci_u32_e32 v30, vcc_lo, 0, v31, vcc_lo
	s_delay_alu instid0(VALU_DEP_2) | instskip(NEXT) | instid1(VALU_DEP_2)
	v_add_co_u32 v23, vcc_lo, v24, v23
	v_add_co_ci_u32_e32 v23, vcc_lo, v30, v32, vcc_lo
	v_add_co_ci_u32_e32 v24, vcc_lo, 0, v33, vcc_lo
	v_ashrrev_i32_e32 v32, 31, v4
	s_delay_alu instid0(VALU_DEP_3) | instskip(NEXT) | instid1(VALU_DEP_3)
	v_add_co_u32 v22, vcc_lo, v23, v22
	v_add_co_ci_u32_e32 v23, vcc_lo, 0, v24, vcc_lo
	s_delay_alu instid0(VALU_DEP_2) | instskip(NEXT) | instid1(VALU_DEP_2)
	v_add_co_u32 v2, vcc_lo, v2, v22
	v_add_co_ci_u32_e32 v21, vcc_lo, v21, v23, vcc_lo
	s_delay_alu instid0(VALU_DEP_2) | instskip(SKIP_1) | instid1(VALU_DEP_3)
	v_mul_hi_u32 v22, s0, v2
	v_mul_lo_u32 v24, s65, v2
	v_mul_lo_u32 v23, s0, v21
	s_delay_alu instid0(VALU_DEP_1) | instskip(SKIP_1) | instid1(VALU_DEP_2)
	v_add_nc_u32_e32 v22, v22, v23
	v_mul_lo_u32 v23, s0, v2
	v_add_nc_u32_e32 v22, v22, v24
	s_delay_alu instid0(VALU_DEP_2) | instskip(NEXT) | instid1(VALU_DEP_2)
	v_mul_hi_u32 v24, v2, v23
	v_mul_lo_u32 v30, v2, v22
	v_mul_hi_u32 v31, v2, v22
	v_mul_hi_u32 v33, v21, v23
	v_mul_lo_u32 v23, v21, v23
	v_mul_hi_u32 v34, v21, v22
	v_mul_lo_u32 v22, v21, v22
	v_add_co_u32 v24, vcc_lo, v24, v30
	v_add_co_ci_u32_e32 v30, vcc_lo, 0, v31, vcc_lo
	s_delay_alu instid0(VALU_DEP_2) | instskip(NEXT) | instid1(VALU_DEP_2)
	v_add_co_u32 v23, vcc_lo, v24, v23
	v_add_co_ci_u32_e32 v23, vcc_lo, v30, v33, vcc_lo
	v_add_co_ci_u32_e32 v24, vcc_lo, 0, v34, vcc_lo
	v_add_co_u32 v30, vcc_lo, v3, v32
	v_add_co_ci_u32_e32 v31, vcc_lo, v4, v32, vcc_lo
	s_delay_alu instid0(VALU_DEP_4) | instskip(NEXT) | instid1(VALU_DEP_4)
	v_add_co_u32 v22, vcc_lo, v23, v22
	v_add_co_ci_u32_e32 v23, vcc_lo, 0, v24, vcc_lo
	s_delay_alu instid0(VALU_DEP_4) | instskip(NEXT) | instid1(VALU_DEP_3)
	v_xor_b32_e32 v33, v30, v32
	v_add_co_u32 v2, vcc_lo, v2, v22
	s_delay_alu instid0(VALU_DEP_3) | instskip(SKIP_1) | instid1(VALU_DEP_3)
	v_add_co_ci_u32_e32 v34, vcc_lo, v21, v23, vcc_lo
	v_xor_b32_e32 v35, v31, v32
	v_mul_hi_u32 v36, v33, v2
	s_delay_alu instid0(VALU_DEP_3) | instskip(NEXT) | instid1(VALU_DEP_3)
	v_mad_u64_u32 v[21:22], null, v33, v34, 0
	v_mad_u64_u32 v[23:24], null, v35, v2, 0
	;; [unrolled: 1-line block ×3, first 2 shown]
	s_delay_alu instid0(VALU_DEP_3) | instskip(NEXT) | instid1(VALU_DEP_4)
	v_add_co_u32 v2, vcc_lo, v36, v21
	v_add_co_ci_u32_e32 v21, vcc_lo, 0, v22, vcc_lo
	s_delay_alu instid0(VALU_DEP_2) | instskip(NEXT) | instid1(VALU_DEP_2)
	v_add_co_u32 v2, vcc_lo, v2, v23
	v_add_co_ci_u32_e32 v2, vcc_lo, v21, v24, vcc_lo
	v_add_co_ci_u32_e32 v21, vcc_lo, 0, v31, vcc_lo
	s_delay_alu instid0(VALU_DEP_2) | instskip(NEXT) | instid1(VALU_DEP_2)
	v_add_co_u32 v2, vcc_lo, v2, v30
	v_add_co_ci_u32_e32 v23, vcc_lo, 0, v21, vcc_lo
	s_delay_alu instid0(VALU_DEP_2) | instskip(SKIP_1) | instid1(VALU_DEP_3)
	v_mul_lo_u32 v24, s67, v2
	v_mad_u64_u32 v[21:22], null, s66, v2, 0
	v_mul_lo_u32 v30, s66, v23
	s_delay_alu instid0(VALU_DEP_2) | instskip(NEXT) | instid1(VALU_DEP_2)
	v_sub_co_u32 v21, vcc_lo, v33, v21
	v_add3_u32 v22, v22, v30, v24
	s_delay_alu instid0(VALU_DEP_1) | instskip(NEXT) | instid1(VALU_DEP_1)
	v_sub_nc_u32_e32 v24, v35, v22
	v_subrev_co_ci_u32_e64 v24, s0, s67, v24, vcc_lo
	v_add_co_u32 v30, s0, v2, 2
	s_delay_alu instid0(VALU_DEP_1) | instskip(SKIP_3) | instid1(VALU_DEP_3)
	v_add_co_ci_u32_e64 v31, s0, 0, v23, s0
	v_sub_co_u32 v33, s0, v21, s66
	v_sub_co_ci_u32_e32 v22, vcc_lo, v35, v22, vcc_lo
	v_subrev_co_ci_u32_e64 v24, s0, 0, v24, s0
	v_cmp_le_u32_e32 vcc_lo, s66, v33
	s_delay_alu instid0(VALU_DEP_3) | instskip(SKIP_1) | instid1(VALU_DEP_4)
	v_cmp_eq_u32_e64 s0, s67, v22
	v_cndmask_b32_e64 v33, 0, -1, vcc_lo
	v_cmp_le_u32_e32 vcc_lo, s67, v24
	v_cndmask_b32_e64 v34, 0, -1, vcc_lo
	v_cmp_le_u32_e32 vcc_lo, s66, v21
	;; [unrolled: 2-line block ×3, first 2 shown]
	v_cndmask_b32_e64 v35, 0, -1, vcc_lo
	v_cmp_eq_u32_e32 vcc_lo, s67, v24
	s_delay_alu instid0(VALU_DEP_2) | instskip(SKIP_3) | instid1(VALU_DEP_3)
	v_cndmask_b32_e64 v21, v35, v21, s0
	v_cndmask_b32_e32 v24, v34, v33, vcc_lo
	v_add_co_u32 v33, vcc_lo, v2, 1
	v_add_co_ci_u32_e32 v34, vcc_lo, 0, v23, vcc_lo
	v_cmp_ne_u32_e32 vcc_lo, 0, v24
	s_delay_alu instid0(VALU_DEP_2) | instskip(NEXT) | instid1(VALU_DEP_4)
	v_cndmask_b32_e32 v22, v34, v31, vcc_lo
	v_cndmask_b32_e32 v24, v33, v30, vcc_lo
	v_cmp_ne_u32_e32 vcc_lo, 0, v21
	v_xor_b32_e32 v30, s64, v32
	s_delay_alu instid0(VALU_DEP_3) | instskip(NEXT) | instid1(VALU_DEP_1)
	v_dual_cndmask_b32 v2, v2, v24 :: v_dual_cndmask_b32 v21, v23, v22
	v_xor_b32_e32 v2, v2, v30
	s_delay_alu instid0(VALU_DEP_2) | instskip(NEXT) | instid1(VALU_DEP_2)
	v_xor_b32_e32 v22, v21, v30
	v_sub_co_u32 v21, vcc_lo, v2, v30
	s_delay_alu instid0(VALU_DEP_2)
	v_sub_co_ci_u32_e32 v22, vcc_lo, v22, v30, vcc_lo
.LBB27_45:                              ;   in Loop: Header=BB27_3 Depth=1
	s_and_not1_saveexec_b32 s0, s84
	s_cbranch_execz .LBB27_47
; %bb.46:                               ;   in Loop: Header=BB27_3 Depth=1
	v_cvt_f32_u32_e32 v2, s54
	s_sub_i32 s64, 0, s54
	s_delay_alu instid0(VALU_DEP_1) | instskip(SKIP_2) | instid1(VALU_DEP_1)
	v_rcp_iflag_f32_e32 v2, v2
	s_waitcnt_depctr 0xfff
	v_mul_f32_e32 v2, 0x4f7ffffe, v2
	v_cvt_u32_f32_e32 v2, v2
	s_delay_alu instid0(VALU_DEP_1) | instskip(NEXT) | instid1(VALU_DEP_1)
	v_mul_lo_u32 v21, s64, v2
	v_mul_hi_u32 v21, v2, v21
	s_delay_alu instid0(VALU_DEP_1) | instskip(NEXT) | instid1(VALU_DEP_1)
	v_add_nc_u32_e32 v2, v2, v21
	v_mul_hi_u32 v2, v3, v2
	s_delay_alu instid0(VALU_DEP_1) | instskip(SKIP_1) | instid1(VALU_DEP_2)
	v_mul_lo_u32 v21, v2, s54
	v_add_nc_u32_e32 v22, 1, v2
	v_sub_nc_u32_e32 v21, v3, v21
	s_delay_alu instid0(VALU_DEP_1) | instskip(SKIP_1) | instid1(VALU_DEP_2)
	v_subrev_nc_u32_e32 v23, s54, v21
	v_cmp_le_u32_e32 vcc_lo, s54, v21
	v_dual_cndmask_b32 v21, v21, v23 :: v_dual_cndmask_b32 v2, v2, v22
	s_delay_alu instid0(VALU_DEP_1) | instskip(NEXT) | instid1(VALU_DEP_2)
	v_cmp_le_u32_e32 vcc_lo, s54, v21
	v_add_nc_u32_e32 v22, 1, v2
	s_delay_alu instid0(VALU_DEP_1)
	v_dual_cndmask_b32 v21, v2, v22 :: v_dual_mov_b32 v22, v1
.LBB27_47:                              ;   in Loop: Header=BB27_3 Depth=1
	s_or_b32 exec_lo, exec_lo, s0
	s_delay_alu instid0(VALU_DEP_1) | instskip(NEXT) | instid1(VALU_DEP_2)
	v_mad_u64_u32 v[23:24], null, s74, v21, v[3:4]
	v_mul_lo_u32 v2, s74, v22
	v_mul_lo_u32 v30, s75, v21
	;; [unrolled: 1-line block ×4, first 2 shown]
	s_mov_b32 s0, exec_lo
	s_delay_alu instid0(VALU_DEP_3) | instskip(SKIP_3) | instid1(VALU_DEP_4)
	v_add3_u32 v2, v30, v24, v2
	v_mad_u64_u32 v[30:31], null, v21, s24, 0
	v_mul_lo_u32 v24, v23, s27
	v_mad_u64_u32 v[21:22], null, v23, s26, 0
	v_mul_lo_u32 v2, v2, s26
	s_delay_alu instid0(VALU_DEP_4) | instskip(NEXT) | instid1(VALU_DEP_2)
	v_add3_u32 v31, v31, v33, v32
	v_add3_u32 v22, v22, v24, v2
	s_delay_alu instid0(VALU_DEP_2) | instskip(NEXT) | instid1(VALU_DEP_2)
	v_lshlrev_b64 v[23:24], 1, v[30:31]
	v_lshlrev_b64 v[21:22], 1, v[21:22]
	s_delay_alu instid0(VALU_DEP_2) | instskip(NEXT) | instid1(VALU_DEP_3)
	v_add_co_u32 v2, vcc_lo, s52, v23
	v_add_co_ci_u32_e32 v23, vcc_lo, s53, v24, vcc_lo
	s_delay_alu instid0(VALU_DEP_2) | instskip(NEXT) | instid1(VALU_DEP_2)
	v_add_co_u32 v21, vcc_lo, v2, v21
	v_add_co_ci_u32_e32 v22, vcc_lo, v23, v22, vcc_lo
	v_or_b32_e32 v2, s61, v4
	global_load_u16 v30, v[21:22], off
                                        ; implicit-def: $vgpr21_vgpr22
	v_cmpx_ne_u64_e32 0, v[1:2]
	s_xor_b32 s84, exec_lo, s0
	s_cbranch_execnz .LBB27_60
; %bb.48:                               ;   in Loop: Header=BB27_3 Depth=1
	s_and_not1_saveexec_b32 s0, s84
	s_cbranch_execnz .LBB27_61
.LBB27_49:                              ;   in Loop: Header=BB27_3 Depth=1
	s_or_b32 exec_lo, exec_lo, s0
	s_delay_alu instid0(SALU_CYCLE_1)
	s_and_not1_b32 vcc_lo, exec_lo, s33
	s_cbranch_vccnz .LBB27_62
.LBB27_50:                              ;   in Loop: Header=BB27_3 Depth=1
	v_or_b32_e32 v2, s57, v4
                                        ; implicit-def: $vgpr23_vgpr24
	s_mov_b32 s0, exec_lo
	s_delay_alu instid0(VALU_DEP_1)
	v_cmpx_ne_u64_e32 0, v[1:2]
	s_xor_b32 s84, exec_lo, s0
	s_cbranch_execz .LBB27_52
; %bb.51:                               ;   in Loop: Header=BB27_3 Depth=1
	s_ashr_i32 s64, s57, 31
	s_delay_alu instid0(SALU_CYCLE_1) | instskip(SKIP_2) | instid1(SALU_CYCLE_1)
	s_add_u32 s66, s56, s64
	s_mov_b32 s65, s64
	s_addc_u32 s67, s57, s64
	s_xor_b64 s[66:67], s[66:67], s[64:65]
	s_delay_alu instid0(SALU_CYCLE_1) | instskip(SKIP_3) | instid1(VALU_DEP_1)
	v_cvt_f32_u32_e32 v2, s66
	v_cvt_f32_u32_e32 v23, s67
	s_sub_u32 s0, 0, s66
	s_subb_u32 s65, 0, s67
	v_fmac_f32_e32 v2, 0x4f800000, v23
	s_delay_alu instid0(VALU_DEP_1) | instskip(SKIP_2) | instid1(VALU_DEP_1)
	v_rcp_f32_e32 v2, v2
	s_waitcnt_depctr 0xfff
	v_mul_f32_e32 v2, 0x5f7ffffc, v2
	v_mul_f32_e32 v23, 0x2f800000, v2
	s_delay_alu instid0(VALU_DEP_1) | instskip(NEXT) | instid1(VALU_DEP_1)
	v_trunc_f32_e32 v23, v23
	v_fmac_f32_e32 v2, 0xcf800000, v23
	v_cvt_u32_f32_e32 v23, v23
	s_delay_alu instid0(VALU_DEP_2) | instskip(NEXT) | instid1(VALU_DEP_2)
	v_cvt_u32_f32_e32 v2, v2
	v_mul_lo_u32 v24, s0, v23
	s_delay_alu instid0(VALU_DEP_2) | instskip(SKIP_1) | instid1(VALU_DEP_2)
	v_mul_hi_u32 v31, s0, v2
	v_mul_lo_u32 v32, s65, v2
	v_add_nc_u32_e32 v24, v31, v24
	v_mul_lo_u32 v31, s0, v2
	s_delay_alu instid0(VALU_DEP_2) | instskip(NEXT) | instid1(VALU_DEP_2)
	v_add_nc_u32_e32 v24, v24, v32
	v_mul_hi_u32 v32, v2, v31
	s_delay_alu instid0(VALU_DEP_2)
	v_mul_lo_u32 v33, v2, v24
	v_mul_hi_u32 v34, v2, v24
	v_mul_hi_u32 v35, v23, v31
	v_mul_lo_u32 v31, v23, v31
	v_mul_hi_u32 v36, v23, v24
	v_mul_lo_u32 v24, v23, v24
	v_add_co_u32 v32, vcc_lo, v32, v33
	v_add_co_ci_u32_e32 v33, vcc_lo, 0, v34, vcc_lo
	s_delay_alu instid0(VALU_DEP_2) | instskip(NEXT) | instid1(VALU_DEP_2)
	v_add_co_u32 v31, vcc_lo, v32, v31
	v_add_co_ci_u32_e32 v31, vcc_lo, v33, v35, vcc_lo
	v_add_co_ci_u32_e32 v32, vcc_lo, 0, v36, vcc_lo
	v_ashrrev_i32_e32 v35, 31, v4
	s_delay_alu instid0(VALU_DEP_3) | instskip(NEXT) | instid1(VALU_DEP_3)
	v_add_co_u32 v24, vcc_lo, v31, v24
	v_add_co_ci_u32_e32 v31, vcc_lo, 0, v32, vcc_lo
	s_delay_alu instid0(VALU_DEP_2) | instskip(NEXT) | instid1(VALU_DEP_2)
	v_add_co_u32 v2, vcc_lo, v2, v24
	v_add_co_ci_u32_e32 v23, vcc_lo, v23, v31, vcc_lo
	s_delay_alu instid0(VALU_DEP_2) | instskip(SKIP_1) | instid1(VALU_DEP_3)
	v_mul_hi_u32 v24, s0, v2
	v_mul_lo_u32 v32, s65, v2
	v_mul_lo_u32 v31, s0, v23
	s_delay_alu instid0(VALU_DEP_1) | instskip(SKIP_1) | instid1(VALU_DEP_2)
	v_add_nc_u32_e32 v24, v24, v31
	v_mul_lo_u32 v31, s0, v2
	v_add_nc_u32_e32 v24, v24, v32
	s_delay_alu instid0(VALU_DEP_2) | instskip(NEXT) | instid1(VALU_DEP_2)
	v_mul_hi_u32 v32, v2, v31
	v_mul_lo_u32 v33, v2, v24
	v_mul_hi_u32 v34, v2, v24
	v_mul_hi_u32 v36, v23, v31
	v_mul_lo_u32 v31, v23, v31
	v_mul_hi_u32 v37, v23, v24
	v_mul_lo_u32 v24, v23, v24
	v_add_co_u32 v32, vcc_lo, v32, v33
	v_add_co_ci_u32_e32 v33, vcc_lo, 0, v34, vcc_lo
	s_delay_alu instid0(VALU_DEP_2) | instskip(NEXT) | instid1(VALU_DEP_2)
	v_add_co_u32 v31, vcc_lo, v32, v31
	v_add_co_ci_u32_e32 v31, vcc_lo, v33, v36, vcc_lo
	v_add_co_ci_u32_e32 v32, vcc_lo, 0, v37, vcc_lo
	v_add_co_u32 v33, vcc_lo, v3, v35
	v_add_co_ci_u32_e32 v34, vcc_lo, v4, v35, vcc_lo
	s_delay_alu instid0(VALU_DEP_4) | instskip(NEXT) | instid1(VALU_DEP_4)
	v_add_co_u32 v24, vcc_lo, v31, v24
	v_add_co_ci_u32_e32 v31, vcc_lo, 0, v32, vcc_lo
	s_delay_alu instid0(VALU_DEP_4) | instskip(NEXT) | instid1(VALU_DEP_3)
	v_xor_b32_e32 v36, v33, v35
	v_add_co_u32 v2, vcc_lo, v2, v24
	s_delay_alu instid0(VALU_DEP_3) | instskip(SKIP_1) | instid1(VALU_DEP_3)
	v_add_co_ci_u32_e32 v37, vcc_lo, v23, v31, vcc_lo
	v_xor_b32_e32 v38, v34, v35
	v_mul_hi_u32 v39, v36, v2
	s_delay_alu instid0(VALU_DEP_3) | instskip(NEXT) | instid1(VALU_DEP_3)
	v_mad_u64_u32 v[23:24], null, v36, v37, 0
	v_mad_u64_u32 v[31:32], null, v38, v2, 0
	;; [unrolled: 1-line block ×3, first 2 shown]
	s_delay_alu instid0(VALU_DEP_3) | instskip(NEXT) | instid1(VALU_DEP_4)
	v_add_co_u32 v2, vcc_lo, v39, v23
	v_add_co_ci_u32_e32 v23, vcc_lo, 0, v24, vcc_lo
	s_delay_alu instid0(VALU_DEP_2) | instskip(NEXT) | instid1(VALU_DEP_2)
	v_add_co_u32 v2, vcc_lo, v2, v31
	v_add_co_ci_u32_e32 v2, vcc_lo, v23, v32, vcc_lo
	v_add_co_ci_u32_e32 v23, vcc_lo, 0, v34, vcc_lo
	s_delay_alu instid0(VALU_DEP_2) | instskip(NEXT) | instid1(VALU_DEP_2)
	v_add_co_u32 v2, vcc_lo, v2, v33
	v_add_co_ci_u32_e32 v31, vcc_lo, 0, v23, vcc_lo
	s_delay_alu instid0(VALU_DEP_2) | instskip(SKIP_1) | instid1(VALU_DEP_3)
	v_mul_lo_u32 v32, s67, v2
	v_mad_u64_u32 v[23:24], null, s66, v2, 0
	v_mul_lo_u32 v33, s66, v31
	s_delay_alu instid0(VALU_DEP_2) | instskip(NEXT) | instid1(VALU_DEP_2)
	v_sub_co_u32 v23, vcc_lo, v36, v23
	v_add3_u32 v24, v24, v33, v32
	s_delay_alu instid0(VALU_DEP_1) | instskip(NEXT) | instid1(VALU_DEP_1)
	v_sub_nc_u32_e32 v32, v38, v24
	v_subrev_co_ci_u32_e64 v32, s0, s67, v32, vcc_lo
	v_add_co_u32 v33, s0, v2, 2
	s_delay_alu instid0(VALU_DEP_1) | instskip(SKIP_3) | instid1(VALU_DEP_3)
	v_add_co_ci_u32_e64 v34, s0, 0, v31, s0
	v_sub_co_u32 v36, s0, v23, s66
	v_sub_co_ci_u32_e32 v24, vcc_lo, v38, v24, vcc_lo
	v_subrev_co_ci_u32_e64 v32, s0, 0, v32, s0
	v_cmp_le_u32_e32 vcc_lo, s66, v36
	s_delay_alu instid0(VALU_DEP_3) | instskip(SKIP_1) | instid1(VALU_DEP_4)
	v_cmp_eq_u32_e64 s0, s67, v24
	v_cndmask_b32_e64 v36, 0, -1, vcc_lo
	v_cmp_le_u32_e32 vcc_lo, s67, v32
	v_cndmask_b32_e64 v37, 0, -1, vcc_lo
	v_cmp_le_u32_e32 vcc_lo, s66, v23
	;; [unrolled: 2-line block ×3, first 2 shown]
	v_cndmask_b32_e64 v38, 0, -1, vcc_lo
	v_cmp_eq_u32_e32 vcc_lo, s67, v32
	s_delay_alu instid0(VALU_DEP_2) | instskip(SKIP_3) | instid1(VALU_DEP_3)
	v_cndmask_b32_e64 v23, v38, v23, s0
	v_cndmask_b32_e32 v32, v37, v36, vcc_lo
	v_add_co_u32 v36, vcc_lo, v2, 1
	v_add_co_ci_u32_e32 v37, vcc_lo, 0, v31, vcc_lo
	v_cmp_ne_u32_e32 vcc_lo, 0, v32
	s_delay_alu instid0(VALU_DEP_2) | instskip(NEXT) | instid1(VALU_DEP_4)
	v_cndmask_b32_e32 v24, v37, v34, vcc_lo
	v_cndmask_b32_e32 v32, v36, v33, vcc_lo
	v_cmp_ne_u32_e32 vcc_lo, 0, v23
	v_xor_b32_e32 v33, s64, v35
	s_delay_alu instid0(VALU_DEP_3) | instskip(SKIP_1) | instid1(VALU_DEP_2)
	v_cndmask_b32_e32 v2, v2, v32, vcc_lo
	v_cndmask_b32_e32 v23, v31, v24, vcc_lo
	v_xor_b32_e32 v2, v2, v33
	s_delay_alu instid0(VALU_DEP_2) | instskip(NEXT) | instid1(VALU_DEP_2)
	v_xor_b32_e32 v24, v23, v33
	v_sub_co_u32 v23, vcc_lo, v2, v33
	s_delay_alu instid0(VALU_DEP_2)
	v_sub_co_ci_u32_e32 v24, vcc_lo, v24, v33, vcc_lo
.LBB27_52:                              ;   in Loop: Header=BB27_3 Depth=1
	s_and_not1_saveexec_b32 s0, s84
	s_cbranch_execz .LBB27_54
; %bb.53:                               ;   in Loop: Header=BB27_3 Depth=1
	v_cvt_f32_u32_e32 v2, s56
	s_sub_i32 s64, 0, s56
	s_delay_alu instid0(VALU_DEP_1) | instskip(SKIP_2) | instid1(VALU_DEP_1)
	v_rcp_iflag_f32_e32 v2, v2
	s_waitcnt_depctr 0xfff
	v_mul_f32_e32 v2, 0x4f7ffffe, v2
	v_cvt_u32_f32_e32 v2, v2
	s_delay_alu instid0(VALU_DEP_1) | instskip(NEXT) | instid1(VALU_DEP_1)
	v_mul_lo_u32 v23, s64, v2
	v_mul_hi_u32 v23, v2, v23
	s_delay_alu instid0(VALU_DEP_1) | instskip(NEXT) | instid1(VALU_DEP_1)
	v_add_nc_u32_e32 v2, v2, v23
	v_mul_hi_u32 v2, v3, v2
	s_delay_alu instid0(VALU_DEP_1) | instskip(SKIP_1) | instid1(VALU_DEP_2)
	v_mul_lo_u32 v23, v2, s56
	v_add_nc_u32_e32 v24, 1, v2
	v_sub_nc_u32_e32 v23, v3, v23
	s_delay_alu instid0(VALU_DEP_1) | instskip(SKIP_1) | instid1(VALU_DEP_2)
	v_subrev_nc_u32_e32 v31, s56, v23
	v_cmp_le_u32_e32 vcc_lo, s56, v23
	v_dual_cndmask_b32 v23, v23, v31 :: v_dual_cndmask_b32 v2, v2, v24
	s_delay_alu instid0(VALU_DEP_1) | instskip(NEXT) | instid1(VALU_DEP_2)
	v_cmp_le_u32_e32 vcc_lo, s56, v23
	v_add_nc_u32_e32 v24, 1, v2
	s_delay_alu instid0(VALU_DEP_1)
	v_dual_cndmask_b32 v23, v2, v24 :: v_dual_mov_b32 v24, v1
.LBB27_54:                              ;   in Loop: Header=BB27_3 Depth=1
	s_or_b32 exec_lo, exec_lo, s0
	s_delay_alu instid0(VALU_DEP_1) | instskip(NEXT) | instid1(VALU_DEP_2)
	v_mad_u64_u32 v[31:32], null, s78, v23, v[3:4]
	v_mul_lo_u32 v2, s78, v24
	v_mul_lo_u32 v33, s79, v23
	;; [unrolled: 1-line block ×5, first 2 shown]
	s_delay_alu instid0(VALU_DEP_4) | instskip(SKIP_2) | instid1(VALU_DEP_3)
	v_add3_u32 v2, v33, v32, v2
	v_mad_u64_u32 v[32:33], null, v23, s8, 0
	v_mad_u64_u32 v[23:24], null, v31, s10, 0
	v_mul_lo_u32 v2, v2, s10
	s_delay_alu instid0(VALU_DEP_3) | instskip(NEXT) | instid1(VALU_DEP_2)
	v_add3_u32 v33, v33, v35, v34
	v_add3_u32 v24, v24, v36, v2
	s_delay_alu instid0(VALU_DEP_2) | instskip(NEXT) | instid1(VALU_DEP_2)
	v_lshlrev_b64 v[31:32], 1, v[32:33]
	v_lshlrev_b64 v[23:24], 1, v[23:24]
	s_delay_alu instid0(VALU_DEP_2) | instskip(NEXT) | instid1(VALU_DEP_3)
	v_add_co_u32 v2, vcc_lo, s2, v31
	v_add_co_ci_u32_e32 v31, vcc_lo, s3, v32, vcc_lo
	s_delay_alu instid0(VALU_DEP_2) | instskip(NEXT) | instid1(VALU_DEP_2)
	v_add_co_u32 v23, vcc_lo, v2, v23
	v_add_co_ci_u32_e32 v24, vcc_lo, v31, v24, vcc_lo
	global_load_u16 v2, v[23:24], off
	s_waitcnt vmcnt(0)
	v_cvt_f32_f16_e32 v31, v2
	s_and_not1_b32 vcc_lo, exec_lo, s1
	s_cbranch_vccnz .LBB27_63
.LBB27_55:                              ;   in Loop: Header=BB27_3 Depth=1
	v_or_b32_e32 v2, s63, v4
                                        ; implicit-def: $vgpr23_vgpr24
	s_mov_b32 s0, exec_lo
	s_delay_alu instid0(VALU_DEP_1)
	v_cmpx_ne_u64_e32 0, v[1:2]
	s_xor_b32 s84, exec_lo, s0
	s_cbranch_execz .LBB27_57
; %bb.56:                               ;   in Loop: Header=BB27_3 Depth=1
	s_ashr_i32 s64, s63, 31
	s_delay_alu instid0(SALU_CYCLE_1) | instskip(SKIP_2) | instid1(SALU_CYCLE_1)
	s_add_u32 s66, s62, s64
	s_mov_b32 s65, s64
	s_addc_u32 s67, s63, s64
	s_xor_b64 s[66:67], s[66:67], s[64:65]
	s_delay_alu instid0(SALU_CYCLE_1) | instskip(SKIP_3) | instid1(VALU_DEP_1)
	v_cvt_f32_u32_e32 v2, s66
	v_cvt_f32_u32_e32 v23, s67
	s_sub_u32 s0, 0, s66
	s_subb_u32 s65, 0, s67
	v_fmac_f32_e32 v2, 0x4f800000, v23
	s_delay_alu instid0(VALU_DEP_1) | instskip(SKIP_2) | instid1(VALU_DEP_1)
	v_rcp_f32_e32 v2, v2
	s_waitcnt_depctr 0xfff
	v_mul_f32_e32 v2, 0x5f7ffffc, v2
	v_mul_f32_e32 v23, 0x2f800000, v2
	s_delay_alu instid0(VALU_DEP_1) | instskip(NEXT) | instid1(VALU_DEP_1)
	v_trunc_f32_e32 v23, v23
	v_fmac_f32_e32 v2, 0xcf800000, v23
	v_cvt_u32_f32_e32 v23, v23
	s_delay_alu instid0(VALU_DEP_2) | instskip(NEXT) | instid1(VALU_DEP_2)
	v_cvt_u32_f32_e32 v2, v2
	v_mul_lo_u32 v24, s0, v23
	s_delay_alu instid0(VALU_DEP_2) | instskip(SKIP_1) | instid1(VALU_DEP_2)
	v_mul_hi_u32 v32, s0, v2
	v_mul_lo_u32 v33, s65, v2
	v_add_nc_u32_e32 v24, v32, v24
	v_mul_lo_u32 v32, s0, v2
	s_delay_alu instid0(VALU_DEP_2) | instskip(NEXT) | instid1(VALU_DEP_2)
	v_add_nc_u32_e32 v24, v24, v33
	v_mul_hi_u32 v33, v2, v32
	s_delay_alu instid0(VALU_DEP_2)
	v_mul_lo_u32 v34, v2, v24
	v_mul_hi_u32 v35, v2, v24
	v_mul_hi_u32 v36, v23, v32
	v_mul_lo_u32 v32, v23, v32
	v_mul_hi_u32 v37, v23, v24
	v_mul_lo_u32 v24, v23, v24
	v_add_co_u32 v33, vcc_lo, v33, v34
	v_add_co_ci_u32_e32 v34, vcc_lo, 0, v35, vcc_lo
	s_delay_alu instid0(VALU_DEP_2) | instskip(NEXT) | instid1(VALU_DEP_2)
	v_add_co_u32 v32, vcc_lo, v33, v32
	v_add_co_ci_u32_e32 v32, vcc_lo, v34, v36, vcc_lo
	v_add_co_ci_u32_e32 v33, vcc_lo, 0, v37, vcc_lo
	v_ashrrev_i32_e32 v36, 31, v4
	s_delay_alu instid0(VALU_DEP_3) | instskip(NEXT) | instid1(VALU_DEP_3)
	v_add_co_u32 v24, vcc_lo, v32, v24
	v_add_co_ci_u32_e32 v32, vcc_lo, 0, v33, vcc_lo
	s_delay_alu instid0(VALU_DEP_2) | instskip(NEXT) | instid1(VALU_DEP_2)
	v_add_co_u32 v2, vcc_lo, v2, v24
	v_add_co_ci_u32_e32 v23, vcc_lo, v23, v32, vcc_lo
	s_delay_alu instid0(VALU_DEP_2) | instskip(SKIP_1) | instid1(VALU_DEP_3)
	v_mul_hi_u32 v24, s0, v2
	v_mul_lo_u32 v33, s65, v2
	v_mul_lo_u32 v32, s0, v23
	s_delay_alu instid0(VALU_DEP_1) | instskip(SKIP_1) | instid1(VALU_DEP_2)
	v_add_nc_u32_e32 v24, v24, v32
	v_mul_lo_u32 v32, s0, v2
	v_add_nc_u32_e32 v24, v24, v33
	s_delay_alu instid0(VALU_DEP_2) | instskip(NEXT) | instid1(VALU_DEP_2)
	v_mul_hi_u32 v33, v2, v32
	v_mul_lo_u32 v34, v2, v24
	v_mul_hi_u32 v35, v2, v24
	v_mul_hi_u32 v37, v23, v32
	v_mul_lo_u32 v32, v23, v32
	v_mul_hi_u32 v38, v23, v24
	v_mul_lo_u32 v24, v23, v24
	v_add_co_u32 v33, vcc_lo, v33, v34
	v_add_co_ci_u32_e32 v34, vcc_lo, 0, v35, vcc_lo
	s_delay_alu instid0(VALU_DEP_2) | instskip(NEXT) | instid1(VALU_DEP_2)
	v_add_co_u32 v32, vcc_lo, v33, v32
	v_add_co_ci_u32_e32 v32, vcc_lo, v34, v37, vcc_lo
	v_add_co_ci_u32_e32 v33, vcc_lo, 0, v38, vcc_lo
	v_add_co_u32 v34, vcc_lo, v3, v36
	v_add_co_ci_u32_e32 v35, vcc_lo, v4, v36, vcc_lo
	s_delay_alu instid0(VALU_DEP_4) | instskip(NEXT) | instid1(VALU_DEP_4)
	v_add_co_u32 v24, vcc_lo, v32, v24
	v_add_co_ci_u32_e32 v32, vcc_lo, 0, v33, vcc_lo
	s_delay_alu instid0(VALU_DEP_4) | instskip(NEXT) | instid1(VALU_DEP_3)
	v_xor_b32_e32 v37, v34, v36
	v_add_co_u32 v2, vcc_lo, v2, v24
	s_delay_alu instid0(VALU_DEP_3) | instskip(SKIP_1) | instid1(VALU_DEP_3)
	v_add_co_ci_u32_e32 v38, vcc_lo, v23, v32, vcc_lo
	v_xor_b32_e32 v39, v35, v36
	v_mul_hi_u32 v40, v37, v2
	s_delay_alu instid0(VALU_DEP_3) | instskip(NEXT) | instid1(VALU_DEP_3)
	v_mad_u64_u32 v[23:24], null, v37, v38, 0
	v_mad_u64_u32 v[32:33], null, v39, v2, 0
	;; [unrolled: 1-line block ×3, first 2 shown]
	s_delay_alu instid0(VALU_DEP_3) | instskip(NEXT) | instid1(VALU_DEP_4)
	v_add_co_u32 v2, vcc_lo, v40, v23
	v_add_co_ci_u32_e32 v23, vcc_lo, 0, v24, vcc_lo
	s_delay_alu instid0(VALU_DEP_2) | instskip(NEXT) | instid1(VALU_DEP_2)
	v_add_co_u32 v2, vcc_lo, v2, v32
	v_add_co_ci_u32_e32 v2, vcc_lo, v23, v33, vcc_lo
	v_add_co_ci_u32_e32 v23, vcc_lo, 0, v35, vcc_lo
	s_delay_alu instid0(VALU_DEP_2) | instskip(NEXT) | instid1(VALU_DEP_2)
	v_add_co_u32 v2, vcc_lo, v2, v34
	v_add_co_ci_u32_e32 v32, vcc_lo, 0, v23, vcc_lo
	s_delay_alu instid0(VALU_DEP_2) | instskip(SKIP_1) | instid1(VALU_DEP_3)
	v_mul_lo_u32 v33, s67, v2
	v_mad_u64_u32 v[23:24], null, s66, v2, 0
	v_mul_lo_u32 v34, s66, v32
	s_delay_alu instid0(VALU_DEP_2) | instskip(NEXT) | instid1(VALU_DEP_2)
	v_sub_co_u32 v23, vcc_lo, v37, v23
	v_add3_u32 v24, v24, v34, v33
	s_delay_alu instid0(VALU_DEP_1) | instskip(NEXT) | instid1(VALU_DEP_1)
	v_sub_nc_u32_e32 v33, v39, v24
	v_subrev_co_ci_u32_e64 v33, s0, s67, v33, vcc_lo
	v_add_co_u32 v34, s0, v2, 2
	s_delay_alu instid0(VALU_DEP_1) | instskip(SKIP_3) | instid1(VALU_DEP_3)
	v_add_co_ci_u32_e64 v35, s0, 0, v32, s0
	v_sub_co_u32 v37, s0, v23, s66
	v_sub_co_ci_u32_e32 v24, vcc_lo, v39, v24, vcc_lo
	v_subrev_co_ci_u32_e64 v33, s0, 0, v33, s0
	v_cmp_le_u32_e32 vcc_lo, s66, v37
	s_delay_alu instid0(VALU_DEP_3) | instskip(SKIP_1) | instid1(VALU_DEP_4)
	v_cmp_eq_u32_e64 s0, s67, v24
	v_cndmask_b32_e64 v37, 0, -1, vcc_lo
	v_cmp_le_u32_e32 vcc_lo, s67, v33
	v_cndmask_b32_e64 v38, 0, -1, vcc_lo
	v_cmp_le_u32_e32 vcc_lo, s66, v23
	;; [unrolled: 2-line block ×3, first 2 shown]
	v_cndmask_b32_e64 v39, 0, -1, vcc_lo
	v_cmp_eq_u32_e32 vcc_lo, s67, v33
	s_delay_alu instid0(VALU_DEP_2) | instskip(SKIP_3) | instid1(VALU_DEP_3)
	v_cndmask_b32_e64 v23, v39, v23, s0
	v_cndmask_b32_e32 v33, v38, v37, vcc_lo
	v_add_co_u32 v37, vcc_lo, v2, 1
	v_add_co_ci_u32_e32 v38, vcc_lo, 0, v32, vcc_lo
	v_cmp_ne_u32_e32 vcc_lo, 0, v33
	s_delay_alu instid0(VALU_DEP_2) | instskip(SKIP_2) | instid1(VALU_DEP_3)
	v_dual_cndmask_b32 v33, v37, v34 :: v_dual_cndmask_b32 v24, v38, v35
	v_cmp_ne_u32_e32 vcc_lo, 0, v23
	v_xor_b32_e32 v34, s64, v36
	v_dual_cndmask_b32 v2, v2, v33 :: v_dual_cndmask_b32 v23, v32, v24
	s_delay_alu instid0(VALU_DEP_1) | instskip(NEXT) | instid1(VALU_DEP_2)
	v_xor_b32_e32 v2, v2, v34
	v_xor_b32_e32 v24, v23, v34
	s_delay_alu instid0(VALU_DEP_2) | instskip(NEXT) | instid1(VALU_DEP_2)
	v_sub_co_u32 v23, vcc_lo, v2, v34
	v_sub_co_ci_u32_e32 v24, vcc_lo, v24, v34, vcc_lo
.LBB27_57:                              ;   in Loop: Header=BB27_3 Depth=1
	s_and_not1_saveexec_b32 s0, s84
	s_cbranch_execz .LBB27_59
; %bb.58:                               ;   in Loop: Header=BB27_3 Depth=1
	v_cvt_f32_u32_e32 v2, s62
	s_sub_i32 s64, 0, s62
	s_delay_alu instid0(VALU_DEP_1) | instskip(SKIP_2) | instid1(VALU_DEP_1)
	v_rcp_iflag_f32_e32 v2, v2
	s_waitcnt_depctr 0xfff
	v_mul_f32_e32 v2, 0x4f7ffffe, v2
	v_cvt_u32_f32_e32 v2, v2
	s_delay_alu instid0(VALU_DEP_1) | instskip(NEXT) | instid1(VALU_DEP_1)
	v_mul_lo_u32 v23, s64, v2
	v_mul_hi_u32 v23, v2, v23
	s_delay_alu instid0(VALU_DEP_1) | instskip(NEXT) | instid1(VALU_DEP_1)
	v_add_nc_u32_e32 v2, v2, v23
	v_mul_hi_u32 v2, v3, v2
	s_delay_alu instid0(VALU_DEP_1) | instskip(SKIP_1) | instid1(VALU_DEP_2)
	v_mul_lo_u32 v23, v2, s62
	v_add_nc_u32_e32 v24, 1, v2
	v_sub_nc_u32_e32 v23, v3, v23
	s_delay_alu instid0(VALU_DEP_1) | instskip(SKIP_1) | instid1(VALU_DEP_2)
	v_subrev_nc_u32_e32 v32, s62, v23
	v_cmp_le_u32_e32 vcc_lo, s62, v23
	v_cndmask_b32_e32 v23, v23, v32, vcc_lo
	v_cndmask_b32_e32 v2, v2, v24, vcc_lo
	s_delay_alu instid0(VALU_DEP_2) | instskip(NEXT) | instid1(VALU_DEP_2)
	v_cmp_le_u32_e32 vcc_lo, s62, v23
	v_add_nc_u32_e32 v24, 1, v2
	s_delay_alu instid0(VALU_DEP_1)
	v_dual_cndmask_b32 v23, v2, v24 :: v_dual_mov_b32 v24, v1
.LBB27_59:                              ;   in Loop: Header=BB27_3 Depth=1
	s_or_b32 exec_lo, exec_lo, s0
	s_delay_alu instid0(VALU_DEP_1) | instskip(NEXT) | instid1(VALU_DEP_2)
	v_mad_u64_u32 v[32:33], null, s80, v23, v[3:4]
	v_mul_lo_u32 v2, s80, v24
	v_mul_lo_u32 v34, s81, v23
	;; [unrolled: 1-line block ×5, first 2 shown]
	s_delay_alu instid0(VALU_DEP_4) | instskip(SKIP_2) | instid1(VALU_DEP_3)
	v_add3_u32 v2, v34, v33, v2
	v_mad_u64_u32 v[33:34], null, v23, s28, 0
	v_mad_u64_u32 v[23:24], null, v32, s30, 0
	v_mul_lo_u32 v2, v2, s30
	s_delay_alu instid0(VALU_DEP_3) | instskip(NEXT) | instid1(VALU_DEP_2)
	v_add3_u32 v34, v34, v36, v35
	v_add3_u32 v24, v24, v37, v2
	s_delay_alu instid0(VALU_DEP_2) | instskip(NEXT) | instid1(VALU_DEP_2)
	v_lshlrev_b64 v[32:33], 1, v[33:34]
	v_lshlrev_b64 v[23:24], 1, v[23:24]
	s_delay_alu instid0(VALU_DEP_2) | instskip(NEXT) | instid1(VALU_DEP_3)
	v_add_co_u32 v2, vcc_lo, s34, v32
	v_add_co_ci_u32_e32 v32, vcc_lo, s35, v33, vcc_lo
	s_delay_alu instid0(VALU_DEP_2) | instskip(NEXT) | instid1(VALU_DEP_2)
	v_add_co_u32 v23, vcc_lo, v2, v23
	v_add_co_ci_u32_e32 v24, vcc_lo, v32, v24, vcc_lo
	global_load_u16 v2, v[23:24], off
	s_waitcnt vmcnt(0)
	v_cvt_f32_f16_e32 v2, v2
	s_branch .LBB27_64
.LBB27_60:                              ;   in Loop: Header=BB27_3 Depth=1
	s_ashr_i32 s64, s61, 31
	s_delay_alu instid0(SALU_CYCLE_1) | instskip(SKIP_2) | instid1(SALU_CYCLE_1)
	s_add_u32 s66, s60, s64
	s_mov_b32 s65, s64
	s_addc_u32 s67, s61, s64
	s_xor_b64 s[66:67], s[66:67], s[64:65]
	s_delay_alu instid0(SALU_CYCLE_1) | instskip(SKIP_3) | instid1(VALU_DEP_1)
	v_cvt_f32_u32_e32 v2, s66
	v_cvt_f32_u32_e32 v21, s67
	s_sub_u32 s0, 0, s66
	s_subb_u32 s65, 0, s67
	v_fmac_f32_e32 v2, 0x4f800000, v21
	s_delay_alu instid0(VALU_DEP_1) | instskip(SKIP_2) | instid1(VALU_DEP_1)
	v_rcp_f32_e32 v2, v2
	s_waitcnt_depctr 0xfff
	v_mul_f32_e32 v2, 0x5f7ffffc, v2
	v_mul_f32_e32 v21, 0x2f800000, v2
	s_delay_alu instid0(VALU_DEP_1) | instskip(NEXT) | instid1(VALU_DEP_1)
	v_trunc_f32_e32 v21, v21
	v_fmac_f32_e32 v2, 0xcf800000, v21
	v_cvt_u32_f32_e32 v21, v21
	s_delay_alu instid0(VALU_DEP_2) | instskip(NEXT) | instid1(VALU_DEP_2)
	v_cvt_u32_f32_e32 v2, v2
	v_mul_lo_u32 v22, s0, v21
	s_delay_alu instid0(VALU_DEP_2) | instskip(SKIP_1) | instid1(VALU_DEP_2)
	v_mul_hi_u32 v23, s0, v2
	v_mul_lo_u32 v24, s65, v2
	v_add_nc_u32_e32 v22, v23, v22
	v_mul_lo_u32 v23, s0, v2
	s_delay_alu instid0(VALU_DEP_2) | instskip(NEXT) | instid1(VALU_DEP_2)
	v_add_nc_u32_e32 v22, v22, v24
	v_mul_hi_u32 v24, v2, v23
	s_delay_alu instid0(VALU_DEP_2)
	v_mul_lo_u32 v31, v2, v22
	v_mul_hi_u32 v32, v2, v22
	v_mul_hi_u32 v33, v21, v23
	v_mul_lo_u32 v23, v21, v23
	v_mul_hi_u32 v34, v21, v22
	v_mul_lo_u32 v22, v21, v22
	v_add_co_u32 v24, vcc_lo, v24, v31
	v_add_co_ci_u32_e32 v31, vcc_lo, 0, v32, vcc_lo
	s_delay_alu instid0(VALU_DEP_2) | instskip(NEXT) | instid1(VALU_DEP_2)
	v_add_co_u32 v23, vcc_lo, v24, v23
	v_add_co_ci_u32_e32 v23, vcc_lo, v31, v33, vcc_lo
	v_add_co_ci_u32_e32 v24, vcc_lo, 0, v34, vcc_lo
	v_ashrrev_i32_e32 v33, 31, v4
	s_delay_alu instid0(VALU_DEP_3) | instskip(NEXT) | instid1(VALU_DEP_3)
	v_add_co_u32 v22, vcc_lo, v23, v22
	v_add_co_ci_u32_e32 v23, vcc_lo, 0, v24, vcc_lo
	s_delay_alu instid0(VALU_DEP_2) | instskip(NEXT) | instid1(VALU_DEP_2)
	v_add_co_u32 v2, vcc_lo, v2, v22
	v_add_co_ci_u32_e32 v21, vcc_lo, v21, v23, vcc_lo
	s_delay_alu instid0(VALU_DEP_2) | instskip(SKIP_1) | instid1(VALU_DEP_3)
	v_mul_hi_u32 v22, s0, v2
	v_mul_lo_u32 v24, s65, v2
	v_mul_lo_u32 v23, s0, v21
	s_delay_alu instid0(VALU_DEP_1) | instskip(SKIP_1) | instid1(VALU_DEP_2)
	v_add_nc_u32_e32 v22, v22, v23
	v_mul_lo_u32 v23, s0, v2
	v_add_nc_u32_e32 v22, v22, v24
	s_delay_alu instid0(VALU_DEP_2) | instskip(NEXT) | instid1(VALU_DEP_2)
	v_mul_hi_u32 v24, v2, v23
	v_mul_lo_u32 v31, v2, v22
	v_mul_hi_u32 v32, v2, v22
	v_mul_hi_u32 v34, v21, v23
	v_mul_lo_u32 v23, v21, v23
	v_mul_hi_u32 v35, v21, v22
	v_mul_lo_u32 v22, v21, v22
	v_add_co_u32 v24, vcc_lo, v24, v31
	v_add_co_ci_u32_e32 v31, vcc_lo, 0, v32, vcc_lo
	s_delay_alu instid0(VALU_DEP_2) | instskip(NEXT) | instid1(VALU_DEP_2)
	v_add_co_u32 v23, vcc_lo, v24, v23
	v_add_co_ci_u32_e32 v23, vcc_lo, v31, v34, vcc_lo
	v_add_co_ci_u32_e32 v24, vcc_lo, 0, v35, vcc_lo
	v_add_co_u32 v31, vcc_lo, v3, v33
	v_add_co_ci_u32_e32 v32, vcc_lo, v4, v33, vcc_lo
	s_delay_alu instid0(VALU_DEP_4) | instskip(NEXT) | instid1(VALU_DEP_4)
	v_add_co_u32 v22, vcc_lo, v23, v22
	v_add_co_ci_u32_e32 v23, vcc_lo, 0, v24, vcc_lo
	s_delay_alu instid0(VALU_DEP_4) | instskip(NEXT) | instid1(VALU_DEP_3)
	v_xor_b32_e32 v34, v31, v33
	v_add_co_u32 v2, vcc_lo, v2, v22
	s_delay_alu instid0(VALU_DEP_3) | instskip(SKIP_1) | instid1(VALU_DEP_3)
	v_add_co_ci_u32_e32 v35, vcc_lo, v21, v23, vcc_lo
	v_xor_b32_e32 v36, v32, v33
	v_mul_hi_u32 v37, v34, v2
	s_delay_alu instid0(VALU_DEP_3) | instskip(NEXT) | instid1(VALU_DEP_3)
	v_mad_u64_u32 v[21:22], null, v34, v35, 0
	v_mad_u64_u32 v[23:24], null, v36, v2, 0
	;; [unrolled: 1-line block ×3, first 2 shown]
	s_delay_alu instid0(VALU_DEP_3) | instskip(NEXT) | instid1(VALU_DEP_4)
	v_add_co_u32 v2, vcc_lo, v37, v21
	v_add_co_ci_u32_e32 v21, vcc_lo, 0, v22, vcc_lo
	s_delay_alu instid0(VALU_DEP_2) | instskip(NEXT) | instid1(VALU_DEP_2)
	v_add_co_u32 v2, vcc_lo, v2, v23
	v_add_co_ci_u32_e32 v2, vcc_lo, v21, v24, vcc_lo
	v_add_co_ci_u32_e32 v21, vcc_lo, 0, v32, vcc_lo
	s_delay_alu instid0(VALU_DEP_2) | instskip(NEXT) | instid1(VALU_DEP_2)
	v_add_co_u32 v2, vcc_lo, v2, v31
	v_add_co_ci_u32_e32 v23, vcc_lo, 0, v21, vcc_lo
	s_delay_alu instid0(VALU_DEP_2) | instskip(SKIP_1) | instid1(VALU_DEP_3)
	v_mul_lo_u32 v24, s67, v2
	v_mad_u64_u32 v[21:22], null, s66, v2, 0
	v_mul_lo_u32 v31, s66, v23
	s_delay_alu instid0(VALU_DEP_2) | instskip(NEXT) | instid1(VALU_DEP_2)
	v_sub_co_u32 v21, vcc_lo, v34, v21
	v_add3_u32 v22, v22, v31, v24
	s_delay_alu instid0(VALU_DEP_1) | instskip(NEXT) | instid1(VALU_DEP_1)
	v_sub_nc_u32_e32 v24, v36, v22
	v_subrev_co_ci_u32_e64 v24, s0, s67, v24, vcc_lo
	v_add_co_u32 v31, s0, v2, 2
	s_delay_alu instid0(VALU_DEP_1) | instskip(SKIP_3) | instid1(VALU_DEP_3)
	v_add_co_ci_u32_e64 v32, s0, 0, v23, s0
	v_sub_co_u32 v34, s0, v21, s66
	v_sub_co_ci_u32_e32 v22, vcc_lo, v36, v22, vcc_lo
	v_subrev_co_ci_u32_e64 v24, s0, 0, v24, s0
	v_cmp_le_u32_e32 vcc_lo, s66, v34
	s_delay_alu instid0(VALU_DEP_3) | instskip(SKIP_1) | instid1(VALU_DEP_4)
	v_cmp_eq_u32_e64 s0, s67, v22
	v_cndmask_b32_e64 v34, 0, -1, vcc_lo
	v_cmp_le_u32_e32 vcc_lo, s67, v24
	v_cndmask_b32_e64 v35, 0, -1, vcc_lo
	v_cmp_le_u32_e32 vcc_lo, s66, v21
	;; [unrolled: 2-line block ×3, first 2 shown]
	v_cndmask_b32_e64 v36, 0, -1, vcc_lo
	v_cmp_eq_u32_e32 vcc_lo, s67, v24
	s_delay_alu instid0(VALU_DEP_2) | instskip(SKIP_3) | instid1(VALU_DEP_3)
	v_cndmask_b32_e64 v21, v36, v21, s0
	v_cndmask_b32_e32 v24, v35, v34, vcc_lo
	v_add_co_u32 v34, vcc_lo, v2, 1
	v_add_co_ci_u32_e32 v35, vcc_lo, 0, v23, vcc_lo
	v_cmp_ne_u32_e32 vcc_lo, 0, v24
	s_delay_alu instid0(VALU_DEP_2) | instskip(NEXT) | instid1(VALU_DEP_4)
	v_cndmask_b32_e32 v22, v35, v32, vcc_lo
	v_cndmask_b32_e32 v24, v34, v31, vcc_lo
	v_cmp_ne_u32_e32 vcc_lo, 0, v21
	v_xor_b32_e32 v31, s64, v33
	s_delay_alu instid0(VALU_DEP_3) | instskip(NEXT) | instid1(VALU_DEP_1)
	v_dual_cndmask_b32 v2, v2, v24 :: v_dual_cndmask_b32 v21, v23, v22
	v_xor_b32_e32 v2, v2, v31
	s_delay_alu instid0(VALU_DEP_2) | instskip(NEXT) | instid1(VALU_DEP_2)
	v_xor_b32_e32 v22, v21, v31
	v_sub_co_u32 v21, vcc_lo, v2, v31
	s_delay_alu instid0(VALU_DEP_2)
	v_sub_co_ci_u32_e32 v22, vcc_lo, v22, v31, vcc_lo
	s_and_not1_saveexec_b32 s0, s84
	s_cbranch_execz .LBB27_49
.LBB27_61:                              ;   in Loop: Header=BB27_3 Depth=1
	v_cvt_f32_u32_e32 v2, s60
	s_sub_i32 s64, 0, s60
	s_delay_alu instid0(VALU_DEP_1) | instskip(SKIP_2) | instid1(VALU_DEP_1)
	v_rcp_iflag_f32_e32 v2, v2
	s_waitcnt_depctr 0xfff
	v_mul_f32_e32 v2, 0x4f7ffffe, v2
	v_cvt_u32_f32_e32 v2, v2
	s_delay_alu instid0(VALU_DEP_1) | instskip(NEXT) | instid1(VALU_DEP_1)
	v_mul_lo_u32 v21, s64, v2
	v_mul_hi_u32 v21, v2, v21
	s_delay_alu instid0(VALU_DEP_1) | instskip(NEXT) | instid1(VALU_DEP_1)
	v_add_nc_u32_e32 v2, v2, v21
	v_mul_hi_u32 v2, v3, v2
	s_delay_alu instid0(VALU_DEP_1) | instskip(SKIP_1) | instid1(VALU_DEP_2)
	v_mul_lo_u32 v21, v2, s60
	v_add_nc_u32_e32 v22, 1, v2
	v_sub_nc_u32_e32 v21, v3, v21
	s_delay_alu instid0(VALU_DEP_1) | instskip(SKIP_1) | instid1(VALU_DEP_2)
	v_subrev_nc_u32_e32 v23, s60, v21
	v_cmp_le_u32_e32 vcc_lo, s60, v21
	v_dual_cndmask_b32 v21, v21, v23 :: v_dual_cndmask_b32 v2, v2, v22
	s_delay_alu instid0(VALU_DEP_1) | instskip(NEXT) | instid1(VALU_DEP_2)
	v_cmp_le_u32_e32 vcc_lo, s60, v21
	v_add_nc_u32_e32 v22, 1, v2
	s_delay_alu instid0(VALU_DEP_1) | instskip(SKIP_1) | instid1(SALU_CYCLE_1)
	v_dual_cndmask_b32 v21, v2, v22 :: v_dual_mov_b32 v22, v1
	s_or_b32 exec_lo, exec_lo, s0
	s_and_not1_b32 vcc_lo, exec_lo, s33
	s_cbranch_vccz .LBB27_50
.LBB27_62:                              ;   in Loop: Header=BB27_3 Depth=1
	v_mov_b32_e32 v31, 0
	s_and_not1_b32 vcc_lo, exec_lo, s1
	s_cbranch_vccz .LBB27_55
.LBB27_63:                              ;   in Loop: Header=BB27_3 Depth=1
	v_mov_b32_e32 v2, 0
.LBB27_64:                              ;   in Loop: Header=BB27_3 Depth=1
	s_waitcnt vmcnt(0)
	v_cvt_f32_f16_e32 v23, v30
                                        ; implicit-def: $vgpr24
	s_delay_alu instid0(VALU_DEP_1) | instskip(NEXT) | instid1(VALU_DEP_1)
	v_cmp_ngt_f32_e64 s0, 0x3f200000, |v23|
	s_and_saveexec_b32 s64, s0
	s_delay_alu instid0(SALU_CYCLE_1)
	s_xor_b32 s0, exec_lo, s64
	s_cbranch_execz .LBB27_66
; %bb.65:                               ;   in Loop: Header=BB27_3 Depth=1
	v_add_f32_e64 v24, |v23|, |v23|
	s_delay_alu instid0(VALU_DEP_1) | instskip(SKIP_1) | instid1(VALU_DEP_2)
	v_mul_f32_e32 v30, 0x3fb8aa3b, v24
	v_cmp_ngt_f32_e32 vcc_lo, 0xc2ce8ed0, v24
	v_rndne_f32_e32 v32, v30
	v_fma_f32 v33, 0x3fb8aa3b, v24, -v30
	s_delay_alu instid0(VALU_DEP_2) | instskip(NEXT) | instid1(VALU_DEP_2)
	v_sub_f32_e32 v30, v30, v32
	v_fmac_f32_e32 v33, 0x32a5705f, v24
	v_cvt_i32_f32_e32 v32, v32
	s_delay_alu instid0(VALU_DEP_2) | instskip(NEXT) | instid1(VALU_DEP_1)
	v_add_f32_e32 v30, v30, v33
	v_exp_f32_e32 v30, v30
	s_waitcnt_depctr 0xfff
	v_ldexp_f32 v30, v30, v32
	s_delay_alu instid0(VALU_DEP_1) | instskip(SKIP_1) | instid1(VALU_DEP_2)
	v_cndmask_b32_e32 v30, 0, v30, vcc_lo
	v_cmp_nlt_f32_e32 vcc_lo, 0x42b17218, v24
	v_cndmask_b32_e32 v24, 0x7f800000, v30, vcc_lo
	s_delay_alu instid0(VALU_DEP_1) | instskip(NEXT) | instid1(VALU_DEP_1)
	v_add_f32_e32 v24, 1.0, v24
	v_rcp_f32_e32 v24, v24
	s_waitcnt_depctr 0xfff
	v_fma_f32 v24, v24, -2.0, 1.0
.LBB27_66:                              ;   in Loop: Header=BB27_3 Depth=1
	s_and_not1_saveexec_b32 s0, s0
	s_cbranch_execz .LBB27_2
; %bb.67:                               ;   in Loop: Header=BB27_3 Depth=1
	v_mul_f32_e32 v24, v23, v23
	s_delay_alu instid0(VALU_DEP_1) | instskip(NEXT) | instid1(VALU_DEP_1)
	v_fmaak_f32 v30, s82, v24, 0x3ca908c9
	v_fmaak_f32 v30, v24, v30, 0xbd5c1c4e
	s_delay_alu instid0(VALU_DEP_1) | instskip(NEXT) | instid1(VALU_DEP_1)
	v_fmaak_f32 v30, v24, v30, 0x3e088382
	v_fmaak_f32 v30, v24, v30, 0xbeaaaa99
	s_delay_alu instid0(VALU_DEP_1) | instskip(NEXT) | instid1(VALU_DEP_1)
	v_mul_f32_e64 v30, |v23|, v30
	v_fma_f32 v24, v24, v30, |v23|
	s_branch .LBB27_2
.LBB27_68:
	s_nop 0
	s_sendmsg sendmsg(MSG_DEALLOC_VGPRS)
	s_endpgm
	.section	.rodata,"a",@progbits
	.p2align	6, 0x0
	.amdhsa_kernel _ZN2at6native12_GLOBAL__N_16kernel18lstm_cell_backwardIN3c104HalfEflLi2EEEvNS_4cuda6detail10TensorInfoIT_T1_EESB_SB_SB_SB_SB_SB_SA_SA_
		.amdhsa_group_segment_fixed_size 0
		.amdhsa_private_segment_fixed_size 0
		.amdhsa_kernarg_size 3184
		.amdhsa_user_sgpr_count 15
		.amdhsa_user_sgpr_dispatch_ptr 0
		.amdhsa_user_sgpr_queue_ptr 0
		.amdhsa_user_sgpr_kernarg_segment_ptr 1
		.amdhsa_user_sgpr_dispatch_id 0
		.amdhsa_user_sgpr_private_segment_size 0
		.amdhsa_wavefront_size32 1
		.amdhsa_uses_dynamic_stack 0
		.amdhsa_enable_private_segment 0
		.amdhsa_system_sgpr_workgroup_id_x 1
		.amdhsa_system_sgpr_workgroup_id_y 0
		.amdhsa_system_sgpr_workgroup_id_z 0
		.amdhsa_system_sgpr_workgroup_info 0
		.amdhsa_system_vgpr_workitem_id 0
		.amdhsa_next_free_vgpr 42
		.amdhsa_next_free_sgpr 85
		.amdhsa_reserve_vcc 1
		.amdhsa_float_round_mode_32 0
		.amdhsa_float_round_mode_16_64 0
		.amdhsa_float_denorm_mode_32 3
		.amdhsa_float_denorm_mode_16_64 3
		.amdhsa_dx10_clamp 1
		.amdhsa_ieee_mode 1
		.amdhsa_fp16_overflow 0
		.amdhsa_workgroup_processor_mode 1
		.amdhsa_memory_ordered 1
		.amdhsa_forward_progress 0
		.amdhsa_shared_vgpr_count 0
		.amdhsa_exception_fp_ieee_invalid_op 0
		.amdhsa_exception_fp_denorm_src 0
		.amdhsa_exception_fp_ieee_div_zero 0
		.amdhsa_exception_fp_ieee_overflow 0
		.amdhsa_exception_fp_ieee_underflow 0
		.amdhsa_exception_fp_ieee_inexact 0
		.amdhsa_exception_int_div_zero 0
	.end_amdhsa_kernel
	.section	.text._ZN2at6native12_GLOBAL__N_16kernel18lstm_cell_backwardIN3c104HalfEflLi2EEEvNS_4cuda6detail10TensorInfoIT_T1_EESB_SB_SB_SB_SB_SB_SA_SA_,"axG",@progbits,_ZN2at6native12_GLOBAL__N_16kernel18lstm_cell_backwardIN3c104HalfEflLi2EEEvNS_4cuda6detail10TensorInfoIT_T1_EESB_SB_SB_SB_SB_SB_SA_SA_,comdat
.Lfunc_end27:
	.size	_ZN2at6native12_GLOBAL__N_16kernel18lstm_cell_backwardIN3c104HalfEflLi2EEEvNS_4cuda6detail10TensorInfoIT_T1_EESB_SB_SB_SB_SB_SB_SA_SA_, .Lfunc_end27-_ZN2at6native12_GLOBAL__N_16kernel18lstm_cell_backwardIN3c104HalfEflLi2EEEvNS_4cuda6detail10TensorInfoIT_T1_EESB_SB_SB_SB_SB_SB_SA_SA_
                                        ; -- End function
	.section	.AMDGPU.csdata,"",@progbits
; Kernel info:
; codeLenInByte = 17344
; NumSgprs: 87
; NumVgprs: 42
; ScratchSize: 0
; MemoryBound: 0
; FloatMode: 240
; IeeeMode: 1
; LDSByteSize: 0 bytes/workgroup (compile time only)
; SGPRBlocks: 10
; VGPRBlocks: 5
; NumSGPRsForWavesPerEU: 87
; NumVGPRsForWavesPerEU: 42
; Occupancy: 16
; WaveLimiterHint : 1
; COMPUTE_PGM_RSRC2:SCRATCH_EN: 0
; COMPUTE_PGM_RSRC2:USER_SGPR: 15
; COMPUTE_PGM_RSRC2:TRAP_HANDLER: 0
; COMPUTE_PGM_RSRC2:TGID_X_EN: 1
; COMPUTE_PGM_RSRC2:TGID_Y_EN: 0
; COMPUTE_PGM_RSRC2:TGID_Z_EN: 0
; COMPUTE_PGM_RSRC2:TIDIG_COMP_CNT: 0
	.section	.text._ZN2at6native12_GLOBAL__N_16kernel18lstm_cell_backwardIN3c108BFloat16EfiLi1EEEvNS_4cuda6detail10TensorInfoIT_T1_EESB_SB_SB_SB_SB_SB_SA_SA_,"axG",@progbits,_ZN2at6native12_GLOBAL__N_16kernel18lstm_cell_backwardIN3c108BFloat16EfiLi1EEEvNS_4cuda6detail10TensorInfoIT_T1_EESB_SB_SB_SB_SB_SB_SA_SA_,comdat
	.globl	_ZN2at6native12_GLOBAL__N_16kernel18lstm_cell_backwardIN3c108BFloat16EfiLi1EEEvNS_4cuda6detail10TensorInfoIT_T1_EESB_SB_SB_SB_SB_SB_SA_SA_ ; -- Begin function _ZN2at6native12_GLOBAL__N_16kernel18lstm_cell_backwardIN3c108BFloat16EfiLi1EEEvNS_4cuda6detail10TensorInfoIT_T1_EESB_SB_SB_SB_SB_SB_SA_SA_
	.p2align	8
	.type	_ZN2at6native12_GLOBAL__N_16kernel18lstm_cell_backwardIN3c108BFloat16EfiLi1EEEvNS_4cuda6detail10TensorInfoIT_T1_EESB_SB_SB_SB_SB_SB_SA_SA_,@function
_ZN2at6native12_GLOBAL__N_16kernel18lstm_cell_backwardIN3c108BFloat16EfiLi1EEEvNS_4cuda6detail10TensorInfoIT_T1_EESB_SB_SB_SB_SB_SB_SA_SA_: ; @_ZN2at6native12_GLOBAL__N_16kernel18lstm_cell_backwardIN3c108BFloat16EfiLi1EEEvNS_4cuda6detail10TensorInfoIT_T1_EESB_SB_SB_SB_SB_SB_SA_SA_
; %bb.0:
	s_clause 0x1
	s_load_b32 s4, s[0:1], 0x5fc
	s_load_b64 s[2:3], s[0:1], 0x5e8
	s_add_u32 s8, s0, 0x5f0
	s_addc_u32 s9, s1, 0
	s_waitcnt lgkmcnt(0)
	s_and_b32 s23, s4, 0xffff
	s_mov_b32 s4, exec_lo
	v_mad_u64_u32 v[1:2], null, s15, s23, v[0:1]
	s_delay_alu instid0(VALU_DEP_1)
	v_cmpx_gt_i32_e64 s3, v1
	s_cbranch_execz .LBB28_12
; %bb.1:
	s_clause 0x4
	s_load_b64 s[4:5], s[0:1], 0x360
	s_load_b64 s[6:7], s[0:1], 0x438
	s_load_b32 s28, s[0:1], 0x3cc
	s_load_b32 s29, s[0:1], 0x4a4
	;; [unrolled: 1-line block ×4, first 2 shown]
	s_clause 0x4
	s_load_b32 s26, s[0:1], 0x2f4
	s_load_b32 s27, s[0:1], 0x57c
	s_load_b64 s[8:9], s[0:1], 0x1b0
	s_load_b64 s[10:11], s[0:1], 0x288
	;; [unrolled: 1-line block ×3, first 2 shown]
	s_mul_i32 s22, s2, 3
	s_mov_b32 s30, 0xbbbac73d
	s_waitcnt lgkmcnt(0)
	s_cmp_lg_u64 s[4:5], 0
	v_mul_lo_u32 v2, v1, s24
	s_cselect_b32 s18, -1, 0
	s_cmp_lg_u64 s[6:7], 0
	v_mul_lo_u32 v4, v1, s26
	s_cselect_b32 s19, -1, 0
	s_abs_i32 s20, s2
	v_mul_lo_u32 v6, v1, s27
	v_cvt_f32_u32_e32 v0, s20
	s_sub_i32 s14, 0, s20
	v_mul_lo_u32 v8, v1, s28
	v_mul_lo_u32 v10, v1, s29
	s_mul_i32 s23, s25, s23
	v_rcp_iflag_f32_e32 v0, v0
	s_mul_i32 s24, s23, s24
	s_mul_i32 s25, s23, s26
	;; [unrolled: 1-line block ×3, first 2 shown]
	s_ashr_i32 s27, s2, 31
	s_mul_i32 s28, s23, s28
	s_mul_i32 s29, s23, s29
	s_waitcnt_depctr 0xfff
	v_mul_f32_e32 v0, 0x4f7ffffe, v0
	s_delay_alu instid0(VALU_DEP_1) | instskip(NEXT) | instid1(VALU_DEP_1)
	v_cvt_u32_f32_e32 v0, v0
	v_mul_lo_u32 v3, s14, v0
	s_clause 0x3
	s_load_b64 s[14:15], s[0:1], 0x0
	s_load_b32 s21, s[0:1], 0x6c
	s_load_b64 s[16:17], s[0:1], 0xd8
	s_load_b32 s0, s[0:1], 0x144
	s_mov_b32 s1, 0
	s_delay_alu instid0(VALU_DEP_1) | instskip(NEXT) | instid1(VALU_DEP_1)
	v_mul_hi_u32 v3, v0, v3
	v_add_nc_u32_e32 v0, v0, v3
	s_branch .LBB28_3
.LBB28_2:                               ;   in Loop: Header=BB28_3 Depth=1
	s_or_b32 exec_lo, exec_lo, s31
	s_waitcnt_depctr 0xfff
	v_bfi_b32 v23, 0x7fffffff, v19, v18
	v_mul_lo_u32 v17, v17, s0
	v_mul_lo_u32 v20, v15, s0
	;; [unrolled: 1-line block ×4, first 2 shown]
	v_fma_f32 v25, -v23, v23, 1.0
	v_lshlrev_b32_e32 v22, 16, v16
	v_add_nc_u32_e32 v1, s23, v1
	v_lshlrev_b32_e32 v5, 16, v5
	v_ashrrev_i32_e32 v18, 31, v17
	v_ashrrev_i32_e32 v21, 31, v20
	v_mul_f32_e32 v24, v9, v22
	v_ashrrev_i32_e32 v15, 31, v14
	v_add_nc_u32_e32 v2, s24, v2
	v_lshlrev_b64 v[16:17], 1, v[17:18]
	v_lshlrev_b64 v[18:19], 1, v[20:21]
	v_fmac_f32_e32 v11, v24, v25
	v_lshlrev_b32_e32 v25, 16, v7
	v_lshlrev_b32_e32 v24, 16, v13
	v_lshlrev_b64 v[14:15], 1, v[14:15]
	v_ashrrev_i32_e32 v7, 31, v6
	v_mul_f32_e32 v5, v11, v5
	v_ashrrev_i32_e32 v13, 31, v12
	v_dual_mul_f32 v20, v11, v24 :: v_dual_lshlrev_b32 v3, 16, v3
	v_sub_f32_e32 v21, 1.0, v25
	v_add_co_u32 v14, vcc_lo, s16, v14
	v_add_co_ci_u32_e32 v15, vcc_lo, s17, v15, vcc_lo
	s_delay_alu instid0(VALU_DEP_3) | instskip(SKIP_4) | instid1(VALU_DEP_4)
	v_mul_f32_e32 v26, v21, v20
	v_sub_f32_e32 v20, 1.0, v3
	v_add_co_u32 v16, vcc_lo, s16, v16
	v_lshlrev_b64 v[12:13], 1, v[12:13]
	v_add_co_ci_u32_e32 v17, vcc_lo, s17, v17, vcc_lo
	v_dual_mul_f32 v5, v20, v5 :: v_dual_add_nc_u32 v4, s25, v4
	v_lshlrev_b64 v[20:21], 1, v[6:7]
	v_mul_f32_e32 v7, v9, v23
	v_dual_mul_f32 v9, v26, v25 :: v_dual_add_nc_u32 v6, s26, v6
	v_dual_mul_f32 v23, v11, v25 :: v_dual_add_nc_u32 v8, s28, v8
	;; [unrolled: 1-line block ×3, first 2 shown]
	v_fma_f32 v24, -v24, v24, 1.0
	v_sub_f32_e32 v25, 1.0, v22
	v_bfe_u32 v26, v9, 16, 1
	v_add_co_u32 v18, vcc_lo, s16, v18
	v_add_co_ci_u32_e32 v19, vcc_lo, s17, v19, vcc_lo
	v_add_co_u32 v12, vcc_lo, s16, v12
	s_delay_alu instid0(VALU_DEP_4)
	v_add3_u32 v26, v9, v26, 0x7fff
	v_bfe_u32 v27, v5, 16, 1
	v_mul_f32_e32 v7, v25, v7
	v_mul_f32_e32 v23, v24, v23
	v_add_co_ci_u32_e32 v13, vcc_lo, s17, v13, vcc_lo
	v_add_co_u32 v20, vcc_lo, s12, v20
	v_add_co_ci_u32_e32 v21, vcc_lo, s13, v21, vcc_lo
	v_mul_f32_e32 v3, v11, v3
	v_lshrrev_b32_e32 v11, 16, v26
	v_add3_u32 v24, v5, v27, 0x7fff
	v_mul_f32_e32 v7, v7, v22
	v_bfe_u32 v22, v23, 16, 1
	v_cmp_o_f32_e32 vcc_lo, v9, v9
	v_bfe_u32 v25, v3, 16, 1
	s_delay_alu instid0(VALU_DEP_3)
	v_add3_u32 v22, v23, v22, 0x7fff
	v_cndmask_b32_e32 v9, 0x7fc0, v11, vcc_lo
	v_lshrrev_b32_e32 v11, 16, v24
	v_bfe_u32 v24, v7, 16, 1
	v_cmp_o_f32_e32 vcc_lo, v5, v5
	global_store_b16 v[14:15], v9, off
	v_lshrrev_b32_e32 v9, 16, v22
	v_add3_u32 v14, v3, v25, 0x7fff
	v_cndmask_b32_e32 v5, 0x7fc0, v11, vcc_lo
	v_add3_u32 v11, v7, v24, 0x7fff
	v_cmp_o_f32_e32 vcc_lo, v23, v23
	global_store_b16 v[16:17], v5, off
	v_lshrrev_b32_e32 v5, 16, v11
	v_cndmask_b32_e32 v9, 0x7fc0, v9, vcc_lo
	v_cmp_o_f32_e32 vcc_lo, v7, v7
	v_lshrrev_b32_e32 v11, 16, v14
	global_store_b16 v[18:19], v9, off
	v_cndmask_b32_e32 v5, 0x7fc0, v5, vcc_lo
	v_cmp_o_f32_e32 vcc_lo, v3, v3
	v_cndmask_b32_e32 v3, 0x7fc0, v11, vcc_lo
	v_cmp_le_i32_e32 vcc_lo, s3, v1
	global_store_b16 v[12:13], v5, off
	global_store_b16 v[20:21], v3, off
	s_or_b32 s1, vcc_lo, s1
	s_delay_alu instid0(SALU_CYCLE_1)
	s_and_not1_b32 exec_lo, exec_lo, s1
	s_cbranch_execz .LBB28_12
.LBB28_3:                               ; =>This Inner Loop Header: Depth=1
	v_sub_nc_u32_e32 v3, 0, v1
	s_delay_alu instid0(VALU_DEP_1) | instskip(NEXT) | instid1(VALU_DEP_1)
	v_max_i32_e32 v3, v1, v3
	v_mul_hi_u32 v5, v3, v0
	s_delay_alu instid0(VALU_DEP_1) | instskip(NEXT) | instid1(VALU_DEP_1)
	v_mul_lo_u32 v7, v5, s20
	v_sub_nc_u32_e32 v3, v3, v7
	v_add_nc_u32_e32 v7, 1, v5
	s_delay_alu instid0(VALU_DEP_2) | instskip(SKIP_1) | instid1(VALU_DEP_3)
	v_subrev_nc_u32_e32 v9, s20, v3
	v_cmp_le_u32_e32 vcc_lo, s20, v3
	v_cndmask_b32_e32 v5, v5, v7, vcc_lo
	s_delay_alu instid0(VALU_DEP_3) | instskip(SKIP_1) | instid1(VALU_DEP_3)
	v_cndmask_b32_e32 v3, v3, v9, vcc_lo
	v_ashrrev_i32_e32 v7, 31, v1
	v_add_nc_u32_e32 v9, 1, v5
	s_delay_alu instid0(VALU_DEP_3) | instskip(NEXT) | instid1(VALU_DEP_3)
	v_cmp_le_u32_e32 vcc_lo, s20, v3
	v_xor_b32_e32 v7, s27, v7
	s_delay_alu instid0(VALU_DEP_3) | instskip(NEXT) | instid1(VALU_DEP_2)
	v_cndmask_b32_e32 v3, v5, v9, vcc_lo
	v_mul_i32_i24_e32 v5, 3, v7
	s_delay_alu instid0(VALU_DEP_2) | instskip(NEXT) | instid1(VALU_DEP_1)
	v_xor_b32_e32 v3, v3, v7
	v_lshl_add_u32 v9, v3, 1, v3
	v_sub_nc_u32_e32 v3, v3, v7
	s_delay_alu instid0(VALU_DEP_2) | instskip(NEXT) | instid1(VALU_DEP_2)
	v_sub_nc_u32_e32 v7, v9, v5
	v_mad_u64_u32 v[14:15], null, s22, v3, v[1:2]
	v_ashrrev_i32_e32 v3, 31, v2
	v_ashrrev_i32_e32 v5, 31, v4
	s_delay_alu instid0(VALU_DEP_4) | instskip(NEXT) | instid1(VALU_DEP_3)
	v_mul_lo_u32 v9, s2, v7
	v_lshlrev_b64 v[18:19], 1, v[2:3]
	v_add_nc_u32_e32 v3, 2, v7
	s_delay_alu instid0(VALU_DEP_4)
	v_lshlrev_b64 v[22:23], 1, v[4:5]
	v_add_nc_u32_e32 v5, 3, v7
	s_waitcnt lgkmcnt(0)
	v_mul_lo_u32 v20, v14, s21
	v_add3_u32 v17, v9, s2, v1
	v_mad_u64_u32 v[15:16], null, s2, v3, v[1:2]
	v_mad_u64_u32 v[12:13], null, s2, v5, v[1:2]
	s_delay_alu instid0(VALU_DEP_3)
	v_mul_lo_u32 v24, v17, s21
	v_add_co_u32 v18, vcc_lo, s8, v18
	v_ashrrev_i32_e32 v21, 31, v20
	v_mul_lo_u32 v26, v15, s21
	v_add_co_ci_u32_e32 v19, vcc_lo, s9, v19, vcc_lo
	v_mul_lo_u32 v28, v12, s21
	v_ashrrev_i32_e32 v25, 31, v24
	v_lshlrev_b64 v[20:21], 1, v[20:21]
	v_add_co_u32 v22, vcc_lo, s10, v22
	v_ashrrev_i32_e32 v27, 31, v26
	s_delay_alu instid0(VALU_DEP_4)
	v_lshlrev_b64 v[24:25], 1, v[24:25]
	v_add_co_ci_u32_e32 v23, vcc_lo, s11, v23, vcc_lo
	v_ashrrev_i32_e32 v29, 31, v28
	v_add_co_u32 v20, vcc_lo, s14, v20
	v_lshlrev_b64 v[26:27], 1, v[26:27]
	v_add_co_ci_u32_e32 v21, vcc_lo, s15, v21, vcc_lo
	s_delay_alu instid0(VALU_DEP_4)
	v_lshlrev_b64 v[28:29], 1, v[28:29]
	v_add_co_u32 v24, vcc_lo, s14, v24
	v_add_co_ci_u32_e32 v25, vcc_lo, s15, v25, vcc_lo
	v_add_co_u32 v26, vcc_lo, s14, v26
	v_add_co_ci_u32_e32 v27, vcc_lo, s15, v27, vcc_lo
	;; [unrolled: 2-line block ×3, first 2 shown]
	global_load_u16 v5, v[18:19], off
	s_clause 0x3
	global_load_u16 v7, v[20:21], off
	global_load_u16 v3, v[24:25], off
	;; [unrolled: 1-line block ×5, first 2 shown]
	v_mov_b32_e32 v9, 0
	s_and_not1_b32 vcc_lo, exec_lo, s18
	s_cbranch_vccnz .LBB28_5
; %bb.4:                                ;   in Loop: Header=BB28_3 Depth=1
	v_ashrrev_i32_e32 v9, 31, v8
	s_delay_alu instid0(VALU_DEP_1) | instskip(NEXT) | instid1(VALU_DEP_1)
	v_lshlrev_b64 v[19:20], 1, v[8:9]
	v_add_co_u32 v19, vcc_lo, s4, v19
	s_delay_alu instid0(VALU_DEP_2)
	v_add_co_ci_u32_e32 v20, vcc_lo, s5, v20, vcc_lo
	global_load_u16 v9, v[19:20], off
	s_waitcnt vmcnt(0)
	v_lshlrev_b32_e32 v9, 16, v9
.LBB28_5:                               ;   in Loop: Header=BB28_3 Depth=1
	s_and_not1_b32 vcc_lo, exec_lo, s19
	s_cbranch_vccnz .LBB28_7
; %bb.6:                                ;   in Loop: Header=BB28_3 Depth=1
	v_ashrrev_i32_e32 v11, 31, v10
	s_delay_alu instid0(VALU_DEP_1) | instskip(NEXT) | instid1(VALU_DEP_1)
	v_lshlrev_b64 v[19:20], 1, v[10:11]
	v_add_co_u32 v19, vcc_lo, s6, v19
	s_delay_alu instid0(VALU_DEP_2)
	v_add_co_ci_u32_e32 v20, vcc_lo, s7, v20, vcc_lo
	global_load_u16 v11, v[19:20], off
	s_waitcnt vmcnt(0)
	v_lshlrev_b32_e32 v11, 16, v11
	s_branch .LBB28_8
.LBB28_7:                               ;   in Loop: Header=BB28_3 Depth=1
	v_mov_b32_e32 v11, 0
.LBB28_8:                               ;   in Loop: Header=BB28_3 Depth=1
	s_waitcnt vmcnt(0)
	v_lshlrev_b32_e32 v18, 16, v18
                                        ; implicit-def: $vgpr19
	s_delay_alu instid0(VALU_DEP_1) | instskip(NEXT) | instid1(VALU_DEP_1)
	v_cmp_ngt_f32_e64 s31, 0x3f200000, |v18|
	s_and_saveexec_b32 s33, s31
	s_delay_alu instid0(SALU_CYCLE_1)
	s_xor_b32 s31, exec_lo, s33
	s_cbranch_execz .LBB28_10
; %bb.9:                                ;   in Loop: Header=BB28_3 Depth=1
	v_add_f32_e64 v19, |v18|, |v18|
	s_delay_alu instid0(VALU_DEP_1) | instskip(SKIP_1) | instid1(VALU_DEP_2)
	v_mul_f32_e32 v20, 0x3fb8aa3b, v19
	v_cmp_ngt_f32_e32 vcc_lo, 0xc2ce8ed0, v19
	v_rndne_f32_e32 v21, v20
	v_fma_f32 v22, 0x3fb8aa3b, v19, -v20
	s_delay_alu instid0(VALU_DEP_2) | instskip(NEXT) | instid1(VALU_DEP_2)
	v_sub_f32_e32 v20, v20, v21
	v_fmac_f32_e32 v22, 0x32a5705f, v19
	v_cvt_i32_f32_e32 v21, v21
	s_delay_alu instid0(VALU_DEP_2) | instskip(NEXT) | instid1(VALU_DEP_1)
	v_add_f32_e32 v20, v20, v22
	v_exp_f32_e32 v20, v20
	s_waitcnt_depctr 0xfff
	v_ldexp_f32 v20, v20, v21
	s_delay_alu instid0(VALU_DEP_1) | instskip(SKIP_1) | instid1(VALU_DEP_2)
	v_cndmask_b32_e32 v20, 0, v20, vcc_lo
	v_cmp_nlt_f32_e32 vcc_lo, 0x42b17218, v19
	v_cndmask_b32_e32 v19, 0x7f800000, v20, vcc_lo
	s_delay_alu instid0(VALU_DEP_1) | instskip(NEXT) | instid1(VALU_DEP_1)
	v_add_f32_e32 v19, 1.0, v19
	v_rcp_f32_e32 v19, v19
	s_waitcnt_depctr 0xfff
	v_fma_f32 v19, v19, -2.0, 1.0
.LBB28_10:                              ;   in Loop: Header=BB28_3 Depth=1
	s_and_not1_saveexec_b32 s31, s31
	s_cbranch_execz .LBB28_2
; %bb.11:                               ;   in Loop: Header=BB28_3 Depth=1
	v_mul_f32_e32 v19, v18, v18
	s_delay_alu instid0(VALU_DEP_1) | instskip(NEXT) | instid1(VALU_DEP_1)
	v_fmaak_f32 v20, s30, v19, 0x3ca908c9
	v_fmaak_f32 v20, v19, v20, 0xbd5c1c4e
	s_delay_alu instid0(VALU_DEP_1) | instskip(NEXT) | instid1(VALU_DEP_1)
	v_fmaak_f32 v20, v19, v20, 0x3e088382
	v_fmaak_f32 v20, v19, v20, 0xbeaaaa99
	s_delay_alu instid0(VALU_DEP_1) | instskip(NEXT) | instid1(VALU_DEP_1)
	v_mul_f32_e64 v20, |v18|, v20
	v_fma_f32 v19, v19, v20, |v18|
	s_branch .LBB28_2
.LBB28_12:
	s_nop 0
	s_sendmsg sendmsg(MSG_DEALLOC_VGPRS)
	s_endpgm
	.section	.rodata,"a",@progbits
	.p2align	6, 0x0
	.amdhsa_kernel _ZN2at6native12_GLOBAL__N_16kernel18lstm_cell_backwardIN3c108BFloat16EfiLi1EEEvNS_4cuda6detail10TensorInfoIT_T1_EESB_SB_SB_SB_SB_SB_SA_SA_
		.amdhsa_group_segment_fixed_size 0
		.amdhsa_private_segment_fixed_size 0
		.amdhsa_kernarg_size 1776
		.amdhsa_user_sgpr_count 15
		.amdhsa_user_sgpr_dispatch_ptr 0
		.amdhsa_user_sgpr_queue_ptr 0
		.amdhsa_user_sgpr_kernarg_segment_ptr 1
		.amdhsa_user_sgpr_dispatch_id 0
		.amdhsa_user_sgpr_private_segment_size 0
		.amdhsa_wavefront_size32 1
		.amdhsa_uses_dynamic_stack 0
		.amdhsa_enable_private_segment 0
		.amdhsa_system_sgpr_workgroup_id_x 1
		.amdhsa_system_sgpr_workgroup_id_y 0
		.amdhsa_system_sgpr_workgroup_id_z 0
		.amdhsa_system_sgpr_workgroup_info 0
		.amdhsa_system_vgpr_workitem_id 0
		.amdhsa_next_free_vgpr 30
		.amdhsa_next_free_sgpr 34
		.amdhsa_reserve_vcc 1
		.amdhsa_float_round_mode_32 0
		.amdhsa_float_round_mode_16_64 0
		.amdhsa_float_denorm_mode_32 3
		.amdhsa_float_denorm_mode_16_64 3
		.amdhsa_dx10_clamp 1
		.amdhsa_ieee_mode 1
		.amdhsa_fp16_overflow 0
		.amdhsa_workgroup_processor_mode 1
		.amdhsa_memory_ordered 1
		.amdhsa_forward_progress 0
		.amdhsa_shared_vgpr_count 0
		.amdhsa_exception_fp_ieee_invalid_op 0
		.amdhsa_exception_fp_denorm_src 0
		.amdhsa_exception_fp_ieee_div_zero 0
		.amdhsa_exception_fp_ieee_overflow 0
		.amdhsa_exception_fp_ieee_underflow 0
		.amdhsa_exception_fp_ieee_inexact 0
		.amdhsa_exception_int_div_zero 0
	.end_amdhsa_kernel
	.section	.text._ZN2at6native12_GLOBAL__N_16kernel18lstm_cell_backwardIN3c108BFloat16EfiLi1EEEvNS_4cuda6detail10TensorInfoIT_T1_EESB_SB_SB_SB_SB_SB_SA_SA_,"axG",@progbits,_ZN2at6native12_GLOBAL__N_16kernel18lstm_cell_backwardIN3c108BFloat16EfiLi1EEEvNS_4cuda6detail10TensorInfoIT_T1_EESB_SB_SB_SB_SB_SB_SA_SA_,comdat
.Lfunc_end28:
	.size	_ZN2at6native12_GLOBAL__N_16kernel18lstm_cell_backwardIN3c108BFloat16EfiLi1EEEvNS_4cuda6detail10TensorInfoIT_T1_EESB_SB_SB_SB_SB_SB_SA_SA_, .Lfunc_end28-_ZN2at6native12_GLOBAL__N_16kernel18lstm_cell_backwardIN3c108BFloat16EfiLi1EEEvNS_4cuda6detail10TensorInfoIT_T1_EESB_SB_SB_SB_SB_SB_SA_SA_
                                        ; -- End function
	.section	.AMDGPU.csdata,"",@progbits
; Kernel info:
; codeLenInByte = 1736
; NumSgprs: 36
; NumVgprs: 30
; ScratchSize: 0
; MemoryBound: 0
; FloatMode: 240
; IeeeMode: 1
; LDSByteSize: 0 bytes/workgroup (compile time only)
; SGPRBlocks: 4
; VGPRBlocks: 3
; NumSGPRsForWavesPerEU: 36
; NumVGPRsForWavesPerEU: 30
; Occupancy: 16
; WaveLimiterHint : 1
; COMPUTE_PGM_RSRC2:SCRATCH_EN: 0
; COMPUTE_PGM_RSRC2:USER_SGPR: 15
; COMPUTE_PGM_RSRC2:TRAP_HANDLER: 0
; COMPUTE_PGM_RSRC2:TGID_X_EN: 1
; COMPUTE_PGM_RSRC2:TGID_Y_EN: 0
; COMPUTE_PGM_RSRC2:TGID_Z_EN: 0
; COMPUTE_PGM_RSRC2:TIDIG_COMP_CNT: 0
	.section	.text._ZN2at6native12_GLOBAL__N_16kernel18lstm_cell_backwardIN3c108BFloat16EfiLi2EEEvNS_4cuda6detail10TensorInfoIT_T1_EESB_SB_SB_SB_SB_SB_SA_SA_,"axG",@progbits,_ZN2at6native12_GLOBAL__N_16kernel18lstm_cell_backwardIN3c108BFloat16EfiLi2EEEvNS_4cuda6detail10TensorInfoIT_T1_EESB_SB_SB_SB_SB_SB_SA_SA_,comdat
	.globl	_ZN2at6native12_GLOBAL__N_16kernel18lstm_cell_backwardIN3c108BFloat16EfiLi2EEEvNS_4cuda6detail10TensorInfoIT_T1_EESB_SB_SB_SB_SB_SB_SA_SA_ ; -- Begin function _ZN2at6native12_GLOBAL__N_16kernel18lstm_cell_backwardIN3c108BFloat16EfiLi2EEEvNS_4cuda6detail10TensorInfoIT_T1_EESB_SB_SB_SB_SB_SB_SA_SA_
	.p2align	8
	.type	_ZN2at6native12_GLOBAL__N_16kernel18lstm_cell_backwardIN3c108BFloat16EfiLi2EEEvNS_4cuda6detail10TensorInfoIT_T1_EESB_SB_SB_SB_SB_SB_SA_SA_,@function
_ZN2at6native12_GLOBAL__N_16kernel18lstm_cell_backwardIN3c108BFloat16EfiLi2EEEvNS_4cuda6detail10TensorInfoIT_T1_EESB_SB_SB_SB_SB_SB_SA_SA_: ; @_ZN2at6native12_GLOBAL__N_16kernel18lstm_cell_backwardIN3c108BFloat16EfiLi2EEEvNS_4cuda6detail10TensorInfoIT_T1_EESB_SB_SB_SB_SB_SB_SA_SA_
; %bb.0:
	s_clause 0x1
	s_load_b32 s4, s[0:1], 0x5fc
	s_load_b64 s[2:3], s[0:1], 0x5e8
	s_add_u32 s16, s0, 0x5f0
	s_addc_u32 s17, s1, 0
	s_waitcnt lgkmcnt(0)
	s_and_b32 s40, s4, 0xffff
	s_mov_b32 s4, exec_lo
	v_mad_u64_u32 v[1:2], null, s15, s40, v[0:1]
	s_delay_alu instid0(VALU_DEP_1)
	v_cmpx_gt_i32_e64 s3, v1
	s_cbranch_execz .LBB29_11
; %bb.1:
	s_clause 0x9
	s_load_b64 s[4:5], s[0:1], 0x360
	s_load_b64 s[6:7], s[0:1], 0x438
	s_load_b32 s59, s[0:1], 0x36c
	s_load_b64 s[8:9], s[0:1], 0x3cc
	s_load_b64 s[10:11], s[0:1], 0x0
	s_load_b32 s33, s[0:1], 0xc
	s_load_b32 s34, s[0:1], 0xe4
	s_load_b64 s[12:13], s[0:1], 0x144
	s_load_b64 s[14:15], s[0:1], 0x1b0
	s_load_b32 s56, s[0:1], 0x1bc
	s_load_b32 s41, s[16:17], 0x0
	s_clause 0xa
	s_load_b64 s[16:17], s[0:1], 0x21c
	s_load_b64 s[18:19], s[0:1], 0x288
	s_load_b32 s57, s[0:1], 0x294
	s_load_b32 s60, s[0:1], 0x444
	s_load_b64 s[20:21], s[0:1], 0x4a4
	s_load_b64 s[22:23], s[0:1], 0x510
	s_load_b32 s58, s[0:1], 0x51c
	s_load_b64 s[24:25], s[0:1], 0x6c
	s_load_b64 s[26:27], s[0:1], 0xd8
	;; [unrolled: 1-line block ×4, first 2 shown]
	s_mov_b32 s39, 0
	s_mul_i32 s55, s2, 3
	s_waitcnt lgkmcnt(0)
	s_cmp_lg_u64 s[4:5], 0
	s_mov_b32 s61, 0xbbbac73d
	s_cselect_b32 s35, -1, 0
	s_cmp_lg_u64 s[6:7], 0
	s_cselect_b32 s36, -1, 0
	s_abs_i32 s37, s2
	s_abs_i32 s42, s34
	v_cvt_f32_u32_e32 v0, s37
	v_cvt_f32_u32_e32 v3, s42
	s_sub_i32 s0, 0, s37
	s_abs_i32 s38, s33
	s_abs_i32 s47, s59
	v_rcp_iflag_f32_e32 v0, v0
	v_rcp_iflag_f32_e32 v3, v3
	v_cvt_f32_u32_e32 v2, s38
	v_cvt_f32_u32_e32 v9, s47
	s_abs_i32 s44, s56
	s_sub_i32 s1, 0, s38
	v_cvt_f32_u32_e32 v4, s44
	v_rcp_iflag_f32_e32 v2, v2
	s_abs_i32 s45, s57
	s_abs_i32 s46, s58
	s_waitcnt_depctr 0xfff
	v_dual_mul_f32 v0, 0x4f7ffffe, v0 :: v_dual_mul_f32 v3, 0x4f7ffffe, v3
	v_cvt_f32_u32_e32 v7, s45
	v_rcp_iflag_f32_e32 v4, v4
	s_abs_i32 s48, s60
	s_delay_alu instid0(VALU_DEP_2)
	v_cvt_u32_f32_e32 v0, v0
	v_cvt_u32_f32_e32 v3, v3
	v_rcp_iflag_f32_e32 v7, v7
	v_cvt_f32_u32_e32 v8, s46
	v_cvt_f32_u32_e32 v10, s48
	v_mul_lo_u32 v5, s0, v0
	s_sub_i32 s0, 0, s42
	s_mul_i32 s40, s41, s40
	v_mul_f32_e32 v12, 0x4f7ffffe, v4
	v_mul_lo_u32 v11, s0, v3
	v_rcp_iflag_f32_e32 v8, v8
	s_sub_i32 s0, 0, s44
	s_ashr_i32 s41, s2, 31
	v_mul_hi_u32 v5, v0, v5
	s_ashr_i32 s43, s33, 31
	s_ashr_i32 s49, s34, 31
	;; [unrolled: 1-line block ×7, first 2 shown]
	v_add_nc_u32_e32 v0, v0, v5
	v_rcp_iflag_f32_e32 v5, v9
	v_mul_f32_e32 v2, 0x4f7ffffe, v2
	v_cvt_u32_f32_e32 v9, v12
	s_sub_i32 s56, 0, s56
	s_sub_i32 s57, 0, s57
	;; [unrolled: 1-line block ×5, first 2 shown]
	s_waitcnt_depctr 0xfff
	v_mul_f32_e32 v5, 0x4f7ffffe, v5
	v_cvt_u32_f32_e32 v2, v2
	s_delay_alu instid0(VALU_DEP_2) | instskip(NEXT) | instid1(VALU_DEP_2)
	v_cvt_u32_f32_e32 v12, v5
	v_mul_lo_u32 v6, s1, v2
	s_sub_i32 s1, 0, s45
	s_delay_alu instid0(VALU_DEP_1) | instskip(NEXT) | instid1(VALU_DEP_1)
	v_mul_hi_u32 v6, v2, v6
	v_add_nc_u32_e32 v4, v2, v6
	v_mul_f32_e32 v2, 0x4f7ffffe, v7
	v_mul_hi_u32 v7, v3, v11
	v_rcp_iflag_f32_e32 v6, v10
	v_mul_lo_u32 v10, s0, v9
	s_sub_i32 s0, 0, s46
	v_cvt_u32_f32_e32 v2, v2
	s_delay_alu instid0(VALU_DEP_3) | instskip(NEXT) | instid1(VALU_DEP_2)
	v_add_nc_u32_e32 v5, v3, v7
	v_mul_lo_u32 v11, s1, v2
	s_sub_i32 s1, 0, s47
	s_waitcnt_depctr 0xfff
	v_mul_f32_e32 v6, 0x4f7ffffe, v6
	v_mul_lo_u32 v14, s1, v12
	v_mul_hi_u32 v10, v9, v10
	s_delay_alu instid0(VALU_DEP_3) | instskip(SKIP_3) | instid1(VALU_DEP_3)
	v_cvt_u32_f32_e32 v13, v6
	v_mul_hi_u32 v11, v2, v11
	v_mul_f32_e32 v8, 0x4f7ffffe, v8
	v_mul_hi_u32 v14, v12, v14
	v_add_nc_u32_e32 v7, v2, v11
	s_delay_alu instid0(VALU_DEP_3) | instskip(NEXT) | instid1(VALU_DEP_1)
	v_cvt_u32_f32_e32 v8, v8
	v_mul_lo_u32 v6, s0, v8
	s_sub_i32 s0, 0, s48
	s_delay_alu instid0(SALU_CYCLE_1) | instskip(NEXT) | instid1(VALU_DEP_2)
	v_mul_lo_u32 v15, s0, v13
	v_mul_hi_u32 v3, v8, v6
	v_add_nc_u32_e32 v6, v9, v10
	v_add_nc_u32_e32 v9, v12, v14
	s_delay_alu instid0(VALU_DEP_4) | instskip(NEXT) | instid1(VALU_DEP_4)
	v_mul_hi_u32 v10, v13, v15
	v_add_nc_u32_e32 v8, v8, v3
	s_delay_alu instid0(VALU_DEP_2)
	v_add_nc_u32_e32 v10, v13, v10
	s_branch .LBB29_3
.LBB29_2:                               ;   in Loop: Header=BB29_3 Depth=1
	s_or_b32 exec_lo, exec_lo, s0
	v_mul_hi_u32 v32, v15, v5
	v_mul_hi_u32 v33, v16, v5
	;; [unrolled: 1-line block ×5, first 2 shown]
	v_xor_b32_e32 v29, s49, v29
	v_xor_b32_e32 v27, s49, v27
	v_xor_b32_e32 v28, s49, v28
	v_mul_lo_u32 v34, v32, s42
	v_mul_lo_u32 v39, v33, s42
	v_xor_b32_e32 v26, s49, v26
	v_mul_lo_u32 v42, v36, s42
	v_lshlrev_b32_e32 v22, 16, v22
	v_lshlrev_b32_e32 v21, 16, v21
	;; [unrolled: 1-line block ×4, first 2 shown]
	v_sub_nc_u32_e32 v15, v15, v34
	v_mul_lo_u32 v34, v35, s42
	v_sub_nc_u32_e32 v16, v16, v39
	v_sub_nc_u32_e32 v18, v18, v42
	s_delay_alu instid0(VALU_DEP_4)
	v_subrev_nc_u32_e32 v44, s42, v15
	v_cmp_le_u32_e32 vcc_lo, s42, v15
	v_add_nc_u32_e32 v41, 1, v35
	v_add_nc_u32_e32 v38, 1, v32
	;; [unrolled: 1-line block ×3, first 2 shown]
	v_sub_nc_u32_e32 v20, v20, v34
	v_cndmask_b32_e32 v15, v15, v44, vcc_lo
	v_subrev_nc_u32_e32 v39, s42, v16
	v_cndmask_b32_e32 v32, v32, v38, vcc_lo
	v_cmp_le_u32_e32 vcc_lo, s42, v16
	v_add_nc_u32_e32 v43, 1, v36
	v_cmp_le_u32_e64 s0, s42, v15
	v_mul_lo_u32 v38, v37, s46
	v_add_nc_u32_e32 v34, 1, v32
	v_dual_cndmask_b32 v33, v33, v40 :: v_dual_cndmask_b32 v16, v16, v39
	v_cmp_le_u32_e32 vcc_lo, s42, v20
	s_delay_alu instid0(VALU_DEP_3) | instskip(SKIP_1) | instid1(VALU_DEP_4)
	v_cndmask_b32_e64 v15, v32, v34, s0
	v_subrev_nc_u32_e32 v32, s42, v20
	v_cmp_le_u32_e64 s0, s42, v16
	v_cndmask_b32_e32 v35, v35, v41, vcc_lo
	v_sub_nc_u32_e32 v11, v11, v38
	v_xor_b32_e32 v15, v15, v29
	v_cndmask_b32_e32 v20, v20, v32, vcc_lo
	v_subrev_nc_u32_e32 v32, s42, v18
	s_delay_alu instid0(VALU_DEP_3) | instskip(SKIP_1) | instid1(VALU_DEP_4)
	v_sub_nc_u32_e32 v15, v15, v29
	v_add_nc_u32_e32 v29, 1, v35
	v_cmp_le_u32_e32 vcc_lo, s42, v20
	s_delay_alu instid0(VALU_DEP_2) | instskip(SKIP_3) | instid1(VALU_DEP_4)
	v_cndmask_b32_e32 v20, v35, v29, vcc_lo
	v_add_nc_u32_e32 v34, 1, v33
	v_cmp_le_u32_e32 vcc_lo, s42, v18
	v_add_nc_u32_e32 v29, 1, v37
	v_xor_b32_e32 v20, v20, v27
	s_delay_alu instid0(VALU_DEP_4) | instskip(SKIP_1) | instid1(VALU_DEP_3)
	v_cndmask_b32_e64 v16, v33, v34, s0
	v_mul_lo_u32 v33, v15, s34
	v_sub_nc_u32_e32 v20, v20, v27
	s_delay_alu instid0(VALU_DEP_3) | instskip(NEXT) | instid1(VALU_DEP_2)
	v_xor_b32_e32 v16, v16, v28
	v_mul_lo_u32 v27, v20, s34
	s_delay_alu instid0(VALU_DEP_2) | instskip(SKIP_2) | instid1(VALU_DEP_2)
	v_sub_nc_u32_e32 v16, v16, v28
	v_cndmask_b32_e32 v28, v36, v43, vcc_lo
	v_sub_nc_u32_e32 v14, v14, v33
	v_add_nc_u32_e32 v33, 1, v28
	v_sub_nc_u32_e32 v27, v13, v27
	v_cndmask_b32_e32 v18, v18, v32, vcc_lo
	v_mul_lo_u32 v32, v16, s34
	v_add_nc_u32_e32 v14, v1, v14
	s_delay_alu instid0(VALU_DEP_3) | instskip(SKIP_1) | instid1(VALU_DEP_4)
	v_cmp_le_u32_e32 vcc_lo, s42, v18
	v_cndmask_b32_e32 v18, v28, v33, vcc_lo
	v_sub_nc_u32_e32 v28, v2, v32
	v_cmp_le_u32_e32 vcc_lo, s46, v11
	v_subrev_nc_u32_e32 v32, s46, v11
	v_mul_lo_u32 v2, v14, s13
	v_xor_b32_e32 v18, v18, v26
	v_add_nc_u32_e32 v28, v1, v28
	v_cndmask_b32_e32 v29, v37, v29, vcc_lo
	v_cndmask_b32_e32 v11, v11, v32, vcc_lo
	s_delay_alu instid0(VALU_DEP_4)
	v_sub_nc_u32_e32 v18, v18, v26
	v_mad_u64_u32 v[13:14], null, v15, s12, v[2:3]
	v_mul_lo_u32 v2, v28, s13
	v_add_nc_u32_e32 v14, 1, v29
	v_cmp_le_u32_e32 vcc_lo, s46, v11
	v_add_nc_u32_e32 v15, v1, v27
	v_mul_lo_u32 v26, v18, s34
	v_xor_b32_e32 v27, s52, v12
	v_cndmask_b32_e32 v28, v29, v14, vcc_lo
	v_mad_u64_u32 v[11:12], null, v16, s12, v[2:3]
	v_mul_lo_u32 v2, v15, s13
	v_ashrrev_i32_e32 v14, 31, v13
	s_delay_alu instid0(VALU_DEP_4) | instskip(SKIP_2) | instid1(VALU_DEP_3)
	v_xor_b32_e32 v15, v28, v27
	v_sub_nc_u32_e32 v3, v3, v26
	v_ashrrev_i32_e32 v12, 31, v11
	v_sub_nc_u32_e32 v32, v15, v27
	s_delay_alu instid0(VALU_DEP_3) | instskip(SKIP_2) | instid1(VALU_DEP_4)
	v_mad_u64_u32 v[15:16], null, v20, s12, v[2:3]
	v_add_nc_u32_e32 v20, v1, v3
	v_lshlrev_b64 v[13:14], 1, v[13:14]
	v_mad_u64_u32 v[2:3], null, s58, v32, v[1:2]
	v_lshlrev_b64 v[11:12], 1, v[11:12]
	s_delay_alu instid0(VALU_DEP_4) | instskip(SKIP_4) | instid1(VALU_DEP_4)
	v_mul_lo_u32 v3, v20, s13
	v_bfi_b32 v20, 0x7fffffff, v31, v30
	v_mul_f32_e32 v30, v25, v24
	v_ashrrev_i32_e32 v16, 31, v15
	v_add_co_u32 v13, vcc_lo, s26, v13
	v_fma_f32 v31, -v20, v20, 1.0
	v_mul_lo_u32 v2, v2, s31
	v_mad_u64_u32 v[26:27], null, v18, s12, v[3:4]
	v_lshlrev_b64 v[15:16], 1, v[15:16]
	s_delay_alu instid0(VALU_DEP_4) | instskip(SKIP_2) | instid1(VALU_DEP_3)
	v_fmac_f32_e32 v19, v30, v31
	v_dual_sub_f32 v30, 1.0, v22 :: v_dual_lshlrev_b32 v31, 16, v17
	v_add_co_ci_u32_e32 v14, vcc_lo, s27, v14, vcc_lo
	v_mul_f32_e32 v18, v19, v23
	v_mad_u64_u32 v[28:29], null, v32, s30, v[2:3]
	v_add_co_u32 v11, vcc_lo, s26, v11
	v_ashrrev_i32_e32 v27, 31, v26
	s_delay_alu instid0(VALU_DEP_4)
	v_mul_f32_e32 v17, v30, v18
	v_add_co_ci_u32_e32 v12, vcc_lo, s27, v12, vcc_lo
	v_add_co_u32 v2, vcc_lo, s26, v15
	v_add_co_ci_u32_e32 v3, vcc_lo, s27, v16, vcc_lo
	v_lshlrev_b64 v[15:16], 1, v[26:27]
	v_dual_mul_f32 v21, v19, v21 :: v_dual_sub_f32 v26, 1.0, v31
	v_mul_f32_e32 v27, v17, v22
	v_ashrrev_i32_e32 v29, 31, v28
	v_mul_f32_e32 v20, v25, v20
	v_sub_f32_e32 v25, 1.0, v24
	v_mul_f32_e32 v21, v26, v21
	v_bfe_u32 v26, v27, 16, 1
	v_lshlrev_b64 v[17:18], 1, v[28:29]
	v_add_co_u32 v15, vcc_lo, s26, v15
	s_delay_alu instid0(VALU_DEP_4)
	v_dual_mul_f32 v22, v19, v22 :: v_dual_mul_f32 v21, v21, v31
	v_fma_f32 v23, -v23, v23, 1.0
	v_dual_mul_f32 v19, v19, v31 :: v_dual_mul_f32 v20, v25, v20
	v_add_nc_u32_e32 v1, s40, v1
	v_add3_u32 v25, v27, v26, 0x7fff
	v_add_co_ci_u32_e32 v16, vcc_lo, s27, v16, vcc_lo
	v_add_co_u32 v17, vcc_lo, s22, v17
	v_add_co_ci_u32_e32 v18, vcc_lo, s23, v18, vcc_lo
	s_delay_alu instid0(VALU_DEP_4)
	v_lshrrev_b32_e32 v25, 16, v25
	v_bfe_u32 v26, v21, 16, 1
	v_mul_f32_e32 v22, v23, v22
	v_cmp_o_f32_e32 vcc_lo, v27, v27
	v_mul_f32_e32 v20, v20, v24
	v_cmp_o_f32_e64 s0, v19, v19
	v_add3_u32 v24, v21, v26, 0x7fff
	v_cndmask_b32_e32 v23, 0x7fc0, v25, vcc_lo
	v_bfe_u32 v25, v22, 16, 1
	v_bfe_u32 v26, v20, 16, 1
	v_cmp_o_f32_e32 vcc_lo, v21, v21
	global_store_b16 v[13:14], v23, off
	v_lshrrev_b32_e32 v13, 16, v24
	v_add3_u32 v14, v22, v25, 0x7fff
	v_bfe_u32 v23, v19, 16, 1
	v_add3_u32 v24, v20, v26, 0x7fff
	s_delay_alu instid0(VALU_DEP_4) | instskip(NEXT) | instid1(VALU_DEP_4)
	v_cndmask_b32_e32 v13, 0x7fc0, v13, vcc_lo
	v_lshrrev_b32_e32 v14, 16, v14
	v_cmp_o_f32_e32 vcc_lo, v22, v22
	v_add3_u32 v21, v19, v23, 0x7fff
	v_lshrrev_b32_e32 v23, 16, v24
	s_delay_alu instid0(VALU_DEP_4) | instskip(SKIP_1) | instid1(VALU_DEP_4)
	v_cndmask_b32_e32 v14, 0x7fc0, v14, vcc_lo
	v_cmp_o_f32_e32 vcc_lo, v20, v20
	v_lshrrev_b32_e32 v21, 16, v21
	s_clause 0x1
	global_store_b16 v[11:12], v13, off
	global_store_b16 v[2:3], v14, off
	v_cndmask_b32_e32 v20, 0x7fc0, v23, vcc_lo
	v_cmp_le_i32_e32 vcc_lo, s3, v1
	v_cndmask_b32_e64 v19, 0x7fc0, v21, s0
	global_store_b16 v[15:16], v20, off
	global_store_b16 v[17:18], v19, off
	s_or_b32 s39, vcc_lo, s39
	s_delay_alu instid0(SALU_CYCLE_1)
	s_and_not1_b32 exec_lo, exec_lo, s39
	s_cbranch_execz .LBB29_11
.LBB29_3:                               ; =>This Inner Loop Header: Depth=1
	v_sub_nc_u32_e32 v2, 0, v1
	s_delay_alu instid0(VALU_DEP_1) | instskip(NEXT) | instid1(VALU_DEP_1)
	v_max_i32_e32 v11, v1, v2
	v_mul_hi_u32 v2, v11, v0
	v_mul_hi_u32 v13, v11, v6
	;; [unrolled: 1-line block ×3, first 2 shown]
	s_delay_alu instid0(VALU_DEP_3) | instskip(NEXT) | instid1(VALU_DEP_3)
	v_mul_lo_u32 v3, v2, s37
	v_mul_lo_u32 v17, v13, s44
	s_delay_alu instid0(VALU_DEP_3) | instskip(NEXT) | instid1(VALU_DEP_3)
	v_add_nc_u32_e32 v20, 1, v15
	v_sub_nc_u32_e32 v3, v11, v3
	s_delay_alu instid0(VALU_DEP_3) | instskip(SKIP_1) | instid1(VALU_DEP_3)
	v_sub_nc_u32_e32 v17, v11, v17
	v_add_nc_u32_e32 v12, 1, v2
	v_subrev_nc_u32_e32 v14, s37, v3
	v_cmp_le_u32_e32 vcc_lo, s37, v3
	s_delay_alu instid0(VALU_DEP_2) | instskip(SKIP_1) | instid1(VALU_DEP_2)
	v_dual_cndmask_b32 v2, v2, v12 :: v_dual_cndmask_b32 v3, v3, v14
	v_ashrrev_i32_e32 v12, 31, v1
	v_add_nc_u32_e32 v14, 1, v2
	s_delay_alu instid0(VALU_DEP_3) | instskip(NEXT) | instid1(VALU_DEP_3)
	v_cmp_le_u32_e32 vcc_lo, s37, v3
	v_xor_b32_e32 v16, s41, v12
	v_mul_lo_u32 v3, v15, s45
	v_xor_b32_e32 v19, s50, v12
	v_xor_b32_e32 v21, s51, v12
	v_cndmask_b32_e32 v2, v2, v14, vcc_lo
	v_add_nc_u32_e32 v14, 1, v13
	v_cmp_le_u32_e32 vcc_lo, s44, v17
	v_mul_i32_i24_e32 v18, 3, v16
	s_delay_alu instid0(VALU_DEP_4) | instskip(SKIP_1) | instid1(VALU_DEP_2)
	v_xor_b32_e32 v2, v2, v16
	v_sub_nc_u32_e32 v22, v11, v3
	v_sub_nc_u32_e32 v3, v2, v16
	v_lshl_add_u32 v2, v2, 1, v2
	v_cndmask_b32_e32 v16, v13, v14, vcc_lo
	s_delay_alu instid0(VALU_DEP_4) | instskip(SKIP_3) | instid1(VALU_DEP_4)
	v_cmp_le_u32_e64 s0, s45, v22
	v_subrev_nc_u32_e32 v13, s44, v17
	v_mul_lo_u32 v14, s55, v3
	v_sub_nc_u32_e32 v18, v2, v18
	v_cndmask_b32_e64 v20, v15, v20, s0
	v_subrev_nc_u32_e32 v15, s45, v22
	v_cndmask_b32_e32 v17, v17, v13, vcc_lo
	s_delay_alu instid0(VALU_DEP_4) | instskip(SKIP_4) | instid1(VALU_DEP_4)
	v_mad_u64_u32 v[2:3], null, s2, v18, s[2:3]
	v_add_nc_u32_e32 v23, v1, v14
	v_add_nc_u32_e32 v3, 2, v18
	v_add_nc_u32_e32 v18, 3, v18
	v_cmp_le_u32_e32 vcc_lo, s44, v17
	v_ashrrev_i32_e32 v29, 31, v23
	s_delay_alu instid0(VALU_DEP_4)
	v_mul_lo_u32 v13, s2, v3
	v_add_nc_u32_e32 v23, v1, v2
	v_mul_lo_u32 v3, s2, v18
	v_cndmask_b32_e64 v18, v22, v15, s0
	v_add3_u32 v15, v29, v14, v1
	v_add_nc_u32_e32 v22, 1, v20
	v_ashrrev_i32_e32 v28, 31, v23
	v_add_nc_u32_e32 v23, v1, v13
	s_delay_alu instid0(VALU_DEP_4) | instskip(NEXT) | instid1(VALU_DEP_3)
	v_xor_b32_e32 v15, v15, v29
	v_xor_b32_e32 v32, s43, v28
	s_delay_alu instid0(VALU_DEP_3) | instskip(NEXT) | instid1(VALU_DEP_3)
	v_ashrrev_i32_e32 v27, 31, v23
	v_mul_hi_u32 v23, v15, v4
	s_delay_alu instid0(VALU_DEP_2) | instskip(NEXT) | instid1(VALU_DEP_2)
	v_xor_b32_e32 v33, s43, v27
	v_add_nc_u32_e32 v35, 1, v23
	v_add_nc_u32_e32 v24, 1, v16
	v_mul_lo_u32 v31, v23, s38
	s_delay_alu instid0(VALU_DEP_2)
	v_dual_cndmask_b32 v17, v16, v24 :: v_dual_add_nc_u32 v16, v1, v3
	v_add3_u32 v24, v28, v2, v1
	v_cmp_le_u32_e32 vcc_lo, s45, v18
	v_add3_u32 v18, v27, v13, v1
	v_sub_nc_u32_e32 v31, v15, v31
	v_ashrrev_i32_e32 v26, 31, v16
	v_xor_b32_e32 v16, v24, v28
	v_cndmask_b32_e32 v22, v20, v22, vcc_lo
	v_xor_b32_e32 v20, v18, v27
	v_cmp_le_u32_e32 vcc_lo, s38, v31
	v_add3_u32 v25, v26, v3, v1
	v_mul_hi_u32 v30, v16, v4
	v_subrev_nc_u32_e32 v41, s38, v31
	v_mul_hi_u32 v34, v20, v4
	v_cndmask_b32_e32 v23, v23, v35, vcc_lo
	v_xor_b32_e32 v18, v25, v26
	v_xor_b32_e32 v24, s43, v29
	v_cndmask_b32_e32 v31, v31, v41, vcc_lo
	v_xor_b32_e32 v25, s43, v26
	v_add_nc_u32_e32 v41, 1, v23
	v_mul_lo_u32 v36, v30, s38
	v_mul_hi_u32 v37, v18, v4
	v_mul_lo_u32 v39, v34, s38
	v_add_nc_u32_e32 v38, 1, v30
	v_add_nc_u32_e32 v40, 1, v34
	v_cmp_le_u32_e64 s0, s38, v31
	v_xor_b32_e32 v17, v17, v19
	v_xor_b32_e32 v22, v22, v21
	v_sub_nc_u32_e32 v35, v16, v36
	v_mul_lo_u32 v36, v37, s38
	v_sub_nc_u32_e32 v39, v20, v39
	v_add_nc_u32_e32 v42, 1, v37
	v_cndmask_b32_e64 v23, v23, v41, s0
	v_cmp_le_u32_e32 vcc_lo, s38, v35
	v_sub_nc_u32_e32 v36, v18, v36
	v_cndmask_b32_e32 v30, v30, v38, vcc_lo
	v_subrev_nc_u32_e32 v38, s38, v35
	v_xor_b32_e32 v23, v23, v24
	s_delay_alu instid0(VALU_DEP_4) | instskip(NEXT) | instid1(VALU_DEP_3)
	v_cmp_le_u32_e64 s0, s38, v36
	v_cndmask_b32_e32 v31, v35, v38, vcc_lo
	v_cmp_le_u32_e32 vcc_lo, s38, v39
	v_subrev_nc_u32_e32 v38, s38, v39
	v_add_nc_u32_e32 v35, 1, v30
	v_cndmask_b32_e64 v37, v37, v42, s0
	v_cmp_le_u32_e64 s1, s38, v31
	v_cndmask_b32_e32 v34, v34, v40, vcc_lo
	v_subrev_nc_u32_e32 v40, s38, v36
	s_delay_alu instid0(VALU_DEP_4) | instskip(NEXT) | instid1(VALU_DEP_4)
	v_dual_cndmask_b32 v31, v39, v38 :: v_dual_add_nc_u32 v38, 1, v37
	v_cndmask_b32_e64 v30, v30, v35, s1
	s_delay_alu instid0(VALU_DEP_4) | instskip(NEXT) | instid1(VALU_DEP_4)
	v_add_nc_u32_e32 v35, 1, v34
	v_cndmask_b32_e64 v36, v36, v40, s0
	s_delay_alu instid0(VALU_DEP_4) | instskip(SKIP_4) | instid1(VALU_DEP_3)
	v_cmp_le_u32_e32 vcc_lo, s38, v31
	v_sub_nc_u32_e32 v39, v23, v24
	v_xor_b32_e32 v23, v30, v32
	v_cndmask_b32_e32 v24, v34, v35, vcc_lo
	v_cmp_le_u32_e32 vcc_lo, s38, v36
	v_sub_nc_u32_e32 v34, v23, v32
	v_mul_lo_u32 v31, v39, s33
	v_sub_nc_u32_e32 v36, v22, v21
	v_xor_b32_e32 v23, v24, v33
	v_cndmask_b32_e32 v30, v37, v38, vcc_lo
	s_delay_alu instid0(VALU_DEP_2) | instskip(NEXT) | instid1(VALU_DEP_2)
	v_sub_nc_u32_e32 v37, v23, v33
	v_xor_b32_e32 v24, v30, v25
	v_sub_nc_u32_e32 v30, v17, v19
	v_mul_lo_u32 v17, v34, s33
	v_sub_nc_u32_e32 v19, v14, v31
	s_delay_alu instid0(VALU_DEP_4) | instskip(NEXT) | instid1(VALU_DEP_4)
	v_sub_nc_u32_e32 v25, v24, v25
	v_mad_u64_u32 v[21:22], null, s56, v30, v[1:2]
	s_delay_alu instid0(VALU_DEP_3) | instskip(SKIP_1) | instid1(VALU_DEP_4)
	v_add_nc_u32_e32 v19, v1, v19
	v_mul_lo_u32 v24, v37, s33
	v_mul_lo_u32 v31, v25, s33
	v_sub_nc_u32_e32 v32, v2, v17
	v_mad_u64_u32 v[22:23], null, s57, v36, v[1:2]
	v_mul_lo_u32 v17, v21, s17
	v_mul_lo_u32 v19, v19, s25
	s_delay_alu instid0(VALU_DEP_4) | instskip(SKIP_3) | instid1(VALU_DEP_4)
	v_add_nc_u32_e32 v23, v1, v32
	v_sub_nc_u32_e32 v24, v13, v24
	v_sub_nc_u32_e32 v31, v3, v31
	v_mul_lo_u32 v21, v22, s29
	v_mul_lo_u32 v22, v23, s25
	s_delay_alu instid0(VALU_DEP_4) | instskip(SKIP_3) | instid1(VALU_DEP_4)
	v_add_nc_u32_e32 v32, v1, v24
	v_mad_u64_u32 v[23:24], null, v30, s16, v[17:18]
	v_add_nc_u32_e32 v33, v1, v31
	v_mad_u64_u32 v[30:31], null, v39, s24, v[19:20]
	v_mul_lo_u32 v17, v32, s25
	s_delay_alu instid0(VALU_DEP_3)
	v_mul_lo_u32 v19, v33, s25
	v_mad_u64_u32 v[32:33], null, v34, s24, v[22:23]
	v_mad_u64_u32 v[34:35], null, v36, s28, v[21:22]
	v_ashrrev_i32_e32 v31, 31, v30
	v_mad_u64_u32 v[21:22], null, v37, s24, v[17:18]
	v_mad_u64_u32 v[36:37], null, v25, s24, v[19:20]
	v_ashrrev_i32_e32 v33, 31, v32
	s_delay_alu instid0(VALU_DEP_4)
	v_lshlrev_b64 v[30:31], 1, v[30:31]
	v_ashrrev_i32_e32 v24, 31, v23
	v_ashrrev_i32_e32 v35, 31, v34
	;; [unrolled: 1-line block ×3, first 2 shown]
	v_lshlrev_b64 v[32:33], 1, v[32:33]
	v_ashrrev_i32_e32 v37, 31, v36
	v_add_co_u32 v30, vcc_lo, s10, v30
	s_delay_alu instid0(VALU_DEP_4) | instskip(SKIP_1) | instid1(VALU_DEP_4)
	v_lshlrev_b64 v[21:22], 1, v[21:22]
	v_add_co_ci_u32_e32 v31, vcc_lo, s11, v31, vcc_lo
	v_lshlrev_b64 v[36:37], 1, v[36:37]
	v_add_co_u32 v32, vcc_lo, s10, v32
	v_add_co_ci_u32_e32 v33, vcc_lo, s11, v33, vcc_lo
	v_lshlrev_b64 v[23:24], 1, v[23:24]
	v_add_co_u32 v38, vcc_lo, s10, v21
	v_add_co_ci_u32_e32 v39, vcc_lo, s11, v22, vcc_lo
	v_add_co_u32 v36, vcc_lo, s10, v36
	v_lshlrev_b64 v[21:22], 1, v[34:35]
	v_add_co_ci_u32_e32 v37, vcc_lo, s11, v37, vcc_lo
	v_add_co_u32 v34, vcc_lo, s14, v23
	v_add_co_ci_u32_e32 v35, vcc_lo, s15, v24, vcc_lo
	s_delay_alu instid0(VALU_DEP_4)
	v_add_co_u32 v40, vcc_lo, s18, v21
	v_add_co_ci_u32_e32 v41, vcc_lo, s19, v22, vcc_lo
	s_clause 0x3
	global_load_u16 v22, v[30:31], off
	global_load_u16 v17, v[32:33], off
	;; [unrolled: 1-line block ×6, first 2 shown]
	v_mov_b32_e32 v19, 0
	v_mov_b32_e32 v25, 0
	s_and_not1_b32 vcc_lo, exec_lo, s35
	s_cbranch_vccnz .LBB29_5
; %bb.4:                                ;   in Loop: Header=BB29_3 Depth=1
	v_mul_hi_u32 v25, v11, v9
	s_delay_alu instid0(VALU_DEP_1) | instskip(SKIP_1) | instid1(VALU_DEP_2)
	v_mul_lo_u32 v31, v25, s47
	v_add_nc_u32_e32 v32, 1, v25
	v_sub_nc_u32_e32 v31, v11, v31
	s_delay_alu instid0(VALU_DEP_1) | instskip(SKIP_1) | instid1(VALU_DEP_4)
	v_subrev_nc_u32_e32 v33, s47, v31
	v_cmp_le_u32_e32 vcc_lo, s47, v31
	v_cndmask_b32_e32 v25, v25, v32, vcc_lo
	s_delay_alu instid0(VALU_DEP_3) | instskip(SKIP_1) | instid1(VALU_DEP_3)
	v_cndmask_b32_e32 v31, v31, v33, vcc_lo
	v_xor_b32_e32 v33, s53, v12
	v_add_nc_u32_e32 v32, 1, v25
	s_delay_alu instid0(VALU_DEP_3) | instskip(NEXT) | instid1(VALU_DEP_2)
	v_cmp_le_u32_e32 vcc_lo, s47, v31
	v_cndmask_b32_e32 v25, v25, v32, vcc_lo
	s_delay_alu instid0(VALU_DEP_1) | instskip(NEXT) | instid1(VALU_DEP_1)
	v_xor_b32_e32 v25, v25, v33
	v_sub_nc_u32_e32 v33, v25, v33
	s_delay_alu instid0(VALU_DEP_1) | instskip(NEXT) | instid1(VALU_DEP_1)
	v_mad_u64_u32 v[31:32], null, s59, v33, v[1:2]
	v_mul_lo_u32 v25, v31, s9
	s_delay_alu instid0(VALU_DEP_1) | instskip(NEXT) | instid1(VALU_DEP_1)
	v_mad_u64_u32 v[31:32], null, v33, s8, v[25:26]
	v_ashrrev_i32_e32 v32, 31, v31
	s_delay_alu instid0(VALU_DEP_1) | instskip(NEXT) | instid1(VALU_DEP_1)
	v_lshlrev_b64 v[31:32], 1, v[31:32]
	v_add_co_u32 v31, vcc_lo, s4, v31
	s_delay_alu instid0(VALU_DEP_2)
	v_add_co_ci_u32_e32 v32, vcc_lo, s5, v32, vcc_lo
	global_load_u16 v25, v[31:32], off
	s_waitcnt vmcnt(0)
	v_lshlrev_b32_e32 v25, 16, v25
.LBB29_5:                               ;   in Loop: Header=BB29_3 Depth=1
	s_and_not1_b32 vcc_lo, exec_lo, s36
	s_cbranch_vccnz .LBB29_7
; %bb.6:                                ;   in Loop: Header=BB29_3 Depth=1
	v_mul_hi_u32 v19, v11, v10
	s_delay_alu instid0(VALU_DEP_1) | instskip(NEXT) | instid1(VALU_DEP_1)
	v_mul_lo_u32 v31, v19, s48
	v_sub_nc_u32_e32 v31, v11, v31
	s_delay_alu instid0(VALU_DEP_1) | instskip(SKIP_1) | instid1(VALU_DEP_2)
	v_subrev_nc_u32_e32 v33, s48, v31
	v_cmp_le_u32_e32 vcc_lo, s48, v31
	v_dual_cndmask_b32 v31, v31, v33 :: v_dual_add_nc_u32 v32, 1, v19
	s_delay_alu instid0(VALU_DEP_1) | instskip(SKIP_1) | instid1(VALU_DEP_3)
	v_cndmask_b32_e32 v19, v19, v32, vcc_lo
	v_xor_b32_e32 v33, s54, v12
	v_cmp_le_u32_e32 vcc_lo, s48, v31
	s_delay_alu instid0(VALU_DEP_3) | instskip(NEXT) | instid1(VALU_DEP_1)
	v_add_nc_u32_e32 v32, 1, v19
	v_cndmask_b32_e32 v19, v19, v32, vcc_lo
	s_delay_alu instid0(VALU_DEP_1) | instskip(NEXT) | instid1(VALU_DEP_1)
	v_xor_b32_e32 v19, v19, v33
	v_sub_nc_u32_e32 v33, v19, v33
	s_delay_alu instid0(VALU_DEP_1) | instskip(NEXT) | instid1(VALU_DEP_1)
	v_mad_u64_u32 v[31:32], null, s60, v33, v[1:2]
	v_mul_lo_u32 v19, v31, s21
	s_delay_alu instid0(VALU_DEP_1) | instskip(NEXT) | instid1(VALU_DEP_1)
	v_mad_u64_u32 v[31:32], null, v33, s20, v[19:20]
	v_ashrrev_i32_e32 v32, 31, v31
	s_delay_alu instid0(VALU_DEP_1) | instskip(NEXT) | instid1(VALU_DEP_1)
	v_lshlrev_b64 v[31:32], 1, v[31:32]
	v_add_co_u32 v31, vcc_lo, s6, v31
	s_delay_alu instid0(VALU_DEP_2)
	v_add_co_ci_u32_e32 v32, vcc_lo, s7, v32, vcc_lo
	global_load_u16 v19, v[31:32], off
	s_waitcnt vmcnt(0)
	v_lshlrev_b32_e32 v19, 16, v19
.LBB29_7:                               ;   in Loop: Header=BB29_3 Depth=1
	s_waitcnt vmcnt(0)
	v_lshlrev_b32_e32 v30, 16, v30
                                        ; implicit-def: $vgpr31
	s_delay_alu instid0(VALU_DEP_1) | instskip(NEXT) | instid1(VALU_DEP_1)
	v_cmp_ngt_f32_e64 s0, 0x3f200000, |v30|
	s_and_saveexec_b32 s1, s0
	s_delay_alu instid0(SALU_CYCLE_1)
	s_xor_b32 s0, exec_lo, s1
	s_cbranch_execz .LBB29_9
; %bb.8:                                ;   in Loop: Header=BB29_3 Depth=1
	v_add_f32_e64 v31, |v30|, |v30|
	s_delay_alu instid0(VALU_DEP_1) | instskip(SKIP_1) | instid1(VALU_DEP_2)
	v_mul_f32_e32 v32, 0x3fb8aa3b, v31
	v_cmp_ngt_f32_e32 vcc_lo, 0xc2ce8ed0, v31
	v_rndne_f32_e32 v33, v32
	v_fma_f32 v34, 0x3fb8aa3b, v31, -v32
	s_delay_alu instid0(VALU_DEP_2) | instskip(NEXT) | instid1(VALU_DEP_2)
	v_sub_f32_e32 v32, v32, v33
	v_fmac_f32_e32 v34, 0x32a5705f, v31
	v_cvt_i32_f32_e32 v33, v33
	s_delay_alu instid0(VALU_DEP_2) | instskip(NEXT) | instid1(VALU_DEP_1)
	v_add_f32_e32 v32, v32, v34
	v_exp_f32_e32 v32, v32
	s_waitcnt_depctr 0xfff
	v_ldexp_f32 v32, v32, v33
	s_delay_alu instid0(VALU_DEP_1) | instskip(SKIP_1) | instid1(VALU_DEP_2)
	v_cndmask_b32_e32 v32, 0, v32, vcc_lo
	v_cmp_nlt_f32_e32 vcc_lo, 0x42b17218, v31
	v_cndmask_b32_e32 v31, 0x7f800000, v32, vcc_lo
	s_delay_alu instid0(VALU_DEP_1) | instskip(NEXT) | instid1(VALU_DEP_1)
	v_add_f32_e32 v31, 1.0, v31
	v_rcp_f32_e32 v31, v31
	s_waitcnt_depctr 0xfff
	v_fma_f32 v31, v31, -2.0, 1.0
.LBB29_9:                               ;   in Loop: Header=BB29_3 Depth=1
	s_and_not1_saveexec_b32 s0, s0
	s_cbranch_execz .LBB29_2
; %bb.10:                               ;   in Loop: Header=BB29_3 Depth=1
	v_mul_f32_e32 v31, v30, v30
	s_delay_alu instid0(VALU_DEP_1) | instskip(NEXT) | instid1(VALU_DEP_1)
	v_fmaak_f32 v32, s61, v31, 0x3ca908c9
	v_fmaak_f32 v32, v31, v32, 0xbd5c1c4e
	s_delay_alu instid0(VALU_DEP_1) | instskip(NEXT) | instid1(VALU_DEP_1)
	v_fmaak_f32 v32, v31, v32, 0x3e088382
	v_fmaak_f32 v32, v31, v32, 0xbeaaaa99
	s_delay_alu instid0(VALU_DEP_1) | instskip(NEXT) | instid1(VALU_DEP_1)
	v_mul_f32_e64 v32, |v30|, v32
	v_fma_f32 v31, v31, v32, |v30|
	s_branch .LBB29_2
.LBB29_11:
	s_nop 0
	s_sendmsg sendmsg(MSG_DEALLOC_VGPRS)
	s_endpgm
	.section	.rodata,"a",@progbits
	.p2align	6, 0x0
	.amdhsa_kernel _ZN2at6native12_GLOBAL__N_16kernel18lstm_cell_backwardIN3c108BFloat16EfiLi2EEEvNS_4cuda6detail10TensorInfoIT_T1_EESB_SB_SB_SB_SB_SB_SA_SA_
		.amdhsa_group_segment_fixed_size 0
		.amdhsa_private_segment_fixed_size 0
		.amdhsa_kernarg_size 1776
		.amdhsa_user_sgpr_count 15
		.amdhsa_user_sgpr_dispatch_ptr 0
		.amdhsa_user_sgpr_queue_ptr 0
		.amdhsa_user_sgpr_kernarg_segment_ptr 1
		.amdhsa_user_sgpr_dispatch_id 0
		.amdhsa_user_sgpr_private_segment_size 0
		.amdhsa_wavefront_size32 1
		.amdhsa_uses_dynamic_stack 0
		.amdhsa_enable_private_segment 0
		.amdhsa_system_sgpr_workgroup_id_x 1
		.amdhsa_system_sgpr_workgroup_id_y 0
		.amdhsa_system_sgpr_workgroup_id_z 0
		.amdhsa_system_sgpr_workgroup_info 0
		.amdhsa_system_vgpr_workitem_id 0
		.amdhsa_next_free_vgpr 45
		.amdhsa_next_free_sgpr 62
		.amdhsa_reserve_vcc 1
		.amdhsa_float_round_mode_32 0
		.amdhsa_float_round_mode_16_64 0
		.amdhsa_float_denorm_mode_32 3
		.amdhsa_float_denorm_mode_16_64 3
		.amdhsa_dx10_clamp 1
		.amdhsa_ieee_mode 1
		.amdhsa_fp16_overflow 0
		.amdhsa_workgroup_processor_mode 1
		.amdhsa_memory_ordered 1
		.amdhsa_forward_progress 0
		.amdhsa_shared_vgpr_count 0
		.amdhsa_exception_fp_ieee_invalid_op 0
		.amdhsa_exception_fp_denorm_src 0
		.amdhsa_exception_fp_ieee_div_zero 0
		.amdhsa_exception_fp_ieee_overflow 0
		.amdhsa_exception_fp_ieee_underflow 0
		.amdhsa_exception_fp_ieee_inexact 0
		.amdhsa_exception_int_div_zero 0
	.end_amdhsa_kernel
	.section	.text._ZN2at6native12_GLOBAL__N_16kernel18lstm_cell_backwardIN3c108BFloat16EfiLi2EEEvNS_4cuda6detail10TensorInfoIT_T1_EESB_SB_SB_SB_SB_SB_SA_SA_,"axG",@progbits,_ZN2at6native12_GLOBAL__N_16kernel18lstm_cell_backwardIN3c108BFloat16EfiLi2EEEvNS_4cuda6detail10TensorInfoIT_T1_EESB_SB_SB_SB_SB_SB_SA_SA_,comdat
.Lfunc_end29:
	.size	_ZN2at6native12_GLOBAL__N_16kernel18lstm_cell_backwardIN3c108BFloat16EfiLi2EEEvNS_4cuda6detail10TensorInfoIT_T1_EESB_SB_SB_SB_SB_SB_SA_SA_, .Lfunc_end29-_ZN2at6native12_GLOBAL__N_16kernel18lstm_cell_backwardIN3c108BFloat16EfiLi2EEEvNS_4cuda6detail10TensorInfoIT_T1_EESB_SB_SB_SB_SB_SB_SA_SA_
                                        ; -- End function
	.section	.AMDGPU.csdata,"",@progbits
; Kernel info:
; codeLenInByte = 3568
; NumSgprs: 64
; NumVgprs: 45
; ScratchSize: 0
; MemoryBound: 0
; FloatMode: 240
; IeeeMode: 1
; LDSByteSize: 0 bytes/workgroup (compile time only)
; SGPRBlocks: 7
; VGPRBlocks: 5
; NumSGPRsForWavesPerEU: 64
; NumVGPRsForWavesPerEU: 45
; Occupancy: 16
; WaveLimiterHint : 1
; COMPUTE_PGM_RSRC2:SCRATCH_EN: 0
; COMPUTE_PGM_RSRC2:USER_SGPR: 15
; COMPUTE_PGM_RSRC2:TRAP_HANDLER: 0
; COMPUTE_PGM_RSRC2:TGID_X_EN: 1
; COMPUTE_PGM_RSRC2:TGID_Y_EN: 0
; COMPUTE_PGM_RSRC2:TGID_Z_EN: 0
; COMPUTE_PGM_RSRC2:TIDIG_COMP_CNT: 0
	.section	.text._ZN2at6native12_GLOBAL__N_16kernel18lstm_cell_backwardIN3c108BFloat16EflLi1EEEvNS_4cuda6detail10TensorInfoIT_T1_EESB_SB_SB_SB_SB_SB_SA_SA_,"axG",@progbits,_ZN2at6native12_GLOBAL__N_16kernel18lstm_cell_backwardIN3c108BFloat16EflLi1EEEvNS_4cuda6detail10TensorInfoIT_T1_EESB_SB_SB_SB_SB_SB_SA_SA_,comdat
	.globl	_ZN2at6native12_GLOBAL__N_16kernel18lstm_cell_backwardIN3c108BFloat16EflLi1EEEvNS_4cuda6detail10TensorInfoIT_T1_EESB_SB_SB_SB_SB_SB_SA_SA_ ; -- Begin function _ZN2at6native12_GLOBAL__N_16kernel18lstm_cell_backwardIN3c108BFloat16EflLi1EEEvNS_4cuda6detail10TensorInfoIT_T1_EESB_SB_SB_SB_SB_SB_SA_SA_
	.p2align	8
	.type	_ZN2at6native12_GLOBAL__N_16kernel18lstm_cell_backwardIN3c108BFloat16EflLi1EEEvNS_4cuda6detail10TensorInfoIT_T1_EESB_SB_SB_SB_SB_SB_SA_SA_,@function
_ZN2at6native12_GLOBAL__N_16kernel18lstm_cell_backwardIN3c108BFloat16EflLi1EEEvNS_4cuda6detail10TensorInfoIT_T1_EESB_SB_SB_SB_SB_SB_SA_SA_: ; @_ZN2at6native12_GLOBAL__N_16kernel18lstm_cell_backwardIN3c108BFloat16EflLi1EEEvNS_4cuda6detail10TensorInfoIT_T1_EESB_SB_SB_SB_SB_SB_SA_SA_
; %bb.0:
	s_clause 0x1
	s_load_b32 s8, s[0:1], 0xb7c
	s_load_b128 s[4:7], s[0:1], 0xb60
	v_mov_b32_e32 v1, 0
	s_add_u32 s2, s0, 0xb70
	s_addc_u32 s3, s1, 0
	s_waitcnt lgkmcnt(0)
	s_and_b32 s14, s8, 0xffff
	s_mov_b32 s8, exec_lo
	v_mad_u64_u32 v[3:4], null, s15, s14, v[0:1]
	v_mov_b32_e32 v4, v1
	s_delay_alu instid0(VALU_DEP_1)
	v_cmpx_gt_i64_e64 s[6:7], v[3:4]
	s_cbranch_execz .LBB30_15
; %bb.1:
	s_clause 0x2
	s_load_b64 s[16:17], s[0:1], 0x410
	s_load_b64 s[36:37], s[0:1], 0x340
	;; [unrolled: 1-line block ×3, first 2 shown]
	s_load_b32 s15, s[2:3], 0x0
	s_clause 0xa
	s_load_b64 s[22:23], s[0:1], 0x820
	s_load_b64 s[38:39], s[0:1], 0x4e0
	;; [unrolled: 1-line block ×11, first 2 shown]
	s_mul_i32 s33, s5, 3
	s_mul_hi_u32 s34, s4, 3
	s_mov_b32 s28, 0
	s_waitcnt lgkmcnt(0)
	v_mul_lo_u32 v0, 0, s16
	v_mul_lo_u32 v2, v3, s17
	v_mad_u64_u32 v[5:6], null, v3, s16, 0
	s_cmp_lg_u64 s[20:21], 0
	s_mul_i32 s29, s15, s14
	v_mul_lo_u32 v9, 0, s40
	v_mad_u64_u32 v[7:8], null, v3, s40, 0
	v_mad_u64_u32 v[11:12], null, v3, s26, 0
	s_delay_alu instid0(VALU_DEP_4) | instskip(SKIP_3) | instid1(VALU_DEP_4)
	v_add3_u32 v6, v6, v2, v0
	v_mul_lo_u32 v0, v3, s41
	v_mad_u64_u32 v[13:14], null, v3, s24, 0
	v_mul_lo_u32 v2, v3, s1
	v_lshlrev_b64 v[5:6], 1, v[5:6]
	s_cselect_b32 s30, -1, 0
	s_cmp_lg_u64 s[22:23], 0
	s_mul_i32 s1, s29, s1
	s_delay_alu instid0(VALU_DEP_4) | instskip(SKIP_3) | instid1(VALU_DEP_4)
	v_add3_u32 v8, v8, v0, v9
	v_mul_lo_u32 v0, 0, s0
	v_mad_u64_u32 v[9:10], null, v3, s0, 0
	v_add_co_u32 v5, vcc_lo, s36, v5
	v_lshlrev_b64 v[7:8], 1, v[7:8]
	v_add_co_ci_u32_e32 v6, vcc_lo, s37, v6, vcc_lo
	s_mul_hi_u32 s35, s29, s0
	s_delay_alu instid0(VALU_DEP_4) | instskip(SKIP_3) | instid1(VALU_DEP_4)
	v_add3_u32 v10, v10, v2, v0
	v_mul_lo_u32 v0, 0, s26
	v_mul_lo_u32 v2, v3, s27
	v_add_co_u32 v7, vcc_lo, s38, v7
	v_lshlrev_b64 v[9:10], 1, v[9:10]
	v_add_co_ci_u32_e32 v8, vcc_lo, s39, v8, vcc_lo
	s_cselect_b32 s31, -1, 0
	s_add_i32 s1, s35, s1
	s_delay_alu instid0(VALU_DEP_4) | instskip(SKIP_3) | instid1(VALU_DEP_4)
	v_add3_u32 v12, v12, v2, v0
	v_mul_lo_u32 v0, 0, s24
	v_mul_lo_u32 v2, v3, s25
	v_add_co_u32 v9, vcc_lo, s18, v9
	v_lshlrev_b64 v[11:12], 1, v[11:12]
	v_add_co_ci_u32_e32 v10, vcc_lo, s19, v10, vcc_lo
	s_mul_i32 s0, s29, s0
	s_mul_i32 s14, s29, s17
	s_delay_alu instid0(VALU_DEP_4) | instskip(NEXT) | instid1(VALU_DEP_3)
	v_add3_u32 v14, v14, v2, v0
	v_add_co_u32 v11, vcc_lo, s20, v11
	s_mul_hi_u32 s15, s29, s16
	s_lshl_b64 s[18:19], s[0:1], 1
	s_delay_alu instid0(VALU_DEP_2) | instskip(SKIP_4) | instid1(VALU_DEP_2)
	v_lshlrev_b64 v[13:14], 1, v[13:14]
	s_mul_i32 s0, s29, s27
	s_mul_hi_u32 s1, s29, s26
	v_add_co_ci_u32_e32 v12, vcc_lo, s21, v12, vcc_lo
	s_add_i32 s15, s15, s14
	v_add_co_u32 v13, vcc_lo, s22, v13
	s_mul_i32 s14, s29, s16
	s_mul_i32 s16, s29, s41
	s_mul_hi_u32 s17, s29, s40
	s_add_i32 s1, s1, s0
	s_mul_i32 s0, s29, s26
	s_mul_i32 s25, s29, s25
	s_mul_hi_u32 s26, s29, s24
	v_add_co_ci_u32_e32 v14, vcc_lo, s23, v14, vcc_lo
	s_add_i32 s17, s17, s16
	s_mul_i32 s16, s29, s40
	s_lshl_b64 s[20:21], s[0:1], 1
	s_add_i32 s1, s26, s25
	s_mul_i32 s0, s29, s24
	s_add_i32 s33, s34, s33
	s_mul_i32 s34, s4, 3
	s_lshl_b64 s[14:15], s[14:15], 1
	s_lshl_b64 s[16:17], s[16:17], 1
	;; [unrolled: 1-line block ×3, first 2 shown]
	s_ashr_i32 s24, s5, 31
	s_mov_b32 s1, 0xbbbac73d
	s_branch .LBB30_3
.LBB30_2:                               ;   in Loop: Header=BB30_3 Depth=1
	s_or_b32 exec_lo, exec_lo, s0
	v_mul_lo_u32 v2, v2, s12
	v_mul_lo_u32 v34, v17, s13
	v_mad_u64_u32 v[30:31], null, v17, s12, 0
	v_mul_lo_u32 v17, v27, s12
	v_mul_lo_u32 v27, v18, s13
	v_mad_u64_u32 v[32:33], null, v18, s12, 0
	v_add_co_u32 v13, s0, v13, s22
	v_add3_u32 v31, v31, v34, v2
	v_mul_lo_u32 v2, v25, s12
	v_mul_lo_u32 v25, v20, s13
	v_lshlrev_b32_e32 v34, 16, v26
	v_add3_u32 v33, v33, v27, v17
	v_lshlrev_b64 v[17:18], 1, v[30:31]
	v_mad_u64_u32 v[30:31], null, v20, s12, 0
	s_delay_alu instid0(VALU_DEP_4) | instskip(NEXT) | instid1(VALU_DEP_4)
	v_mul_f32_e32 v20, v22, v34
	v_lshlrev_b64 v[32:33], 1, v[32:33]
	v_add_co_ci_u32_e64 v14, s0, s23, v14, s0
	v_add_co_u32 v17, vcc_lo, s10, v17
	v_add3_u32 v31, v31, v25, v2
	v_bfi_b32 v2, 0x7fffffff, v29, v28
	v_add_co_ci_u32_e32 v18, vcc_lo, s11, v18, vcc_lo
	v_add_co_u32 v25, vcc_lo, s10, v32
	s_delay_alu instid0(VALU_DEP_4) | instskip(NEXT) | instid1(VALU_DEP_4)
	v_lshlrev_b64 v[27:28], 1, v[30:31]
	v_fma_f32 v31, -v2, v2, 1.0
	v_lshlrev_b32_e32 v21, 16, v21
	v_add_co_ci_u32_e32 v26, vcc_lo, s11, v33, vcc_lo
	v_mul_lo_u32 v32, v16, s12
	s_delay_alu instid0(VALU_DEP_4)
	v_fmac_f32_e32 v0, v20, v31
	v_lshlrev_b32_e32 v20, 16, v23
	v_mul_lo_u32 v33, v15, s13
	v_mad_u64_u32 v[29:30], null, v15, s12, 0
	v_lshlrev_b32_e32 v23, 16, v24
	v_lshlrev_b32_e32 v24, 16, v19
	v_add_co_u32 v15, vcc_lo, s10, v27
	v_sub_f32_e32 v27, 1.0, v21
	v_dual_mul_f32 v19, v0, v20 :: v_dual_mul_f32 v2, v22, v2
	v_add3_u32 v30, v30, v33, v32
	v_add_co_ci_u32_e32 v16, vcc_lo, s11, v28, vcc_lo
	s_delay_alu instid0(VALU_DEP_3) | instskip(SKIP_1) | instid1(VALU_DEP_2)
	v_dual_mul_f32 v19, v27, v19 :: v_dual_mul_f32 v22, v0, v21
	v_fma_f32 v27, -v20, v20, 1.0
	v_mul_f32_e32 v21, v19, v21
	v_dual_mul_f32 v23, v0, v23 :: v_dual_sub_f32 v28, 1.0, v24
	v_lshlrev_b64 v[19:20], 1, v[29:30]
	v_mul_f32_e32 v0, v0, v24
	s_delay_alu instid0(VALU_DEP_3) | instskip(NEXT) | instid1(VALU_DEP_3)
	v_dual_mul_f32 v23, v28, v23 :: v_dual_sub_f32 v28, 1.0, v34
	v_add_co_u32 v19, vcc_lo, s10, v19
	s_delay_alu instid0(VALU_DEP_4) | instskip(NEXT) | instid1(VALU_DEP_3)
	v_add_co_ci_u32_e32 v20, vcc_lo, s11, v20, vcc_lo
	v_mul_f32_e32 v23, v23, v24
	v_cmp_o_f32_e32 vcc_lo, v21, v21
	v_mul_f32_e32 v22, v27, v22
	v_bfe_u32 v27, v21, 16, 1
	v_bfe_u32 v30, v0, 16, 1
	s_delay_alu instid0(VALU_DEP_2) | instskip(NEXT) | instid1(VALU_DEP_1)
	v_add3_u32 v27, v21, v27, 0x7fff
	v_lshrrev_b32_e32 v24, 16, v27
	s_delay_alu instid0(VALU_DEP_1) | instskip(SKIP_4) | instid1(VALU_DEP_2)
	v_cndmask_b32_e32 v21, 0x7fc0, v24, vcc_lo
	v_cmp_o_f32_e32 vcc_lo, v23, v23
	v_mul_f32_e32 v2, v28, v2
	v_bfe_u32 v28, v23, 16, 1
	v_bfe_u32 v29, v22, 16, 1
	v_add3_u32 v27, v23, v28, 0x7fff
	s_delay_alu instid0(VALU_DEP_2) | instskip(NEXT) | instid1(VALU_DEP_2)
	v_add3_u32 v28, v22, v29, 0x7fff
	v_lshrrev_b32_e32 v24, 16, v27
	s_delay_alu instid0(VALU_DEP_2) | instskip(NEXT) | instid1(VALU_DEP_2)
	v_lshrrev_b32_e32 v28, 16, v28
	v_dual_cndmask_b32 v23, 0x7fc0, v24 :: v_dual_mul_f32 v2, v2, v34
	v_cmp_o_f32_e32 vcc_lo, v22, v22
	s_delay_alu instid0(VALU_DEP_2) | instskip(NEXT) | instid1(VALU_DEP_4)
	v_bfe_u32 v29, v2, 16, 1
	v_cndmask_b32_e32 v22, 0x7fc0, v28, vcc_lo
	v_cmp_o_f32_e32 vcc_lo, v2, v2
	s_delay_alu instid0(VALU_DEP_3) | instskip(SKIP_1) | instid1(VALU_DEP_2)
	v_add3_u32 v27, v2, v29, 0x7fff
	v_add3_u32 v29, v0, v30, 0x7fff
	v_lshrrev_b32_e32 v24, 16, v27
	s_delay_alu instid0(VALU_DEP_2) | instskip(NEXT) | instid1(VALU_DEP_2)
	v_lshrrev_b32_e32 v27, 16, v29
	v_cndmask_b32_e32 v2, 0x7fc0, v24, vcc_lo
	v_cmp_o_f32_e32 vcc_lo, v0, v0
	s_delay_alu instid0(VALU_DEP_3)
	v_cndmask_b32_e32 v0, 0x7fc0, v27, vcc_lo
	v_add_co_u32 v3, vcc_lo, v3, s29
	v_add_co_ci_u32_e32 v4, vcc_lo, 0, v4, vcc_lo
	v_add_co_u32 v5, vcc_lo, v5, s14
	v_add_co_ci_u32_e32 v6, vcc_lo, s15, v6, vcc_lo
	;; [unrolled: 2-line block ×3, first 2 shown]
	s_clause 0x3
	global_store_b16 v[17:18], v21, off
	global_store_b16 v[25:26], v23, off
	;; [unrolled: 1-line block ×5, first 2 shown]
	v_add_co_u32 v9, vcc_lo, v9, s18
	v_add_co_ci_u32_e32 v10, vcc_lo, s19, v10, vcc_lo
	v_add_co_u32 v11, vcc_lo, v11, s20
	v_add_co_ci_u32_e32 v12, vcc_lo, s21, v12, vcc_lo
	v_cmp_le_i64_e32 vcc_lo, s[6:7], v[3:4]
	s_or_b32 s28, vcc_lo, s28
	s_delay_alu instid0(SALU_CYCLE_1)
	s_and_not1_b32 exec_lo, exec_lo, s28
	s_cbranch_execz .LBB30_15
.LBB30_3:                               ; =>This Inner Loop Header: Depth=1
	v_or_b32_e32 v2, s5, v4
                                        ; implicit-def: $vgpr15_vgpr16
	s_mov_b32 s0, exec_lo
	s_delay_alu instid0(VALU_DEP_1)
	v_cmpx_ne_u64_e32 0, v[1:2]
	s_xor_b32 s35, exec_lo, s0
	s_cbranch_execz .LBB30_5
; %bb.4:                                ;   in Loop: Header=BB30_3 Depth=1
	s_add_u32 s26, s4, s24
	s_mov_b32 s25, s24
	s_addc_u32 s27, s5, s24
	s_delay_alu instid0(SALU_CYCLE_1) | instskip(NEXT) | instid1(SALU_CYCLE_1)
	s_xor_b64 s[26:27], s[26:27], s[24:25]
	v_cvt_f32_u32_e32 v0, s26
	v_cvt_f32_u32_e32 v2, s27
	s_sub_u32 s0, 0, s26
	s_subb_u32 s25, 0, s27
	s_delay_alu instid0(VALU_DEP_1) | instskip(NEXT) | instid1(VALU_DEP_1)
	v_fmac_f32_e32 v0, 0x4f800000, v2
	v_rcp_f32_e32 v0, v0
	s_waitcnt_depctr 0xfff
	v_mul_f32_e32 v0, 0x5f7ffffc, v0
	s_delay_alu instid0(VALU_DEP_1) | instskip(NEXT) | instid1(VALU_DEP_1)
	v_mul_f32_e32 v2, 0x2f800000, v0
	v_trunc_f32_e32 v2, v2
	s_delay_alu instid0(VALU_DEP_1) | instskip(SKIP_1) | instid1(VALU_DEP_2)
	v_fmac_f32_e32 v0, 0xcf800000, v2
	v_cvt_u32_f32_e32 v2, v2
	v_cvt_u32_f32_e32 v0, v0
	s_delay_alu instid0(VALU_DEP_2) | instskip(NEXT) | instid1(VALU_DEP_2)
	v_mul_lo_u32 v15, s0, v2
	v_mul_hi_u32 v16, s0, v0
	v_mul_lo_u32 v17, s25, v0
	s_delay_alu instid0(VALU_DEP_2) | instskip(SKIP_1) | instid1(VALU_DEP_2)
	v_add_nc_u32_e32 v15, v16, v15
	v_mul_lo_u32 v16, s0, v0
	v_add_nc_u32_e32 v15, v15, v17
	s_delay_alu instid0(VALU_DEP_2) | instskip(NEXT) | instid1(VALU_DEP_2)
	v_mul_hi_u32 v17, v0, v16
	v_mul_lo_u32 v18, v0, v15
	v_mul_hi_u32 v19, v0, v15
	v_mul_hi_u32 v20, v2, v16
	v_mul_lo_u32 v16, v2, v16
	v_mul_hi_u32 v21, v2, v15
	v_mul_lo_u32 v15, v2, v15
	v_add_co_u32 v17, vcc_lo, v17, v18
	v_add_co_ci_u32_e32 v18, vcc_lo, 0, v19, vcc_lo
	s_delay_alu instid0(VALU_DEP_2) | instskip(NEXT) | instid1(VALU_DEP_2)
	v_add_co_u32 v16, vcc_lo, v17, v16
	v_add_co_ci_u32_e32 v16, vcc_lo, v18, v20, vcc_lo
	v_add_co_ci_u32_e32 v17, vcc_lo, 0, v21, vcc_lo
	v_ashrrev_i32_e32 v21, 31, v4
	s_delay_alu instid0(VALU_DEP_3) | instskip(NEXT) | instid1(VALU_DEP_3)
	v_add_co_u32 v15, vcc_lo, v16, v15
	v_add_co_ci_u32_e32 v16, vcc_lo, 0, v17, vcc_lo
	s_delay_alu instid0(VALU_DEP_2) | instskip(NEXT) | instid1(VALU_DEP_2)
	v_add_co_u32 v0, vcc_lo, v0, v15
	v_add_co_ci_u32_e32 v2, vcc_lo, v2, v16, vcc_lo
	s_delay_alu instid0(VALU_DEP_2) | instskip(SKIP_1) | instid1(VALU_DEP_3)
	v_mul_hi_u32 v15, s0, v0
	v_mul_lo_u32 v17, s25, v0
	v_mul_lo_u32 v16, s0, v2
	s_delay_alu instid0(VALU_DEP_1) | instskip(SKIP_1) | instid1(VALU_DEP_2)
	v_add_nc_u32_e32 v15, v15, v16
	v_mul_lo_u32 v16, s0, v0
	v_add_nc_u32_e32 v15, v15, v17
	s_delay_alu instid0(VALU_DEP_2) | instskip(NEXT) | instid1(VALU_DEP_2)
	v_mul_hi_u32 v17, v0, v16
	v_mul_lo_u32 v18, v0, v15
	v_mul_hi_u32 v19, v0, v15
	v_mul_hi_u32 v20, v2, v16
	v_mul_lo_u32 v16, v2, v16
	v_mul_hi_u32 v22, v2, v15
	v_mul_lo_u32 v15, v2, v15
	v_add_co_u32 v17, vcc_lo, v17, v18
	v_add_co_ci_u32_e32 v18, vcc_lo, 0, v19, vcc_lo
	s_delay_alu instid0(VALU_DEP_2) | instskip(NEXT) | instid1(VALU_DEP_2)
	v_add_co_u32 v16, vcc_lo, v17, v16
	v_add_co_ci_u32_e32 v16, vcc_lo, v18, v20, vcc_lo
	v_add_co_ci_u32_e32 v17, vcc_lo, 0, v22, vcc_lo
	v_add_co_u32 v18, vcc_lo, v3, v21
	v_add_co_ci_u32_e32 v19, vcc_lo, v4, v21, vcc_lo
	s_delay_alu instid0(VALU_DEP_4) | instskip(NEXT) | instid1(VALU_DEP_4)
	v_add_co_u32 v15, vcc_lo, v16, v15
	v_add_co_ci_u32_e32 v16, vcc_lo, 0, v17, vcc_lo
	s_delay_alu instid0(VALU_DEP_4) | instskip(NEXT) | instid1(VALU_DEP_3)
	v_xor_b32_e32 v22, v18, v21
	v_add_co_u32 v0, vcc_lo, v0, v15
	s_delay_alu instid0(VALU_DEP_3) | instskip(SKIP_1) | instid1(VALU_DEP_3)
	v_add_co_ci_u32_e32 v2, vcc_lo, v2, v16, vcc_lo
	v_xor_b32_e32 v23, v19, v21
	v_mul_hi_u32 v24, v22, v0
	s_delay_alu instid0(VALU_DEP_3) | instskip(NEXT) | instid1(VALU_DEP_3)
	v_mad_u64_u32 v[15:16], null, v22, v2, 0
	v_mad_u64_u32 v[17:18], null, v23, v0, 0
	;; [unrolled: 1-line block ×3, first 2 shown]
	s_delay_alu instid0(VALU_DEP_3) | instskip(NEXT) | instid1(VALU_DEP_4)
	v_add_co_u32 v0, vcc_lo, v24, v15
	v_add_co_ci_u32_e32 v2, vcc_lo, 0, v16, vcc_lo
	s_delay_alu instid0(VALU_DEP_2) | instskip(NEXT) | instid1(VALU_DEP_2)
	v_add_co_u32 v0, vcc_lo, v0, v17
	v_add_co_ci_u32_e32 v0, vcc_lo, v2, v18, vcc_lo
	v_add_co_ci_u32_e32 v2, vcc_lo, 0, v20, vcc_lo
	s_delay_alu instid0(VALU_DEP_2) | instskip(NEXT) | instid1(VALU_DEP_2)
	v_add_co_u32 v0, vcc_lo, v0, v19
	v_add_co_ci_u32_e32 v2, vcc_lo, 0, v2, vcc_lo
	s_delay_alu instid0(VALU_DEP_2) | instskip(SKIP_1) | instid1(VALU_DEP_3)
	v_mul_lo_u32 v17, s27, v0
	v_mad_u64_u32 v[15:16], null, s26, v0, 0
	v_mul_lo_u32 v18, s26, v2
	s_delay_alu instid0(VALU_DEP_2) | instskip(NEXT) | instid1(VALU_DEP_2)
	v_sub_co_u32 v15, vcc_lo, v22, v15
	v_add3_u32 v16, v16, v18, v17
	s_delay_alu instid0(VALU_DEP_1) | instskip(NEXT) | instid1(VALU_DEP_1)
	v_sub_nc_u32_e32 v17, v23, v16
	v_subrev_co_ci_u32_e64 v17, s0, s27, v17, vcc_lo
	v_add_co_u32 v18, s0, v0, 2
	s_delay_alu instid0(VALU_DEP_1) | instskip(SKIP_3) | instid1(VALU_DEP_3)
	v_add_co_ci_u32_e64 v19, s0, 0, v2, s0
	v_sub_co_u32 v20, s0, v15, s26
	v_sub_co_ci_u32_e32 v16, vcc_lo, v23, v16, vcc_lo
	v_subrev_co_ci_u32_e64 v17, s0, 0, v17, s0
	v_cmp_le_u32_e32 vcc_lo, s26, v20
	s_delay_alu instid0(VALU_DEP_3) | instskip(SKIP_1) | instid1(VALU_DEP_4)
	v_cmp_eq_u32_e64 s0, s27, v16
	v_cndmask_b32_e64 v20, 0, -1, vcc_lo
	v_cmp_le_u32_e32 vcc_lo, s27, v17
	v_cndmask_b32_e64 v22, 0, -1, vcc_lo
	v_cmp_le_u32_e32 vcc_lo, s26, v15
	;; [unrolled: 2-line block ×3, first 2 shown]
	v_cndmask_b32_e64 v23, 0, -1, vcc_lo
	v_cmp_eq_u32_e32 vcc_lo, s27, v17
	s_delay_alu instid0(VALU_DEP_2) | instskip(SKIP_3) | instid1(VALU_DEP_3)
	v_cndmask_b32_e64 v15, v23, v15, s0
	v_cndmask_b32_e32 v17, v22, v20, vcc_lo
	v_add_co_u32 v20, vcc_lo, v0, 1
	v_add_co_ci_u32_e32 v22, vcc_lo, 0, v2, vcc_lo
	v_cmp_ne_u32_e32 vcc_lo, 0, v17
	s_delay_alu instid0(VALU_DEP_2) | instskip(SKIP_2) | instid1(VALU_DEP_3)
	v_dual_cndmask_b32 v16, v22, v19 :: v_dual_cndmask_b32 v17, v20, v18
	v_cmp_ne_u32_e32 vcc_lo, 0, v15
	v_xor_b32_e32 v18, s24, v21
	v_cndmask_b32_e32 v0, v0, v17, vcc_lo
	s_delay_alu instid0(VALU_DEP_4) | instskip(NEXT) | instid1(VALU_DEP_2)
	v_cndmask_b32_e32 v2, v2, v16, vcc_lo
	v_xor_b32_e32 v0, v0, v18
	s_delay_alu instid0(VALU_DEP_2) | instskip(NEXT) | instid1(VALU_DEP_2)
	v_xor_b32_e32 v2, v2, v18
	v_sub_co_u32 v15, vcc_lo, v0, v18
	s_delay_alu instid0(VALU_DEP_2)
	v_sub_co_ci_u32_e32 v16, vcc_lo, v2, v18, vcc_lo
.LBB30_5:                               ;   in Loop: Header=BB30_3 Depth=1
	s_and_not1_saveexec_b32 s0, s35
	s_cbranch_execz .LBB30_7
; %bb.6:                                ;   in Loop: Header=BB30_3 Depth=1
	v_cvt_f32_u32_e32 v0, s4
	s_sub_i32 s25, 0, s4
	s_delay_alu instid0(VALU_DEP_1) | instskip(SKIP_2) | instid1(VALU_DEP_1)
	v_rcp_iflag_f32_e32 v0, v0
	s_waitcnt_depctr 0xfff
	v_mul_f32_e32 v0, 0x4f7ffffe, v0
	v_cvt_u32_f32_e32 v0, v0
	s_delay_alu instid0(VALU_DEP_1) | instskip(NEXT) | instid1(VALU_DEP_1)
	v_mul_lo_u32 v2, s25, v0
	v_mul_hi_u32 v2, v0, v2
	s_delay_alu instid0(VALU_DEP_1) | instskip(NEXT) | instid1(VALU_DEP_1)
	v_add_nc_u32_e32 v0, v0, v2
	v_mul_hi_u32 v0, v3, v0
	s_delay_alu instid0(VALU_DEP_1) | instskip(SKIP_1) | instid1(VALU_DEP_2)
	v_mul_lo_u32 v2, v0, s4
	v_add_nc_u32_e32 v15, 1, v0
	v_sub_nc_u32_e32 v2, v3, v2
	s_delay_alu instid0(VALU_DEP_1) | instskip(SKIP_1) | instid1(VALU_DEP_2)
	v_subrev_nc_u32_e32 v16, s4, v2
	v_cmp_le_u32_e32 vcc_lo, s4, v2
	v_cndmask_b32_e32 v2, v2, v16, vcc_lo
	v_mov_b32_e32 v16, v1
	v_cndmask_b32_e32 v0, v0, v15, vcc_lo
	s_delay_alu instid0(VALU_DEP_3) | instskip(NEXT) | instid1(VALU_DEP_2)
	v_cmp_le_u32_e32 vcc_lo, s4, v2
	v_add_nc_u32_e32 v15, 1, v0
	s_delay_alu instid0(VALU_DEP_1)
	v_cndmask_b32_e32 v15, v0, v15, vcc_lo
.LBB30_7:                               ;   in Loop: Header=BB30_3 Depth=1
	s_or_b32 exec_lo, exec_lo, s0
	s_delay_alu instid0(VALU_DEP_1) | instskip(SKIP_3) | instid1(VALU_DEP_4)
	v_mad_u64_u32 v[20:21], null, v15, 3, 0
	v_mad_u64_u32 v[17:18], null, s34, v15, v[3:4]
	v_mul_lo_u32 v2, s34, v16
	v_mul_lo_u32 v15, s33, v15
	v_mov_b32_e32 v0, v21
	v_add_co_u32 v21, vcc_lo, v20, 1
	v_mad_u64_u32 v[22:23], null, v17, s8, 0
	s_delay_alu instid0(VALU_DEP_4) | instskip(NEXT) | instid1(VALU_DEP_4)
	v_add3_u32 v2, v15, v18, v2
	v_mad_u64_u32 v[18:19], null, v16, 3, v[0:1]
	v_mul_lo_u32 v0, v17, s9
	v_mul_lo_u32 v24, s5, v21
	s_delay_alu instid0(VALU_DEP_4) | instskip(NEXT) | instid1(VALU_DEP_4)
	v_mul_lo_u32 v15, v2, s8
	v_mov_b32_e32 v16, v18
	v_mad_u64_u32 v[18:19], null, s4, v21, v[3:4]
	s_delay_alu instid0(VALU_DEP_3) | instskip(NEXT) | instid1(VALU_DEP_3)
	v_add3_u32 v23, v23, v0, v15
	v_add_co_ci_u32_e32 v0, vcc_lo, 0, v16, vcc_lo
	v_add_co_u32 v15, vcc_lo, v20, 2
	v_add_co_ci_u32_e32 v25, vcc_lo, 0, v16, vcc_lo
	s_delay_alu instid0(VALU_DEP_3)
	v_mul_lo_u32 v0, s4, v0
	v_add_co_u32 v27, vcc_lo, v20, 3
	v_add_co_ci_u32_e32 v28, vcc_lo, 0, v16, vcc_lo
	v_mul_lo_u32 v26, s5, v15
	v_mad_u64_u32 v[20:21], null, s4, v15, v[3:4]
	v_mul_lo_u32 v25, s4, v25
	v_mul_lo_u32 v30, s5, v27
	v_mad_u64_u32 v[15:16], null, s4, v27, v[3:4]
	v_add3_u32 v27, v24, v19, v0
	v_mul_lo_u32 v0, s4, v28
	v_mul_lo_u32 v19, v18, s9
	v_mad_u64_u32 v[28:29], null, v18, s8, 0
	s_delay_alu instid0(VALU_DEP_4)
	v_mul_lo_u32 v31, v27, s8
	v_add3_u32 v25, v26, v21, v25
	v_lshlrev_b64 v[21:22], 1, v[22:23]
	v_mul_lo_u32 v26, v20, s9
	v_add3_u32 v16, v30, v16, v0
	v_mad_u64_u32 v[23:24], null, v20, s8, 0
	v_mul_lo_u32 v32, v25, s8
	v_add3_u32 v29, v29, v19, v31
	v_mul_lo_u32 v0, v15, s9
	v_mad_u64_u32 v[30:31], null, v15, s8, 0
	v_mul_lo_u32 v19, v16, s8
	s_delay_alu instid0(VALU_DEP_4) | instskip(SKIP_3) | instid1(VALU_DEP_4)
	v_lshlrev_b64 v[28:29], 1, v[28:29]
	v_add_co_u32 v21, vcc_lo, s2, v21
	v_add3_u32 v24, v24, v26, v32
	v_add_co_ci_u32_e32 v22, vcc_lo, s3, v22, vcc_lo
	v_add_co_u32 v28, vcc_lo, s2, v28
	v_add3_u32 v31, v31, v0, v19
	s_delay_alu instid0(VALU_DEP_4) | instskip(SKIP_2) | instid1(VALU_DEP_4)
	v_lshlrev_b64 v[23:24], 1, v[23:24]
	v_add_co_ci_u32_e32 v29, vcc_lo, s3, v29, vcc_lo
	v_mov_b32_e32 v0, 0
	v_lshlrev_b64 v[30:31], 1, v[30:31]
	s_delay_alu instid0(VALU_DEP_4) | instskip(SKIP_1) | instid1(VALU_DEP_3)
	v_add_co_u32 v23, vcc_lo, s2, v23
	v_add_co_ci_u32_e32 v24, vcc_lo, s3, v24, vcc_lo
	v_add_co_u32 v30, vcc_lo, s2, v30
	s_delay_alu instid0(VALU_DEP_4)
	v_add_co_ci_u32_e32 v31, vcc_lo, s3, v31, vcc_lo
	s_clause 0x3
	global_load_u16 v21, v[21:22], off
	global_load_u16 v19, v[28:29], off
	;; [unrolled: 1-line block ×6, first 2 shown]
	v_mov_b32_e32 v22, 0
	s_and_not1_b32 vcc_lo, exec_lo, s30
	s_cbranch_vccnz .LBB30_9
; %bb.8:                                ;   in Loop: Header=BB30_3 Depth=1
	global_load_u16 v22, v[11:12], off
	s_waitcnt vmcnt(0)
	v_lshlrev_b32_e32 v22, 16, v22
.LBB30_9:                               ;   in Loop: Header=BB30_3 Depth=1
	s_and_not1_b32 vcc_lo, exec_lo, s31
	s_cbranch_vccnz .LBB30_11
; %bb.10:                               ;   in Loop: Header=BB30_3 Depth=1
	global_load_u16 v0, v[13:14], off
	s_waitcnt vmcnt(0)
	v_lshlrev_b32_e32 v0, 16, v0
.LBB30_11:                              ;   in Loop: Header=BB30_3 Depth=1
	s_waitcnt vmcnt(0)
	v_lshlrev_b32_e32 v28, 16, v28
                                        ; implicit-def: $vgpr29
	s_delay_alu instid0(VALU_DEP_1) | instskip(NEXT) | instid1(VALU_DEP_1)
	v_cmp_ngt_f32_e64 s0, 0x3f200000, |v28|
	s_and_saveexec_b32 s25, s0
	s_delay_alu instid0(SALU_CYCLE_1)
	s_xor_b32 s0, exec_lo, s25
	s_cbranch_execz .LBB30_13
; %bb.12:                               ;   in Loop: Header=BB30_3 Depth=1
	v_add_f32_e64 v29, |v28|, |v28|
	s_delay_alu instid0(VALU_DEP_1) | instskip(SKIP_1) | instid1(VALU_DEP_2)
	v_mul_f32_e32 v30, 0x3fb8aa3b, v29
	v_cmp_ngt_f32_e32 vcc_lo, 0xc2ce8ed0, v29
	v_rndne_f32_e32 v31, v30
	v_fma_f32 v32, 0x3fb8aa3b, v29, -v30
	s_delay_alu instid0(VALU_DEP_2) | instskip(NEXT) | instid1(VALU_DEP_2)
	v_sub_f32_e32 v30, v30, v31
	v_fmac_f32_e32 v32, 0x32a5705f, v29
	v_cvt_i32_f32_e32 v31, v31
	s_delay_alu instid0(VALU_DEP_2) | instskip(NEXT) | instid1(VALU_DEP_1)
	v_add_f32_e32 v30, v30, v32
	v_exp_f32_e32 v30, v30
	s_waitcnt_depctr 0xfff
	v_ldexp_f32 v30, v30, v31
	s_delay_alu instid0(VALU_DEP_1) | instskip(SKIP_1) | instid1(VALU_DEP_2)
	v_cndmask_b32_e32 v30, 0, v30, vcc_lo
	v_cmp_nlt_f32_e32 vcc_lo, 0x42b17218, v29
	v_cndmask_b32_e32 v29, 0x7f800000, v30, vcc_lo
	s_delay_alu instid0(VALU_DEP_1) | instskip(NEXT) | instid1(VALU_DEP_1)
	v_add_f32_e32 v29, 1.0, v29
	v_rcp_f32_e32 v29, v29
	s_waitcnt_depctr 0xfff
	v_fma_f32 v29, v29, -2.0, 1.0
.LBB30_13:                              ;   in Loop: Header=BB30_3 Depth=1
	s_and_not1_saveexec_b32 s0, s0
	s_cbranch_execz .LBB30_2
; %bb.14:                               ;   in Loop: Header=BB30_3 Depth=1
	v_mul_f32_e32 v29, v28, v28
	s_delay_alu instid0(VALU_DEP_1) | instskip(NEXT) | instid1(VALU_DEP_1)
	v_fmaak_f32 v30, s1, v29, 0x3ca908c9
	v_fmaak_f32 v30, v29, v30, 0xbd5c1c4e
	s_delay_alu instid0(VALU_DEP_1) | instskip(NEXT) | instid1(VALU_DEP_1)
	v_fmaak_f32 v30, v29, v30, 0x3e088382
	v_fmaak_f32 v30, v29, v30, 0xbeaaaa99
	s_delay_alu instid0(VALU_DEP_1) | instskip(NEXT) | instid1(VALU_DEP_1)
	v_mul_f32_e64 v30, |v28|, v30
	v_fma_f32 v29, v29, v30, |v28|
	s_branch .LBB30_2
.LBB30_15:
	s_nop 0
	s_sendmsg sendmsg(MSG_DEALLOC_VGPRS)
	s_endpgm
	.section	.rodata,"a",@progbits
	.p2align	6, 0x0
	.amdhsa_kernel _ZN2at6native12_GLOBAL__N_16kernel18lstm_cell_backwardIN3c108BFloat16EflLi1EEEvNS_4cuda6detail10TensorInfoIT_T1_EESB_SB_SB_SB_SB_SB_SA_SA_
		.amdhsa_group_segment_fixed_size 0
		.amdhsa_private_segment_fixed_size 0
		.amdhsa_kernarg_size 3184
		.amdhsa_user_sgpr_count 15
		.amdhsa_user_sgpr_dispatch_ptr 0
		.amdhsa_user_sgpr_queue_ptr 0
		.amdhsa_user_sgpr_kernarg_segment_ptr 1
		.amdhsa_user_sgpr_dispatch_id 0
		.amdhsa_user_sgpr_private_segment_size 0
		.amdhsa_wavefront_size32 1
		.amdhsa_uses_dynamic_stack 0
		.amdhsa_enable_private_segment 0
		.amdhsa_system_sgpr_workgroup_id_x 1
		.amdhsa_system_sgpr_workgroup_id_y 0
		.amdhsa_system_sgpr_workgroup_id_z 0
		.amdhsa_system_sgpr_workgroup_info 0
		.amdhsa_system_vgpr_workitem_id 0
		.amdhsa_next_free_vgpr 35
		.amdhsa_next_free_sgpr 42
		.amdhsa_reserve_vcc 1
		.amdhsa_float_round_mode_32 0
		.amdhsa_float_round_mode_16_64 0
		.amdhsa_float_denorm_mode_32 3
		.amdhsa_float_denorm_mode_16_64 3
		.amdhsa_dx10_clamp 1
		.amdhsa_ieee_mode 1
		.amdhsa_fp16_overflow 0
		.amdhsa_workgroup_processor_mode 1
		.amdhsa_memory_ordered 1
		.amdhsa_forward_progress 0
		.amdhsa_shared_vgpr_count 0
		.amdhsa_exception_fp_ieee_invalid_op 0
		.amdhsa_exception_fp_denorm_src 0
		.amdhsa_exception_fp_ieee_div_zero 0
		.amdhsa_exception_fp_ieee_overflow 0
		.amdhsa_exception_fp_ieee_underflow 0
		.amdhsa_exception_fp_ieee_inexact 0
		.amdhsa_exception_int_div_zero 0
	.end_amdhsa_kernel
	.section	.text._ZN2at6native12_GLOBAL__N_16kernel18lstm_cell_backwardIN3c108BFloat16EflLi1EEEvNS_4cuda6detail10TensorInfoIT_T1_EESB_SB_SB_SB_SB_SB_SA_SA_,"axG",@progbits,_ZN2at6native12_GLOBAL__N_16kernel18lstm_cell_backwardIN3c108BFloat16EflLi1EEEvNS_4cuda6detail10TensorInfoIT_T1_EESB_SB_SB_SB_SB_SB_SA_SA_,comdat
.Lfunc_end30:
	.size	_ZN2at6native12_GLOBAL__N_16kernel18lstm_cell_backwardIN3c108BFloat16EflLi1EEEvNS_4cuda6detail10TensorInfoIT_T1_EESB_SB_SB_SB_SB_SB_SA_SA_, .Lfunc_end30-_ZN2at6native12_GLOBAL__N_16kernel18lstm_cell_backwardIN3c108BFloat16EflLi1EEEvNS_4cuda6detail10TensorInfoIT_T1_EESB_SB_SB_SB_SB_SB_SA_SA_
                                        ; -- End function
	.section	.AMDGPU.csdata,"",@progbits
; Kernel info:
; codeLenInByte = 3152
; NumSgprs: 44
; NumVgprs: 35
; ScratchSize: 0
; MemoryBound: 0
; FloatMode: 240
; IeeeMode: 1
; LDSByteSize: 0 bytes/workgroup (compile time only)
; SGPRBlocks: 5
; VGPRBlocks: 4
; NumSGPRsForWavesPerEU: 44
; NumVGPRsForWavesPerEU: 35
; Occupancy: 16
; WaveLimiterHint : 1
; COMPUTE_PGM_RSRC2:SCRATCH_EN: 0
; COMPUTE_PGM_RSRC2:USER_SGPR: 15
; COMPUTE_PGM_RSRC2:TRAP_HANDLER: 0
; COMPUTE_PGM_RSRC2:TGID_X_EN: 1
; COMPUTE_PGM_RSRC2:TGID_Y_EN: 0
; COMPUTE_PGM_RSRC2:TGID_Z_EN: 0
; COMPUTE_PGM_RSRC2:TIDIG_COMP_CNT: 0
	.section	.text._ZN2at6native12_GLOBAL__N_16kernel18lstm_cell_backwardIN3c108BFloat16EflLi2EEEvNS_4cuda6detail10TensorInfoIT_T1_EESB_SB_SB_SB_SB_SB_SA_SA_,"axG",@progbits,_ZN2at6native12_GLOBAL__N_16kernel18lstm_cell_backwardIN3c108BFloat16EflLi2EEEvNS_4cuda6detail10TensorInfoIT_T1_EESB_SB_SB_SB_SB_SB_SA_SA_,comdat
	.globl	_ZN2at6native12_GLOBAL__N_16kernel18lstm_cell_backwardIN3c108BFloat16EflLi2EEEvNS_4cuda6detail10TensorInfoIT_T1_EESB_SB_SB_SB_SB_SB_SA_SA_ ; -- Begin function _ZN2at6native12_GLOBAL__N_16kernel18lstm_cell_backwardIN3c108BFloat16EflLi2EEEvNS_4cuda6detail10TensorInfoIT_T1_EESB_SB_SB_SB_SB_SB_SA_SA_
	.p2align	8
	.type	_ZN2at6native12_GLOBAL__N_16kernel18lstm_cell_backwardIN3c108BFloat16EflLi2EEEvNS_4cuda6detail10TensorInfoIT_T1_EESB_SB_SB_SB_SB_SB_SA_SA_,@function
_ZN2at6native12_GLOBAL__N_16kernel18lstm_cell_backwardIN3c108BFloat16EflLi2EEEvNS_4cuda6detail10TensorInfoIT_T1_EESB_SB_SB_SB_SB_SB_SA_SA_: ; @_ZN2at6native12_GLOBAL__N_16kernel18lstm_cell_backwardIN3c108BFloat16EflLi2EEEvNS_4cuda6detail10TensorInfoIT_T1_EESB_SB_SB_SB_SB_SB_SA_SA_
; %bb.0:
	s_clause 0x1
	s_load_b32 s2, s[0:1], 0xb7c
	s_load_b128 s[4:7], s[0:1], 0xb60
	v_mov_b32_e32 v1, 0
	s_add_u32 s16, s0, 0xb70
	s_addc_u32 s17, s1, 0
	s_waitcnt lgkmcnt(0)
	s_and_b32 s64, s2, 0xffff
	s_mov_b32 s2, exec_lo
	v_mad_u64_u32 v[3:4], null, s15, s64, v[0:1]
	v_mov_b32_e32 v4, v1
	s_delay_alu instid0(VALU_DEP_1)
	v_cmpx_gt_i64_e64 s[6:7], v[3:4]
	s_cbranch_execz .LBB31_68
; %bb.1:
	s_clause 0x6
	s_load_b64 s[2:3], s[0:1], 0x680
	s_load_b64 s[34:35], s[0:1], 0x0
	;; [unrolled: 1-line block ×3, first 2 shown]
	s_load_b128 s[8:11], s[0:1], 0x750
	s_load_b64 s[42:43], s[0:1], 0x820
	s_load_b128 s[12:15], s[0:1], 0xd0
	s_load_b64 s[44:45], s[0:1], 0x1a0
	s_load_b32 s65, s[16:17], 0x0
	s_clause 0xa
	s_load_b64 s[46:47], s[0:1], 0x1b0
	s_load_b128 s[16:19], s[0:1], 0x270
	s_load_b64 s[48:49], s[0:1], 0x340
	s_load_b64 s[50:51], s[0:1], 0x350
	s_load_b128 s[20:23], s[0:1], 0x410
	s_load_b64 s[52:53], s[0:1], 0x4e0
	;; [unrolled: 3-line block ×3, first 2 shown]
	s_load_b64 s[58:59], s[0:1], 0x9c0
	s_load_b64 s[60:61], s[0:1], 0x9d0
	v_cvt_f32_u32_e32 v0, s4
	s_clause 0x2
	s_load_b64 s[62:63], s[0:1], 0x830
	s_load_b128 s[28:31], s[0:1], 0x8f0
	s_load_b128 s[36:39], s[0:1], 0xa90
	s_waitcnt lgkmcnt(0)
	s_cmp_lg_u64 s[2:3], 0
	s_mul_i32 s0, s5, 3
	v_rcp_iflag_f32_e32 v0, v0
	s_cselect_b32 s33, -1, 0
	s_cmp_lg_u64 s[42:43], 0
	s_mul_i32 s68, s65, s64
	s_mul_hi_u32 s64, s4, 3
	s_cselect_b32 s1, -1, 0
	s_add_i32 s70, s64, s0
	s_sub_u32 s72, 0, s50
	s_subb_u32 s73, 0, s51
	s_mov_b32 s69, 0
	s_waitcnt_depctr 0xfff
	v_mul_f32_e32 v0, 0x4f7ffffe, v0
	s_sub_u32 s74, 0, s54
	s_subb_u32 s75, 0, s55
	s_mul_i32 s71, s4, 3
	s_sub_u32 s76, 0, s60
	s_subb_u32 s77, 0, s61
	s_sub_u32 s78, 0, s56
	v_cvt_u32_f32_e32 v0, v0
	s_subb_u32 s79, 0, s57
	s_sub_u32 s80, 0, s62
	s_subb_u32 s81, 0, s63
	s_mov_b32 s82, 0xbbbac73d
	s_branch .LBB31_3
.LBB31_2:                               ;   in Loop: Header=BB31_3 Depth=1
	s_or_b32 exec_lo, exec_lo, s0
	v_mad_u64_u32 v[32:33], null, s76, v21, v[3:4]
	v_mul_lo_u32 v30, s76, v22
	v_mul_lo_u32 v36, s77, v21
	;; [unrolled: 1-line block ×4, first 2 shown]
	v_mad_u64_u32 v[34:35], null, v19, s46, 0
	v_mul_lo_u32 v40, v21, s37
	v_mul_lo_u32 v41, v32, s39
	v_mul_lo_u32 v42, v19, s17
	v_add3_u32 v30, v36, v33, v30
	v_mul_lo_u32 v33, v22, s36
	v_mad_u64_u32 v[36:37], null, v21, s36, 0
	v_add3_u32 v35, v35, v39, v38
	v_sub_co_u32 v11, vcc_lo, v11, v34
	v_mul_lo_u32 v30, v30, s38
	v_mad_u64_u32 v[21:22], null, v32, s38, 0
	s_delay_alu instid0(VALU_DEP_4) | instskip(SKIP_2) | instid1(VALU_DEP_3)
	v_sub_co_ci_u32_e32 v12, vcc_lo, v12, v35, vcc_lo
	v_add3_u32 v37, v37, v40, v33
	v_add_co_u32 v34, vcc_lo, v3, v11
	v_add_co_ci_u32_e32 v32, vcc_lo, v4, v12, vcc_lo
	s_delay_alu instid0(VALU_DEP_3) | instskip(SKIP_1) | instid1(VALU_DEP_4)
	v_lshlrev_b64 v[11:12], 1, v[36:37]
	v_add3_u32 v22, v22, v41, v30
	v_mul_lo_u32 v36, v34, s19
	s_delay_alu instid0(VALU_DEP_4)
	v_mul_lo_u32 v30, v32, s18
	v_mad_u64_u32 v[32:33], null, v34, s18, 0
	v_mul_lo_u32 v37, v18, s46
	v_mul_lo_u32 v38, v17, s47
	v_mad_u64_u32 v[34:35], null, v17, s46, 0
	v_add_co_u32 v39, vcc_lo, s58, v11
	v_add_co_ci_u32_e32 v40, vcc_lo, s59, v12, vcc_lo
	v_mul_lo_u32 v41, v20, s16
	v_mad_u64_u32 v[11:12], null, v19, s16, 0
	v_lshlrev_b64 v[19:20], 1, v[21:22]
	v_add3_u32 v21, v35, v38, v37
	v_sub_co_u32 v9, vcc_lo, v9, v34
	v_add3_u32 v33, v33, v36, v30
	v_mul_lo_u32 v36, v17, s17
	s_delay_alu instid0(VALU_DEP_4) | instskip(SKIP_2) | instid1(VALU_DEP_3)
	v_sub_co_ci_u32_e32 v10, vcc_lo, v10, v21, vcc_lo
	v_add3_u32 v12, v12, v42, v41
	v_add_co_u32 v30, vcc_lo, v3, v9
	v_add_co_ci_u32_e32 v21, vcc_lo, v4, v10, vcc_lo
	s_delay_alu instid0(VALU_DEP_3)
	v_lshlrev_b64 v[11:12], 1, v[11:12]
	v_add_co_u32 v9, vcc_lo, v39, v19
	v_add_co_ci_u32_e32 v10, vcc_lo, v40, v20, vcc_lo
	v_lshlrev_b64 v[19:20], 1, v[32:33]
	v_mul_lo_u32 v34, v21, s18
	v_mul_lo_u32 v35, v30, s19
	v_mad_u64_u32 v[21:22], null, v30, s18, 0
	v_mul_lo_u32 v30, v18, s16
	v_mad_u64_u32 v[32:33], null, v17, s16, 0
	v_mul_lo_u32 v37, v16, s46
	v_mul_lo_u32 v38, v15, s47
	v_mad_u64_u32 v[17:18], null, v15, s46, 0
	v_add_co_u32 v11, vcc_lo, s44, v11
	v_add_co_ci_u32_e32 v12, vcc_lo, s45, v12, vcc_lo
	v_add3_u32 v33, v33, v36, v30
	s_delay_alu instid0(VALU_DEP_3) | instskip(NEXT) | instid1(VALU_DEP_3)
	v_add_co_u32 v11, vcc_lo, v11, v19
	v_add_co_ci_u32_e32 v12, vcc_lo, v12, v20, vcc_lo
	v_add3_u32 v20, v18, v38, v37
	v_sub_co_u32 v17, vcc_lo, v7, v17
	v_lshlrev_b64 v[18:19], 1, v[32:33]
	v_mul_lo_u32 v30, v16, s16
	s_delay_alu instid0(VALU_DEP_4)
	v_sub_co_ci_u32_e32 v20, vcc_lo, v8, v20, vcc_lo
	v_mul_lo_u32 v32, v15, s17
	v_mad_u64_u32 v[7:8], null, v15, s16, 0
	v_add_co_u32 v33, vcc_lo, v3, v17
	v_add3_u32 v22, v22, v35, v34
	v_add_co_ci_u32_e32 v17, vcc_lo, v4, v20, vcc_lo
	v_add_co_u32 v34, vcc_lo, s44, v18
	v_add3_u32 v8, v8, v32, v30
	s_delay_alu instid0(VALU_DEP_4)
	v_lshlrev_b64 v[15:16], 1, v[21:22]
	v_add_co_ci_u32_e32 v35, vcc_lo, s45, v19, vcc_lo
	v_mul_lo_u32 v21, v17, s18
	v_mul_lo_u32 v22, v33, s19
	v_mad_u64_u32 v[17:18], null, v33, s18, 0
	v_mul_lo_u32 v30, v14, s46
	v_mul_lo_u32 v32, v13, s47
	v_mad_u64_u32 v[19:20], null, v13, s46, 0
	v_lshlrev_b64 v[7:8], 1, v[7:8]
	v_add_co_u32 v15, vcc_lo, v34, v15
	v_add_co_ci_u32_e32 v16, vcc_lo, v35, v16, vcc_lo
	v_add3_u32 v18, v18, v22, v21
	s_delay_alu instid0(VALU_DEP_4) | instskip(SKIP_4) | instid1(VALU_DEP_4)
	v_add_co_u32 v21, vcc_lo, s44, v7
	v_add3_u32 v20, v20, v32, v30
	v_add_co_ci_u32_e32 v22, vcc_lo, s45, v8, vcc_lo
	v_sub_co_u32 v5, vcc_lo, v5, v19
	v_lshlrev_b64 v[7:8], 1, v[17:18]
	v_sub_co_ci_u32_e32 v6, vcc_lo, v6, v20, vcc_lo
	s_delay_alu instid0(VALU_DEP_3) | instskip(SKIP_1) | instid1(VALU_DEP_3)
	v_add_co_u32 v19, vcc_lo, v3, v5
	v_bfi_b32 v17, 0x7fffffff, v24, v23
	v_add_co_ci_u32_e32 v20, vcc_lo, v4, v6, vcc_lo
	v_add_co_u32 v7, vcc_lo, v21, v7
	v_add_co_ci_u32_e32 v8, vcc_lo, v22, v8, vcc_lo
	v_lshlrev_b32_e32 v22, 16, v26
	v_lshlrev_b32_e32 v21, 16, v29
	;; [unrolled: 1-line block ×4, first 2 shown]
	v_mul_lo_u32 v23, v14, s16
	v_fma_f32 v28, -v17, v17, 1.0
	v_mul_lo_u32 v24, v13, s17
	v_mad_u64_u32 v[5:6], null, v13, s16, 0
	v_dual_mul_f32 v14, v31, v18 :: v_dual_lshlrev_b32 v25, 16, v25
	v_mul_lo_u32 v20, v20, s18
	v_mul_lo_u32 v30, v19, s19
	s_delay_alu instid0(VALU_DEP_3) | instskip(SKIP_3) | instid1(VALU_DEP_2)
	v_fmac_f32_e32 v2, v14, v28
	v_mad_u64_u32 v[13:14], null, v19, s18, 0
	v_add3_u32 v6, v6, v24, v23
	v_sub_f32_e32 v23, 1.0, v25
	v_lshlrev_b64 v[5:6], 1, v[5:6]
	s_delay_alu instid0(VALU_DEP_4) | instskip(SKIP_3) | instid1(VALU_DEP_1)
	v_add3_u32 v14, v14, v30, v20
	v_mul_f32_e32 v20, v2, v21
	v_mul_f32_e32 v19, v2, v27
	v_sub_f32_e32 v21, 1.0, v22
	v_dual_mul_f32 v19, v23, v19 :: v_dual_mul_f32 v20, v21, v20
	v_add_co_u32 v23, vcc_lo, s44, v5
	v_add_co_ci_u32_e32 v24, vcc_lo, s45, v6, vcc_lo
	s_delay_alu instid0(VALU_DEP_3) | instskip(SKIP_3) | instid1(VALU_DEP_4)
	v_mul_f32_e32 v19, v19, v25
	v_lshlrev_b64 v[5:6], 1, v[13:14]
	v_mul_f32_e32 v20, v20, v22
	v_fma_f32 v21, -v27, v27, 1.0
	v_bfe_u32 v14, v19, 16, 1
	s_delay_alu instid0(VALU_DEP_4) | instskip(SKIP_1) | instid1(VALU_DEP_3)
	v_add_co_u32 v5, vcc_lo, v23, v5
	v_add_co_ci_u32_e32 v6, vcc_lo, v24, v6, vcc_lo
	v_add3_u32 v14, v19, v14, 0x7fff
	v_cmp_o_f32_e32 vcc_lo, v19, v19
	v_bfe_u32 v23, v20, 16, 1
	s_delay_alu instid0(VALU_DEP_3)
	v_lshrrev_b32_e32 v14, 16, v14
	v_mul_f32_e32 v13, v31, v17
	v_mul_f32_e32 v17, v2, v25
	v_sub_f32_e32 v25, 1.0, v18
	v_add3_u32 v19, v20, v23, 0x7fff
	v_cndmask_b32_e32 v14, 0x7fc0, v14, vcc_lo
	s_delay_alu instid0(VALU_DEP_4) | instskip(NEXT) | instid1(VALU_DEP_4)
	v_dual_mul_f32 v2, v2, v22 :: v_dual_mul_f32 v17, v21, v17
	v_mul_f32_e32 v13, v25, v13
	v_cmp_o_f32_e32 vcc_lo, v20, v20
	global_store_b16 v[5:6], v14, off
	v_lshrrev_b32_e32 v5, 16, v19
	v_bfe_u32 v21, v17, 16, 1
	v_mul_f32_e32 v13, v13, v18
	v_bfe_u32 v18, v2, 16, 1
	s_delay_alu instid0(VALU_DEP_4) | instskip(NEXT) | instid1(VALU_DEP_4)
	v_cndmask_b32_e32 v5, 0x7fc0, v5, vcc_lo
	v_add3_u32 v6, v17, v21, 0x7fff
	s_delay_alu instid0(VALU_DEP_4) | instskip(SKIP_3) | instid1(VALU_DEP_4)
	v_bfe_u32 v14, v13, 16, 1
	v_add_co_u32 v3, vcc_lo, v3, s68
	v_add3_u32 v18, v2, v18, 0x7fff
	v_add_co_ci_u32_e32 v4, vcc_lo, 0, v4, vcc_lo
	v_add3_u32 v14, v13, v14, 0x7fff
	v_cmp_o_f32_e64 s0, v13, v13
	v_lshrrev_b32_e32 v6, 16, v6
	v_cmp_o_f32_e32 vcc_lo, v17, v17
	v_lshrrev_b32_e32 v17, 16, v18
	v_lshrrev_b32_e32 v14, 16, v14
	s_delay_alu instid0(VALU_DEP_4) | instskip(SKIP_1) | instid1(VALU_DEP_3)
	v_cndmask_b32_e32 v6, 0x7fc0, v6, vcc_lo
	v_cmp_le_i64_e32 vcc_lo, s[6:7], v[3:4]
	v_cndmask_b32_e64 v13, 0x7fc0, v14, s0
	v_cmp_o_f32_e64 s0, v2, v2
	s_clause 0x1
	global_store_b16 v[7:8], v5, off
	global_store_b16 v[15:16], v6, off
	s_or_b32 s69, vcc_lo, s69
	v_cndmask_b32_e64 v2, 0x7fc0, v17, s0
	global_store_b16 v[11:12], v13, off
	global_store_b16 v[9:10], v2, off
	s_and_not1_b32 exec_lo, exec_lo, s69
	s_cbranch_execz .LBB31_68
.LBB31_3:                               ; =>This Inner Loop Header: Depth=1
	v_or_b32_e32 v2, s5, v4
                                        ; implicit-def: $vgpr7_vgpr8
	s_mov_b32 s0, exec_lo
	s_delay_alu instid0(VALU_DEP_1)
	v_cmpx_ne_u64_e32 0, v[1:2]
	s_xor_b32 s83, exec_lo, s0
	s_cbranch_execz .LBB31_5
; %bb.4:                                ;   in Loop: Header=BB31_3 Depth=1
	s_ashr_i32 s64, s5, 31
	s_delay_alu instid0(SALU_CYCLE_1) | instskip(SKIP_2) | instid1(SALU_CYCLE_1)
	s_add_u32 s66, s4, s64
	s_mov_b32 s65, s64
	s_addc_u32 s67, s5, s64
	s_xor_b64 s[66:67], s[66:67], s[64:65]
	s_delay_alu instid0(SALU_CYCLE_1) | instskip(SKIP_3) | instid1(VALU_DEP_1)
	v_cvt_f32_u32_e32 v2, s66
	v_cvt_f32_u32_e32 v5, s67
	s_sub_u32 s0, 0, s66
	s_subb_u32 s65, 0, s67
	v_fmac_f32_e32 v2, 0x4f800000, v5
	s_delay_alu instid0(VALU_DEP_1) | instskip(SKIP_2) | instid1(VALU_DEP_1)
	v_rcp_f32_e32 v2, v2
	s_waitcnt_depctr 0xfff
	v_mul_f32_e32 v2, 0x5f7ffffc, v2
	v_mul_f32_e32 v5, 0x2f800000, v2
	s_delay_alu instid0(VALU_DEP_1) | instskip(NEXT) | instid1(VALU_DEP_1)
	v_trunc_f32_e32 v5, v5
	v_fmac_f32_e32 v2, 0xcf800000, v5
	v_cvt_u32_f32_e32 v5, v5
	s_delay_alu instid0(VALU_DEP_2) | instskip(NEXT) | instid1(VALU_DEP_2)
	v_cvt_u32_f32_e32 v2, v2
	v_mul_lo_u32 v6, s0, v5
	s_delay_alu instid0(VALU_DEP_2) | instskip(SKIP_1) | instid1(VALU_DEP_2)
	v_mul_hi_u32 v7, s0, v2
	v_mul_lo_u32 v8, s65, v2
	v_add_nc_u32_e32 v6, v7, v6
	v_mul_lo_u32 v7, s0, v2
	s_delay_alu instid0(VALU_DEP_2) | instskip(NEXT) | instid1(VALU_DEP_2)
	v_add_nc_u32_e32 v6, v6, v8
	v_mul_hi_u32 v8, v2, v7
	s_delay_alu instid0(VALU_DEP_2)
	v_mul_lo_u32 v9, v2, v6
	v_mul_hi_u32 v10, v2, v6
	v_mul_hi_u32 v11, v5, v7
	v_mul_lo_u32 v7, v5, v7
	v_mul_hi_u32 v12, v5, v6
	v_mul_lo_u32 v6, v5, v6
	v_add_co_u32 v8, vcc_lo, v8, v9
	v_add_co_ci_u32_e32 v9, vcc_lo, 0, v10, vcc_lo
	s_delay_alu instid0(VALU_DEP_2) | instskip(NEXT) | instid1(VALU_DEP_2)
	v_add_co_u32 v7, vcc_lo, v8, v7
	v_add_co_ci_u32_e32 v7, vcc_lo, v9, v11, vcc_lo
	v_add_co_ci_u32_e32 v8, vcc_lo, 0, v12, vcc_lo
	v_ashrrev_i32_e32 v11, 31, v4
	s_delay_alu instid0(VALU_DEP_3) | instskip(NEXT) | instid1(VALU_DEP_3)
	v_add_co_u32 v6, vcc_lo, v7, v6
	v_add_co_ci_u32_e32 v7, vcc_lo, 0, v8, vcc_lo
	s_delay_alu instid0(VALU_DEP_2) | instskip(NEXT) | instid1(VALU_DEP_2)
	v_add_co_u32 v2, vcc_lo, v2, v6
	v_add_co_ci_u32_e32 v5, vcc_lo, v5, v7, vcc_lo
	s_delay_alu instid0(VALU_DEP_2) | instskip(SKIP_1) | instid1(VALU_DEP_3)
	v_mul_hi_u32 v6, s0, v2
	v_mul_lo_u32 v8, s65, v2
	v_mul_lo_u32 v7, s0, v5
	s_delay_alu instid0(VALU_DEP_1) | instskip(SKIP_1) | instid1(VALU_DEP_2)
	v_add_nc_u32_e32 v6, v6, v7
	v_mul_lo_u32 v7, s0, v2
	v_add_nc_u32_e32 v6, v6, v8
	s_delay_alu instid0(VALU_DEP_2) | instskip(NEXT) | instid1(VALU_DEP_2)
	v_mul_hi_u32 v8, v2, v7
	v_mul_lo_u32 v9, v2, v6
	v_mul_hi_u32 v10, v2, v6
	v_mul_hi_u32 v12, v5, v7
	v_mul_lo_u32 v7, v5, v7
	v_mul_hi_u32 v13, v5, v6
	v_mul_lo_u32 v6, v5, v6
	v_add_co_u32 v8, vcc_lo, v8, v9
	v_add_co_ci_u32_e32 v9, vcc_lo, 0, v10, vcc_lo
	s_delay_alu instid0(VALU_DEP_2) | instskip(NEXT) | instid1(VALU_DEP_2)
	v_add_co_u32 v7, vcc_lo, v8, v7
	v_add_co_ci_u32_e32 v7, vcc_lo, v9, v12, vcc_lo
	v_add_co_ci_u32_e32 v8, vcc_lo, 0, v13, vcc_lo
	v_add_co_u32 v9, vcc_lo, v3, v11
	v_add_co_ci_u32_e32 v10, vcc_lo, v4, v11, vcc_lo
	s_delay_alu instid0(VALU_DEP_4) | instskip(NEXT) | instid1(VALU_DEP_4)
	v_add_co_u32 v6, vcc_lo, v7, v6
	v_add_co_ci_u32_e32 v7, vcc_lo, 0, v8, vcc_lo
	s_delay_alu instid0(VALU_DEP_4) | instskip(NEXT) | instid1(VALU_DEP_3)
	v_xor_b32_e32 v12, v9, v11
	v_add_co_u32 v2, vcc_lo, v2, v6
	s_delay_alu instid0(VALU_DEP_3) | instskip(SKIP_1) | instid1(VALU_DEP_3)
	v_add_co_ci_u32_e32 v13, vcc_lo, v5, v7, vcc_lo
	v_xor_b32_e32 v14, v10, v11
	v_mul_hi_u32 v15, v12, v2
	s_delay_alu instid0(VALU_DEP_3) | instskip(NEXT) | instid1(VALU_DEP_3)
	v_mad_u64_u32 v[5:6], null, v12, v13, 0
	v_mad_u64_u32 v[7:8], null, v14, v2, 0
	;; [unrolled: 1-line block ×3, first 2 shown]
	s_delay_alu instid0(VALU_DEP_3) | instskip(NEXT) | instid1(VALU_DEP_4)
	v_add_co_u32 v2, vcc_lo, v15, v5
	v_add_co_ci_u32_e32 v5, vcc_lo, 0, v6, vcc_lo
	s_delay_alu instid0(VALU_DEP_2) | instskip(NEXT) | instid1(VALU_DEP_2)
	v_add_co_u32 v2, vcc_lo, v2, v7
	v_add_co_ci_u32_e32 v2, vcc_lo, v5, v8, vcc_lo
	v_add_co_ci_u32_e32 v5, vcc_lo, 0, v10, vcc_lo
	s_delay_alu instid0(VALU_DEP_2) | instskip(NEXT) | instid1(VALU_DEP_2)
	v_add_co_u32 v2, vcc_lo, v2, v9
	v_add_co_ci_u32_e32 v7, vcc_lo, 0, v5, vcc_lo
	s_delay_alu instid0(VALU_DEP_2) | instskip(SKIP_1) | instid1(VALU_DEP_3)
	v_mul_lo_u32 v8, s67, v2
	v_mad_u64_u32 v[5:6], null, s66, v2, 0
	v_mul_lo_u32 v9, s66, v7
	s_delay_alu instid0(VALU_DEP_2) | instskip(NEXT) | instid1(VALU_DEP_2)
	v_sub_co_u32 v5, vcc_lo, v12, v5
	v_add3_u32 v6, v6, v9, v8
	s_delay_alu instid0(VALU_DEP_1) | instskip(NEXT) | instid1(VALU_DEP_1)
	v_sub_nc_u32_e32 v8, v14, v6
	v_subrev_co_ci_u32_e64 v8, s0, s67, v8, vcc_lo
	v_add_co_u32 v9, s0, v2, 2
	s_delay_alu instid0(VALU_DEP_1) | instskip(SKIP_3) | instid1(VALU_DEP_3)
	v_add_co_ci_u32_e64 v10, s0, 0, v7, s0
	v_sub_co_u32 v12, s0, v5, s66
	v_sub_co_ci_u32_e32 v6, vcc_lo, v14, v6, vcc_lo
	v_subrev_co_ci_u32_e64 v8, s0, 0, v8, s0
	v_cmp_le_u32_e32 vcc_lo, s66, v12
	s_delay_alu instid0(VALU_DEP_3) | instskip(SKIP_1) | instid1(VALU_DEP_4)
	v_cmp_eq_u32_e64 s0, s67, v6
	v_cndmask_b32_e64 v12, 0, -1, vcc_lo
	v_cmp_le_u32_e32 vcc_lo, s67, v8
	v_cndmask_b32_e64 v13, 0, -1, vcc_lo
	v_cmp_le_u32_e32 vcc_lo, s66, v5
	;; [unrolled: 2-line block ×3, first 2 shown]
	v_cndmask_b32_e64 v14, 0, -1, vcc_lo
	v_cmp_eq_u32_e32 vcc_lo, s67, v8
	s_delay_alu instid0(VALU_DEP_2) | instskip(SKIP_3) | instid1(VALU_DEP_3)
	v_cndmask_b32_e64 v5, v14, v5, s0
	v_cndmask_b32_e32 v8, v13, v12, vcc_lo
	v_add_co_u32 v12, vcc_lo, v2, 1
	v_add_co_ci_u32_e32 v13, vcc_lo, 0, v7, vcc_lo
	v_cmp_ne_u32_e32 vcc_lo, 0, v8
	s_delay_alu instid0(VALU_DEP_2) | instskip(NEXT) | instid1(VALU_DEP_4)
	v_cndmask_b32_e32 v6, v13, v10, vcc_lo
	v_cndmask_b32_e32 v8, v12, v9, vcc_lo
	v_cmp_ne_u32_e32 vcc_lo, 0, v5
	v_xor_b32_e32 v5, s64, v11
	s_delay_alu instid0(VALU_DEP_3) | instskip(SKIP_1) | instid1(VALU_DEP_2)
	v_cndmask_b32_e32 v2, v2, v8, vcc_lo
	v_cndmask_b32_e32 v6, v7, v6, vcc_lo
	v_xor_b32_e32 v2, v2, v5
	s_delay_alu instid0(VALU_DEP_2) | instskip(NEXT) | instid1(VALU_DEP_2)
	v_xor_b32_e32 v6, v6, v5
	v_sub_co_u32 v7, vcc_lo, v2, v5
	s_delay_alu instid0(VALU_DEP_2)
	v_sub_co_ci_u32_e32 v8, vcc_lo, v6, v5, vcc_lo
.LBB31_5:                               ;   in Loop: Header=BB31_3 Depth=1
	s_and_not1_saveexec_b32 s0, s83
	s_cbranch_execz .LBB31_7
; %bb.6:                                ;   in Loop: Header=BB31_3 Depth=1
	s_sub_i32 s64, 0, s4
	v_mov_b32_e32 v8, v1
	v_mul_lo_u32 v2, s64, v0
	s_delay_alu instid0(VALU_DEP_1) | instskip(NEXT) | instid1(VALU_DEP_1)
	v_mul_hi_u32 v2, v0, v2
	v_add_nc_u32_e32 v2, v0, v2
	s_delay_alu instid0(VALU_DEP_1) | instskip(NEXT) | instid1(VALU_DEP_1)
	v_mul_hi_u32 v2, v3, v2
	v_mul_lo_u32 v5, v2, s4
	v_add_nc_u32_e32 v6, 1, v2
	s_delay_alu instid0(VALU_DEP_2) | instskip(NEXT) | instid1(VALU_DEP_1)
	v_sub_nc_u32_e32 v5, v3, v5
	v_subrev_nc_u32_e32 v7, s4, v5
	v_cmp_le_u32_e32 vcc_lo, s4, v5
	s_delay_alu instid0(VALU_DEP_2) | instskip(NEXT) | instid1(VALU_DEP_1)
	v_dual_cndmask_b32 v5, v5, v7 :: v_dual_cndmask_b32 v2, v2, v6
	v_cmp_le_u32_e32 vcc_lo, s4, v5
	s_delay_alu instid0(VALU_DEP_2) | instskip(NEXT) | instid1(VALU_DEP_1)
	v_add_nc_u32_e32 v6, 1, v2
	v_cndmask_b32_e32 v7, v2, v6, vcc_lo
.LBB31_7:                               ;   in Loop: Header=BB31_3 Depth=1
	s_or_b32 exec_lo, exec_lo, s0
	s_delay_alu instid0(VALU_DEP_1) | instskip(SKIP_3) | instid1(VALU_DEP_1)
	v_mul_lo_u32 v2, s70, v7
	v_mul_lo_u32 v9, s71, v8
	v_mad_u64_u32 v[5:6], null, s71, v7, 0
	s_mov_b32 s0, exec_lo
	v_add3_u32 v6, v6, v9, v2
	s_delay_alu instid0(VALU_DEP_2) | instskip(NEXT) | instid1(VALU_DEP_2)
	v_add_co_u32 v16, vcc_lo, v3, v5
                                        ; implicit-def: $vgpr9_vgpr10
	v_add_co_ci_u32_e32 v18, vcc_lo, v4, v6, vcc_lo
	s_delay_alu instid0(VALU_DEP_1) | instskip(SKIP_1) | instid1(VALU_DEP_2)
	v_or_b32_e32 v2, s41, v18
	v_ashrrev_i32_e32 v15, 31, v18
	v_cmpx_ne_u64_e32 0, v[1:2]
	s_xor_b32 s83, exec_lo, s0
	s_cbranch_execz .LBB31_9
; %bb.8:                                ;   in Loop: Header=BB31_3 Depth=1
	s_ashr_i32 s64, s41, 31
	s_delay_alu instid0(SALU_CYCLE_1) | instskip(SKIP_2) | instid1(SALU_CYCLE_1)
	s_add_u32 s66, s40, s64
	s_mov_b32 s65, s64
	s_addc_u32 s67, s41, s64
	s_xor_b64 s[66:67], s[66:67], s[64:65]
	s_delay_alu instid0(SALU_CYCLE_1) | instskip(SKIP_3) | instid1(VALU_DEP_1)
	v_cvt_f32_u32_e32 v2, s66
	v_cvt_f32_u32_e32 v9, s67
	s_sub_u32 s0, 0, s66
	s_subb_u32 s65, 0, s67
	v_fmac_f32_e32 v2, 0x4f800000, v9
	s_delay_alu instid0(VALU_DEP_1) | instskip(SKIP_2) | instid1(VALU_DEP_1)
	v_rcp_f32_e32 v2, v2
	s_waitcnt_depctr 0xfff
	v_mul_f32_e32 v2, 0x5f7ffffc, v2
	v_mul_f32_e32 v9, 0x2f800000, v2
	s_delay_alu instid0(VALU_DEP_1) | instskip(NEXT) | instid1(VALU_DEP_1)
	v_trunc_f32_e32 v9, v9
	v_fmac_f32_e32 v2, 0xcf800000, v9
	v_cvt_u32_f32_e32 v9, v9
	s_delay_alu instid0(VALU_DEP_2) | instskip(NEXT) | instid1(VALU_DEP_2)
	v_cvt_u32_f32_e32 v2, v2
	v_mul_lo_u32 v10, s0, v9
	s_delay_alu instid0(VALU_DEP_2) | instskip(SKIP_1) | instid1(VALU_DEP_2)
	v_mul_hi_u32 v11, s0, v2
	v_mul_lo_u32 v12, s65, v2
	v_add_nc_u32_e32 v10, v11, v10
	v_mul_lo_u32 v11, s0, v2
	s_delay_alu instid0(VALU_DEP_2) | instskip(NEXT) | instid1(VALU_DEP_2)
	v_add_nc_u32_e32 v10, v10, v12
	v_mul_hi_u32 v12, v2, v11
	s_delay_alu instid0(VALU_DEP_2)
	v_mul_lo_u32 v13, v2, v10
	v_mul_hi_u32 v14, v2, v10
	v_mul_hi_u32 v17, v9, v11
	v_mul_lo_u32 v11, v9, v11
	v_mul_hi_u32 v19, v9, v10
	v_mul_lo_u32 v10, v9, v10
	v_add_co_u32 v12, vcc_lo, v12, v13
	v_add_co_ci_u32_e32 v13, vcc_lo, 0, v14, vcc_lo
	s_delay_alu instid0(VALU_DEP_2) | instskip(NEXT) | instid1(VALU_DEP_2)
	v_add_co_u32 v11, vcc_lo, v12, v11
	v_add_co_ci_u32_e32 v11, vcc_lo, v13, v17, vcc_lo
	v_add_co_ci_u32_e32 v12, vcc_lo, 0, v19, vcc_lo
	s_delay_alu instid0(VALU_DEP_2) | instskip(NEXT) | instid1(VALU_DEP_2)
	v_add_co_u32 v10, vcc_lo, v11, v10
	v_add_co_ci_u32_e32 v11, vcc_lo, 0, v12, vcc_lo
	s_delay_alu instid0(VALU_DEP_2) | instskip(NEXT) | instid1(VALU_DEP_2)
	v_add_co_u32 v2, vcc_lo, v2, v10
	v_add_co_ci_u32_e32 v9, vcc_lo, v9, v11, vcc_lo
	s_delay_alu instid0(VALU_DEP_2) | instskip(SKIP_1) | instid1(VALU_DEP_3)
	v_mul_hi_u32 v10, s0, v2
	v_mul_lo_u32 v12, s65, v2
	v_mul_lo_u32 v11, s0, v9
	s_delay_alu instid0(VALU_DEP_1) | instskip(SKIP_1) | instid1(VALU_DEP_2)
	v_add_nc_u32_e32 v10, v10, v11
	v_mul_lo_u32 v11, s0, v2
	v_add_nc_u32_e32 v10, v10, v12
	s_delay_alu instid0(VALU_DEP_2) | instskip(NEXT) | instid1(VALU_DEP_2)
	v_mul_hi_u32 v12, v2, v11
	v_mul_lo_u32 v13, v2, v10
	v_mul_hi_u32 v14, v2, v10
	v_mul_hi_u32 v17, v9, v11
	v_mul_lo_u32 v11, v9, v11
	v_mul_hi_u32 v19, v9, v10
	v_mul_lo_u32 v10, v9, v10
	v_add_co_u32 v12, vcc_lo, v12, v13
	v_add_co_ci_u32_e32 v13, vcc_lo, 0, v14, vcc_lo
	s_delay_alu instid0(VALU_DEP_2) | instskip(NEXT) | instid1(VALU_DEP_2)
	v_add_co_u32 v11, vcc_lo, v12, v11
	v_add_co_ci_u32_e32 v11, vcc_lo, v13, v17, vcc_lo
	v_add_co_ci_u32_e32 v12, vcc_lo, 0, v19, vcc_lo
	v_add_co_u32 v13, vcc_lo, v16, v15
	v_add_co_ci_u32_e32 v14, vcc_lo, v18, v15, vcc_lo
	s_delay_alu instid0(VALU_DEP_4) | instskip(NEXT) | instid1(VALU_DEP_4)
	v_add_co_u32 v10, vcc_lo, v11, v10
	v_add_co_ci_u32_e32 v11, vcc_lo, 0, v12, vcc_lo
	s_delay_alu instid0(VALU_DEP_4) | instskip(NEXT) | instid1(VALU_DEP_3)
	v_xor_b32_e32 v17, v13, v15
	v_add_co_u32 v2, vcc_lo, v2, v10
	s_delay_alu instid0(VALU_DEP_3) | instskip(SKIP_1) | instid1(VALU_DEP_3)
	v_add_co_ci_u32_e32 v19, vcc_lo, v9, v11, vcc_lo
	v_xor_b32_e32 v20, v14, v15
	v_mul_hi_u32 v21, v17, v2
	s_delay_alu instid0(VALU_DEP_3) | instskip(NEXT) | instid1(VALU_DEP_3)
	v_mad_u64_u32 v[9:10], null, v17, v19, 0
	v_mad_u64_u32 v[11:12], null, v20, v2, 0
	;; [unrolled: 1-line block ×3, first 2 shown]
	s_delay_alu instid0(VALU_DEP_3) | instskip(NEXT) | instid1(VALU_DEP_4)
	v_add_co_u32 v2, vcc_lo, v21, v9
	v_add_co_ci_u32_e32 v9, vcc_lo, 0, v10, vcc_lo
	s_delay_alu instid0(VALU_DEP_2) | instskip(NEXT) | instid1(VALU_DEP_2)
	v_add_co_u32 v2, vcc_lo, v2, v11
	v_add_co_ci_u32_e32 v2, vcc_lo, v9, v12, vcc_lo
	v_add_co_ci_u32_e32 v9, vcc_lo, 0, v14, vcc_lo
	s_delay_alu instid0(VALU_DEP_2) | instskip(NEXT) | instid1(VALU_DEP_2)
	v_add_co_u32 v2, vcc_lo, v2, v13
	v_add_co_ci_u32_e32 v11, vcc_lo, 0, v9, vcc_lo
	s_delay_alu instid0(VALU_DEP_2) | instskip(SKIP_1) | instid1(VALU_DEP_3)
	v_mul_lo_u32 v12, s67, v2
	v_mad_u64_u32 v[9:10], null, s66, v2, 0
	v_mul_lo_u32 v13, s66, v11
	s_delay_alu instid0(VALU_DEP_2) | instskip(NEXT) | instid1(VALU_DEP_2)
	v_sub_co_u32 v9, vcc_lo, v17, v9
	v_add3_u32 v10, v10, v13, v12
	s_delay_alu instid0(VALU_DEP_1) | instskip(NEXT) | instid1(VALU_DEP_1)
	v_sub_nc_u32_e32 v12, v20, v10
	v_subrev_co_ci_u32_e64 v12, s0, s67, v12, vcc_lo
	v_add_co_u32 v13, s0, v2, 2
	s_delay_alu instid0(VALU_DEP_1) | instskip(SKIP_3) | instid1(VALU_DEP_3)
	v_add_co_ci_u32_e64 v14, s0, 0, v11, s0
	v_sub_co_u32 v17, s0, v9, s66
	v_sub_co_ci_u32_e32 v10, vcc_lo, v20, v10, vcc_lo
	v_subrev_co_ci_u32_e64 v12, s0, 0, v12, s0
	v_cmp_le_u32_e32 vcc_lo, s66, v17
	s_delay_alu instid0(VALU_DEP_3) | instskip(SKIP_1) | instid1(VALU_DEP_4)
	v_cmp_eq_u32_e64 s0, s67, v10
	v_cndmask_b32_e64 v17, 0, -1, vcc_lo
	v_cmp_le_u32_e32 vcc_lo, s67, v12
	v_cndmask_b32_e64 v19, 0, -1, vcc_lo
	v_cmp_le_u32_e32 vcc_lo, s66, v9
	;; [unrolled: 2-line block ×3, first 2 shown]
	v_cndmask_b32_e64 v20, 0, -1, vcc_lo
	v_cmp_eq_u32_e32 vcc_lo, s67, v12
	s_delay_alu instid0(VALU_DEP_2) | instskip(SKIP_3) | instid1(VALU_DEP_3)
	v_cndmask_b32_e64 v9, v20, v9, s0
	v_cndmask_b32_e32 v12, v19, v17, vcc_lo
	v_add_co_u32 v17, vcc_lo, v2, 1
	v_add_co_ci_u32_e32 v19, vcc_lo, 0, v11, vcc_lo
	v_cmp_ne_u32_e32 vcc_lo, 0, v12
	s_delay_alu instid0(VALU_DEP_2) | instskip(NEXT) | instid1(VALU_DEP_4)
	v_cndmask_b32_e32 v10, v19, v14, vcc_lo
	v_cndmask_b32_e32 v12, v17, v13, vcc_lo
	v_cmp_ne_u32_e32 vcc_lo, 0, v9
	v_xor_b32_e32 v13, s64, v15
	s_delay_alu instid0(VALU_DEP_3) | instskip(NEXT) | instid1(VALU_DEP_1)
	v_dual_cndmask_b32 v2, v2, v12 :: v_dual_cndmask_b32 v9, v11, v10
	v_xor_b32_e32 v2, v2, v13
	s_delay_alu instid0(VALU_DEP_2) | instskip(NEXT) | instid1(VALU_DEP_2)
	v_xor_b32_e32 v10, v9, v13
	v_sub_co_u32 v9, vcc_lo, v2, v13
	s_delay_alu instid0(VALU_DEP_2)
	v_sub_co_ci_u32_e32 v10, vcc_lo, v10, v13, vcc_lo
.LBB31_9:                               ;   in Loop: Header=BB31_3 Depth=1
	s_or_saveexec_b32 s0, s83
	v_cvt_f32_u32_e32 v28, s40
	s_xor_b32 exec_lo, exec_lo, s0
	s_cbranch_execz .LBB31_11
; %bb.10:                               ;   in Loop: Header=BB31_3 Depth=1
	s_delay_alu instid0(VALU_DEP_1) | instskip(SKIP_3) | instid1(VALU_DEP_1)
	v_rcp_iflag_f32_e32 v2, v28
	s_sub_i32 s64, 0, s40
	s_waitcnt_depctr 0xfff
	v_mul_f32_e32 v2, 0x4f7ffffe, v2
	v_cvt_u32_f32_e32 v2, v2
	s_delay_alu instid0(VALU_DEP_1) | instskip(NEXT) | instid1(VALU_DEP_1)
	v_mul_lo_u32 v9, s64, v2
	v_mul_hi_u32 v9, v2, v9
	s_delay_alu instid0(VALU_DEP_1) | instskip(NEXT) | instid1(VALU_DEP_1)
	v_add_nc_u32_e32 v2, v2, v9
	v_mul_hi_u32 v2, v16, v2
	s_delay_alu instid0(VALU_DEP_1) | instskip(SKIP_1) | instid1(VALU_DEP_2)
	v_mul_lo_u32 v9, v2, s40
	v_add_nc_u32_e32 v10, 1, v2
	v_sub_nc_u32_e32 v9, v16, v9
	s_delay_alu instid0(VALU_DEP_1) | instskip(SKIP_1) | instid1(VALU_DEP_2)
	v_subrev_nc_u32_e32 v11, s40, v9
	v_cmp_le_u32_e32 vcc_lo, s40, v9
	v_dual_cndmask_b32 v9, v9, v11 :: v_dual_cndmask_b32 v2, v2, v10
	s_delay_alu instid0(VALU_DEP_1) | instskip(NEXT) | instid1(VALU_DEP_2)
	v_cmp_le_u32_e32 vcc_lo, s40, v9
	v_add_nc_u32_e32 v10, 1, v2
	s_delay_alu instid0(VALU_DEP_1)
	v_dual_cndmask_b32 v9, v2, v10 :: v_dual_mov_b32 v10, v1
.LBB31_11:                              ;   in Loop: Header=BB31_3 Depth=1
	s_or_b32 exec_lo, exec_lo, s0
	s_delay_alu instid0(VALU_DEP_1) | instskip(NEXT) | instid1(VALU_DEP_2)
	v_mul_lo_u32 v2, v10, s40
	v_mul_lo_u32 v13, v9, s41
	v_mad_u64_u32 v[11:12], null, v9, s40, 0
	v_mul_lo_u32 v14, v10, s12
	v_mul_lo_u32 v17, v9, s13
	s_mov_b32 s0, exec_lo
	s_delay_alu instid0(VALU_DEP_3) | instskip(NEXT) | instid1(VALU_DEP_4)
	v_add3_u32 v2, v12, v13, v2
	v_sub_co_u32 v10, vcc_lo, v5, v11
	s_delay_alu instid0(VALU_DEP_2) | instskip(NEXT) | instid1(VALU_DEP_2)
	v_sub_co_ci_u32_e32 v2, vcc_lo, v6, v2, vcc_lo
	v_add_co_u32 v19, vcc_lo, v3, v10
	v_mad_u64_u32 v[10:11], null, v9, s12, 0
	s_delay_alu instid0(VALU_DEP_3) | instskip(NEXT) | instid1(VALU_DEP_3)
	v_add_co_ci_u32_e32 v2, vcc_lo, v4, v2, vcc_lo
	v_mul_lo_u32 v9, v19, s15
	v_mad_u64_u32 v[12:13], null, v19, s14, 0
	s_delay_alu instid0(VALU_DEP_3) | instskip(SKIP_1) | instid1(VALU_DEP_2)
	v_mul_lo_u32 v2, v2, s14
	v_add3_u32 v11, v11, v17, v14
	v_add3_u32 v13, v13, v9, v2
	s_delay_alu instid0(VALU_DEP_2) | instskip(NEXT) | instid1(VALU_DEP_2)
	v_lshlrev_b64 v[9:10], 1, v[10:11]
	v_lshlrev_b64 v[11:12], 1, v[12:13]
	s_delay_alu instid0(VALU_DEP_2) | instskip(NEXT) | instid1(VALU_DEP_3)
	v_add_co_u32 v2, vcc_lo, s34, v9
	v_add_co_ci_u32_e32 v10, vcc_lo, s35, v10, vcc_lo
	s_delay_alu instid0(VALU_DEP_2) | instskip(NEXT) | instid1(VALU_DEP_2)
	v_add_co_u32 v9, vcc_lo, v2, v11
	v_add_co_ci_u32_e32 v10, vcc_lo, v10, v12, vcc_lo
	v_mad_u64_u32 v[11:12], null, v7, 3, 0
	global_load_u16 v25, v[9:10], off
	v_mov_b32_e32 v2, v12
                                        ; implicit-def: $vgpr12_vgpr13
	s_delay_alu instid0(VALU_DEP_1) | instskip(SKIP_2) | instid1(VALU_DEP_3)
	v_mad_u64_u32 v[9:10], null, v8, 3, v[2:3]
	v_mul_lo_u32 v2, s5, v11
	v_mad_u64_u32 v[7:8], null, s4, v11, s[4:5]
	v_mul_lo_u32 v10, s4, v9
	s_delay_alu instid0(VALU_DEP_2) | instskip(NEXT) | instid1(VALU_DEP_2)
	v_add_co_u32 v19, vcc_lo, v3, v7
	v_add3_u32 v8, v2, v8, v10
	s_delay_alu instid0(VALU_DEP_1) | instskip(NEXT) | instid1(VALU_DEP_1)
	v_add_co_ci_u32_e32 v21, vcc_lo, v4, v8, vcc_lo
	v_or_b32_e32 v2, s41, v21
	v_ashrrev_i32_e32 v17, 31, v21
	s_delay_alu instid0(VALU_DEP_2)
	v_cmpx_ne_u64_e32 0, v[1:2]
	s_xor_b32 s83, exec_lo, s0
	s_cbranch_execz .LBB31_13
; %bb.12:                               ;   in Loop: Header=BB31_3 Depth=1
	s_ashr_i32 s64, s41, 31
	s_delay_alu instid0(SALU_CYCLE_1) | instskip(SKIP_2) | instid1(SALU_CYCLE_1)
	s_add_u32 s66, s40, s64
	s_mov_b32 s65, s64
	s_addc_u32 s67, s41, s64
	s_xor_b64 s[66:67], s[66:67], s[64:65]
	s_delay_alu instid0(SALU_CYCLE_1) | instskip(SKIP_3) | instid1(VALU_DEP_1)
	v_cvt_f32_u32_e32 v2, s66
	v_cvt_f32_u32_e32 v10, s67
	s_sub_u32 s0, 0, s66
	s_subb_u32 s65, 0, s67
	v_fmac_f32_e32 v2, 0x4f800000, v10
	s_delay_alu instid0(VALU_DEP_1) | instskip(SKIP_2) | instid1(VALU_DEP_1)
	v_rcp_f32_e32 v2, v2
	s_waitcnt_depctr 0xfff
	v_mul_f32_e32 v2, 0x5f7ffffc, v2
	v_mul_f32_e32 v10, 0x2f800000, v2
	s_delay_alu instid0(VALU_DEP_1) | instskip(NEXT) | instid1(VALU_DEP_1)
	v_trunc_f32_e32 v10, v10
	v_fmac_f32_e32 v2, 0xcf800000, v10
	v_cvt_u32_f32_e32 v10, v10
	s_delay_alu instid0(VALU_DEP_2) | instskip(NEXT) | instid1(VALU_DEP_2)
	v_cvt_u32_f32_e32 v2, v2
	v_mul_lo_u32 v12, s0, v10
	s_delay_alu instid0(VALU_DEP_2) | instskip(SKIP_1) | instid1(VALU_DEP_2)
	v_mul_hi_u32 v13, s0, v2
	v_mul_lo_u32 v14, s65, v2
	v_add_nc_u32_e32 v12, v13, v12
	v_mul_lo_u32 v13, s0, v2
	s_delay_alu instid0(VALU_DEP_2) | instskip(NEXT) | instid1(VALU_DEP_2)
	v_add_nc_u32_e32 v12, v12, v14
	v_mul_hi_u32 v14, v2, v13
	s_delay_alu instid0(VALU_DEP_2)
	v_mul_lo_u32 v20, v2, v12
	v_mul_hi_u32 v22, v2, v12
	v_mul_hi_u32 v23, v10, v13
	v_mul_lo_u32 v13, v10, v13
	v_mul_hi_u32 v24, v10, v12
	v_mul_lo_u32 v12, v10, v12
	v_add_co_u32 v14, vcc_lo, v14, v20
	v_add_co_ci_u32_e32 v20, vcc_lo, 0, v22, vcc_lo
	s_delay_alu instid0(VALU_DEP_2) | instskip(NEXT) | instid1(VALU_DEP_2)
	v_add_co_u32 v13, vcc_lo, v14, v13
	v_add_co_ci_u32_e32 v13, vcc_lo, v20, v23, vcc_lo
	v_add_co_ci_u32_e32 v14, vcc_lo, 0, v24, vcc_lo
	s_delay_alu instid0(VALU_DEP_2) | instskip(NEXT) | instid1(VALU_DEP_2)
	v_add_co_u32 v12, vcc_lo, v13, v12
	v_add_co_ci_u32_e32 v13, vcc_lo, 0, v14, vcc_lo
	s_delay_alu instid0(VALU_DEP_2) | instskip(NEXT) | instid1(VALU_DEP_2)
	v_add_co_u32 v2, vcc_lo, v2, v12
	v_add_co_ci_u32_e32 v10, vcc_lo, v10, v13, vcc_lo
	s_delay_alu instid0(VALU_DEP_2) | instskip(SKIP_1) | instid1(VALU_DEP_3)
	v_mul_hi_u32 v12, s0, v2
	v_mul_lo_u32 v14, s65, v2
	v_mul_lo_u32 v13, s0, v10
	s_delay_alu instid0(VALU_DEP_1) | instskip(SKIP_1) | instid1(VALU_DEP_2)
	v_add_nc_u32_e32 v12, v12, v13
	v_mul_lo_u32 v13, s0, v2
	v_add_nc_u32_e32 v12, v12, v14
	s_delay_alu instid0(VALU_DEP_2) | instskip(NEXT) | instid1(VALU_DEP_2)
	v_mul_hi_u32 v14, v2, v13
	v_mul_lo_u32 v20, v2, v12
	v_mul_hi_u32 v22, v2, v12
	v_mul_hi_u32 v23, v10, v13
	v_mul_lo_u32 v13, v10, v13
	v_mul_hi_u32 v24, v10, v12
	v_mul_lo_u32 v12, v10, v12
	v_add_co_u32 v14, vcc_lo, v14, v20
	v_add_co_ci_u32_e32 v20, vcc_lo, 0, v22, vcc_lo
	s_delay_alu instid0(VALU_DEP_2) | instskip(NEXT) | instid1(VALU_DEP_2)
	v_add_co_u32 v13, vcc_lo, v14, v13
	v_add_co_ci_u32_e32 v13, vcc_lo, v20, v23, vcc_lo
	v_add_co_ci_u32_e32 v14, vcc_lo, 0, v24, vcc_lo
	v_add_co_u32 v20, vcc_lo, v19, v17
	v_add_co_ci_u32_e32 v22, vcc_lo, v21, v17, vcc_lo
	s_delay_alu instid0(VALU_DEP_4) | instskip(NEXT) | instid1(VALU_DEP_4)
	v_add_co_u32 v12, vcc_lo, v13, v12
	v_add_co_ci_u32_e32 v13, vcc_lo, 0, v14, vcc_lo
	s_delay_alu instid0(VALU_DEP_4) | instskip(NEXT) | instid1(VALU_DEP_3)
	v_xor_b32_e32 v14, v20, v17
	v_add_co_u32 v2, vcc_lo, v2, v12
	s_delay_alu instid0(VALU_DEP_3) | instskip(SKIP_1) | instid1(VALU_DEP_3)
	v_add_co_ci_u32_e32 v10, vcc_lo, v10, v13, vcc_lo
	v_xor_b32_e32 v20, v22, v17
	v_mul_hi_u32 v24, v14, v2
	s_delay_alu instid0(VALU_DEP_3) | instskip(NEXT) | instid1(VALU_DEP_3)
	v_mad_u64_u32 v[12:13], null, v14, v10, 0
	v_mad_u64_u32 v[22:23], null, v20, v2, 0
	;; [unrolled: 1-line block ×3, first 2 shown]
	s_delay_alu instid0(VALU_DEP_3) | instskip(NEXT) | instid1(VALU_DEP_4)
	v_add_co_u32 v2, vcc_lo, v24, v12
	v_add_co_ci_u32_e32 v10, vcc_lo, 0, v13, vcc_lo
	s_delay_alu instid0(VALU_DEP_2) | instskip(NEXT) | instid1(VALU_DEP_2)
	v_add_co_u32 v2, vcc_lo, v2, v22
	v_add_co_ci_u32_e32 v2, vcc_lo, v10, v23, vcc_lo
	v_add_co_ci_u32_e32 v10, vcc_lo, 0, v27, vcc_lo
	s_delay_alu instid0(VALU_DEP_2) | instskip(NEXT) | instid1(VALU_DEP_2)
	v_add_co_u32 v2, vcc_lo, v2, v26
	v_add_co_ci_u32_e32 v10, vcc_lo, 0, v10, vcc_lo
	s_delay_alu instid0(VALU_DEP_2) | instskip(SKIP_1) | instid1(VALU_DEP_3)
	v_mul_lo_u32 v22, s67, v2
	v_mad_u64_u32 v[12:13], null, s66, v2, 0
	v_mul_lo_u32 v23, s66, v10
	s_delay_alu instid0(VALU_DEP_2) | instskip(NEXT) | instid1(VALU_DEP_2)
	v_sub_co_u32 v12, vcc_lo, v14, v12
	v_add3_u32 v13, v13, v23, v22
	s_delay_alu instid0(VALU_DEP_1) | instskip(NEXT) | instid1(VALU_DEP_1)
	v_sub_nc_u32_e32 v22, v20, v13
	v_subrev_co_ci_u32_e64 v14, s0, s67, v22, vcc_lo
	v_add_co_u32 v22, s0, v2, 2
	s_delay_alu instid0(VALU_DEP_1) | instskip(SKIP_3) | instid1(VALU_DEP_3)
	v_add_co_ci_u32_e64 v23, s0, 0, v10, s0
	v_sub_co_u32 v24, s0, v12, s66
	v_sub_co_ci_u32_e32 v13, vcc_lo, v20, v13, vcc_lo
	v_subrev_co_ci_u32_e64 v14, s0, 0, v14, s0
	v_cmp_le_u32_e32 vcc_lo, s66, v24
	s_delay_alu instid0(VALU_DEP_3) | instskip(SKIP_1) | instid1(VALU_DEP_4)
	v_cmp_eq_u32_e64 s0, s67, v13
	v_cndmask_b32_e64 v20, 0, -1, vcc_lo
	v_cmp_le_u32_e32 vcc_lo, s67, v14
	v_cndmask_b32_e64 v24, 0, -1, vcc_lo
	v_cmp_le_u32_e32 vcc_lo, s66, v12
	;; [unrolled: 2-line block ×3, first 2 shown]
	v_cndmask_b32_e64 v26, 0, -1, vcc_lo
	v_cmp_eq_u32_e32 vcc_lo, s67, v14
	s_delay_alu instid0(VALU_DEP_2) | instskip(SKIP_3) | instid1(VALU_DEP_3)
	v_cndmask_b32_e64 v12, v26, v12, s0
	v_cndmask_b32_e32 v14, v24, v20, vcc_lo
	v_add_co_u32 v20, vcc_lo, v2, 1
	v_add_co_ci_u32_e32 v24, vcc_lo, 0, v10, vcc_lo
	v_cmp_ne_u32_e32 vcc_lo, 0, v14
	s_delay_alu instid0(VALU_DEP_2) | instskip(NEXT) | instid1(VALU_DEP_4)
	v_cndmask_b32_e32 v13, v24, v23, vcc_lo
	v_cndmask_b32_e32 v14, v20, v22, vcc_lo
	v_cmp_ne_u32_e32 vcc_lo, 0, v12
	v_xor_b32_e32 v20, s64, v17
	s_delay_alu instid0(VALU_DEP_3) | instskip(SKIP_1) | instid1(VALU_DEP_2)
	v_cndmask_b32_e32 v2, v2, v14, vcc_lo
	v_cndmask_b32_e32 v10, v10, v13, vcc_lo
	v_xor_b32_e32 v2, v2, v20
	s_delay_alu instid0(VALU_DEP_2) | instskip(NEXT) | instid1(VALU_DEP_2)
	v_xor_b32_e32 v10, v10, v20
	v_sub_co_u32 v12, vcc_lo, v2, v20
	s_delay_alu instid0(VALU_DEP_2)
	v_sub_co_ci_u32_e32 v13, vcc_lo, v10, v20, vcc_lo
.LBB31_13:                              ;   in Loop: Header=BB31_3 Depth=1
	s_and_not1_saveexec_b32 s0, s83
	s_cbranch_execz .LBB31_15
; %bb.14:                               ;   in Loop: Header=BB31_3 Depth=1
	v_rcp_iflag_f32_e32 v2, v28
	s_sub_i32 s64, 0, s40
	s_waitcnt_depctr 0xfff
	v_mul_f32_e32 v2, 0x4f7ffffe, v2
	s_delay_alu instid0(VALU_DEP_1) | instskip(NEXT) | instid1(VALU_DEP_1)
	v_cvt_u32_f32_e32 v2, v2
	v_mul_lo_u32 v10, s64, v2
	s_delay_alu instid0(VALU_DEP_1) | instskip(NEXT) | instid1(VALU_DEP_1)
	v_mul_hi_u32 v10, v2, v10
	v_add_nc_u32_e32 v2, v2, v10
	s_delay_alu instid0(VALU_DEP_1) | instskip(NEXT) | instid1(VALU_DEP_1)
	v_mul_hi_u32 v2, v19, v2
	v_mul_lo_u32 v10, v2, s40
	v_add_nc_u32_e32 v12, 1, v2
	s_delay_alu instid0(VALU_DEP_2) | instskip(NEXT) | instid1(VALU_DEP_1)
	v_sub_nc_u32_e32 v10, v19, v10
	v_subrev_nc_u32_e32 v13, s40, v10
	v_cmp_le_u32_e32 vcc_lo, s40, v10
	s_delay_alu instid0(VALU_DEP_2) | instskip(SKIP_1) | instid1(VALU_DEP_2)
	v_dual_cndmask_b32 v10, v10, v13 :: v_dual_mov_b32 v13, v1
	v_cndmask_b32_e32 v2, v2, v12, vcc_lo
	v_cmp_le_u32_e32 vcc_lo, s40, v10
	s_delay_alu instid0(VALU_DEP_2) | instskip(NEXT) | instid1(VALU_DEP_1)
	v_add_nc_u32_e32 v12, 1, v2
	v_cndmask_b32_e32 v12, v2, v12, vcc_lo
.LBB31_15:                              ;   in Loop: Header=BB31_3 Depth=1
	s_or_b32 exec_lo, exec_lo, s0
	s_delay_alu instid0(VALU_DEP_1) | instskip(NEXT) | instid1(VALU_DEP_2)
	v_mul_lo_u32 v2, v13, s40
	v_mul_lo_u32 v10, v12, s41
	v_mad_u64_u32 v[22:23], null, v12, s40, 0
	v_mul_lo_u32 v20, v12, s13
	s_mov_b32 s0, exec_lo
	s_delay_alu instid0(VALU_DEP_2) | instskip(SKIP_1) | instid1(VALU_DEP_4)
	v_add3_u32 v2, v23, v10, v2
	v_mul_lo_u32 v10, v13, s12
	v_sub_co_u32 v13, vcc_lo, v7, v22
	s_delay_alu instid0(VALU_DEP_3) | instskip(NEXT) | instid1(VALU_DEP_2)
	v_sub_co_ci_u32_e32 v2, vcc_lo, v8, v2, vcc_lo
	v_add_co_u32 v24, vcc_lo, v3, v13
	v_mad_u64_u32 v[13:14], null, v12, s12, 0
	s_delay_alu instid0(VALU_DEP_3) | instskip(NEXT) | instid1(VALU_DEP_3)
	v_add_co_ci_u32_e32 v2, vcc_lo, v4, v2, vcc_lo
	v_mul_lo_u32 v12, v24, s15
	v_mad_u64_u32 v[22:23], null, v24, s14, 0
	s_delay_alu instid0(VALU_DEP_3) | instskip(SKIP_1) | instid1(VALU_DEP_2)
	v_mul_lo_u32 v2, v2, s14
	v_add3_u32 v14, v14, v20, v10
	v_add3_u32 v23, v23, v12, v2
	s_delay_alu instid0(VALU_DEP_2) | instskip(SKIP_1) | instid1(VALU_DEP_3)
	v_lshlrev_b64 v[12:13], 1, v[13:14]
	v_mov_b32_e32 v14, v9
	v_lshlrev_b64 v[22:23], 1, v[22:23]
	s_delay_alu instid0(VALU_DEP_3) | instskip(NEXT) | instid1(VALU_DEP_4)
	v_add_co_u32 v2, vcc_lo, s34, v12
	v_add_co_ci_u32_e32 v10, vcc_lo, s35, v13, vcc_lo
	s_delay_alu instid0(VALU_DEP_2) | instskip(NEXT) | instid1(VALU_DEP_2)
	v_add_co_u32 v12, vcc_lo, v2, v22
	v_add_co_ci_u32_e32 v13, vcc_lo, v10, v23, vcc_lo
	v_add_co_u32 v2, vcc_lo, v11, 2
	v_add_co_ci_u32_e32 v9, vcc_lo, 0, v14, vcc_lo
	global_load_u16 v26, v[12:13], off
	v_mul_lo_u32 v12, s5, v2
	v_mul_lo_u32 v13, s4, v9
	v_mad_u64_u32 v[9:10], null, s4, v2, 0
	s_delay_alu instid0(VALU_DEP_1) | instskip(NEXT) | instid1(VALU_DEP_2)
	v_add3_u32 v10, v10, v13, v12
	v_add_co_u32 v23, vcc_lo, v3, v9
                                        ; implicit-def: $vgpr12_vgpr13
	s_delay_alu instid0(VALU_DEP_2) | instskip(NEXT) | instid1(VALU_DEP_1)
	v_add_co_ci_u32_e32 v24, vcc_lo, v4, v10, vcc_lo
	v_or_b32_e32 v2, s41, v24
	v_ashrrev_i32_e32 v20, 31, v24
	s_delay_alu instid0(VALU_DEP_2)
	v_cmpx_ne_u64_e32 0, v[1:2]
	s_xor_b32 s83, exec_lo, s0
	s_cbranch_execz .LBB31_17
; %bb.16:                               ;   in Loop: Header=BB31_3 Depth=1
	s_ashr_i32 s64, s41, 31
	s_delay_alu instid0(SALU_CYCLE_1) | instskip(SKIP_2) | instid1(SALU_CYCLE_1)
	s_add_u32 s66, s40, s64
	s_mov_b32 s65, s64
	s_addc_u32 s67, s41, s64
	s_xor_b64 s[66:67], s[66:67], s[64:65]
	s_delay_alu instid0(SALU_CYCLE_1) | instskip(SKIP_3) | instid1(VALU_DEP_1)
	v_cvt_f32_u32_e32 v2, s66
	v_cvt_f32_u32_e32 v12, s67
	s_sub_u32 s0, 0, s66
	s_subb_u32 s65, 0, s67
	v_fmac_f32_e32 v2, 0x4f800000, v12
	s_delay_alu instid0(VALU_DEP_1) | instskip(SKIP_2) | instid1(VALU_DEP_1)
	v_rcp_f32_e32 v2, v2
	s_waitcnt_depctr 0xfff
	v_mul_f32_e32 v2, 0x5f7ffffc, v2
	v_mul_f32_e32 v12, 0x2f800000, v2
	s_delay_alu instid0(VALU_DEP_1) | instskip(NEXT) | instid1(VALU_DEP_1)
	v_trunc_f32_e32 v12, v12
	v_fmac_f32_e32 v2, 0xcf800000, v12
	v_cvt_u32_f32_e32 v12, v12
	s_delay_alu instid0(VALU_DEP_2) | instskip(NEXT) | instid1(VALU_DEP_2)
	v_cvt_u32_f32_e32 v2, v2
	v_mul_lo_u32 v13, s0, v12
	s_delay_alu instid0(VALU_DEP_2) | instskip(SKIP_1) | instid1(VALU_DEP_2)
	v_mul_hi_u32 v22, s0, v2
	v_mul_lo_u32 v27, s65, v2
	v_add_nc_u32_e32 v13, v22, v13
	v_mul_lo_u32 v22, s0, v2
	s_delay_alu instid0(VALU_DEP_2) | instskip(NEXT) | instid1(VALU_DEP_2)
	v_add_nc_u32_e32 v13, v13, v27
	v_mul_hi_u32 v27, v2, v22
	s_delay_alu instid0(VALU_DEP_2)
	v_mul_lo_u32 v29, v2, v13
	v_mul_hi_u32 v30, v2, v13
	v_mul_hi_u32 v31, v12, v22
	v_mul_lo_u32 v22, v12, v22
	v_mul_hi_u32 v32, v12, v13
	v_mul_lo_u32 v13, v12, v13
	v_add_co_u32 v27, vcc_lo, v27, v29
	v_add_co_ci_u32_e32 v29, vcc_lo, 0, v30, vcc_lo
	s_delay_alu instid0(VALU_DEP_2) | instskip(NEXT) | instid1(VALU_DEP_2)
	v_add_co_u32 v22, vcc_lo, v27, v22
	v_add_co_ci_u32_e32 v22, vcc_lo, v29, v31, vcc_lo
	v_add_co_ci_u32_e32 v27, vcc_lo, 0, v32, vcc_lo
	s_delay_alu instid0(VALU_DEP_2) | instskip(NEXT) | instid1(VALU_DEP_2)
	v_add_co_u32 v13, vcc_lo, v22, v13
	v_add_co_ci_u32_e32 v22, vcc_lo, 0, v27, vcc_lo
	s_delay_alu instid0(VALU_DEP_2) | instskip(NEXT) | instid1(VALU_DEP_2)
	v_add_co_u32 v2, vcc_lo, v2, v13
	v_add_co_ci_u32_e32 v12, vcc_lo, v12, v22, vcc_lo
	s_delay_alu instid0(VALU_DEP_2) | instskip(SKIP_1) | instid1(VALU_DEP_3)
	v_mul_hi_u32 v13, s0, v2
	v_mul_lo_u32 v27, s65, v2
	v_mul_lo_u32 v22, s0, v12
	s_delay_alu instid0(VALU_DEP_1) | instskip(SKIP_1) | instid1(VALU_DEP_2)
	v_add_nc_u32_e32 v13, v13, v22
	v_mul_lo_u32 v22, s0, v2
	v_add_nc_u32_e32 v13, v13, v27
	s_delay_alu instid0(VALU_DEP_2) | instskip(NEXT) | instid1(VALU_DEP_2)
	v_mul_hi_u32 v27, v2, v22
	v_mul_lo_u32 v29, v2, v13
	v_mul_hi_u32 v30, v2, v13
	v_mul_hi_u32 v31, v12, v22
	v_mul_lo_u32 v22, v12, v22
	v_mul_hi_u32 v32, v12, v13
	v_mul_lo_u32 v13, v12, v13
	v_add_co_u32 v27, vcc_lo, v27, v29
	v_add_co_ci_u32_e32 v29, vcc_lo, 0, v30, vcc_lo
	s_delay_alu instid0(VALU_DEP_2) | instskip(NEXT) | instid1(VALU_DEP_2)
	v_add_co_u32 v22, vcc_lo, v27, v22
	v_add_co_ci_u32_e32 v22, vcc_lo, v29, v31, vcc_lo
	v_add_co_ci_u32_e32 v27, vcc_lo, 0, v32, vcc_lo
	v_add_co_u32 v29, vcc_lo, v23, v20
	v_add_co_ci_u32_e32 v30, vcc_lo, v24, v20, vcc_lo
	s_delay_alu instid0(VALU_DEP_4) | instskip(NEXT) | instid1(VALU_DEP_4)
	v_add_co_u32 v13, vcc_lo, v22, v13
	v_add_co_ci_u32_e32 v22, vcc_lo, 0, v27, vcc_lo
	s_delay_alu instid0(VALU_DEP_4) | instskip(NEXT) | instid1(VALU_DEP_3)
	v_xor_b32_e32 v27, v29, v20
	v_add_co_u32 v2, vcc_lo, v2, v13
	s_delay_alu instid0(VALU_DEP_3) | instskip(SKIP_1) | instid1(VALU_DEP_3)
	v_add_co_ci_u32_e32 v22, vcc_lo, v12, v22, vcc_lo
	v_xor_b32_e32 v33, v30, v20
	v_mul_hi_u32 v34, v27, v2
	s_delay_alu instid0(VALU_DEP_3) | instskip(NEXT) | instid1(VALU_DEP_3)
	v_mad_u64_u32 v[12:13], null, v27, v22, 0
	v_mad_u64_u32 v[29:30], null, v33, v2, 0
	;; [unrolled: 1-line block ×3, first 2 shown]
	s_delay_alu instid0(VALU_DEP_3) | instskip(NEXT) | instid1(VALU_DEP_4)
	v_add_co_u32 v2, vcc_lo, v34, v12
	v_add_co_ci_u32_e32 v12, vcc_lo, 0, v13, vcc_lo
	s_delay_alu instid0(VALU_DEP_2) | instskip(NEXT) | instid1(VALU_DEP_2)
	v_add_co_u32 v2, vcc_lo, v2, v29
	v_add_co_ci_u32_e32 v2, vcc_lo, v12, v30, vcc_lo
	v_add_co_ci_u32_e32 v12, vcc_lo, 0, v32, vcc_lo
	s_delay_alu instid0(VALU_DEP_2) | instskip(NEXT) | instid1(VALU_DEP_2)
	v_add_co_u32 v2, vcc_lo, v2, v31
	v_add_co_ci_u32_e32 v22, vcc_lo, 0, v12, vcc_lo
	s_delay_alu instid0(VALU_DEP_2) | instskip(SKIP_1) | instid1(VALU_DEP_3)
	v_mul_lo_u32 v29, s67, v2
	v_mad_u64_u32 v[12:13], null, s66, v2, 0
	v_mul_lo_u32 v30, s66, v22
	s_delay_alu instid0(VALU_DEP_2) | instskip(NEXT) | instid1(VALU_DEP_2)
	v_sub_co_u32 v12, vcc_lo, v27, v12
	v_add3_u32 v13, v13, v30, v29
	s_delay_alu instid0(VALU_DEP_1) | instskip(NEXT) | instid1(VALU_DEP_1)
	v_sub_nc_u32_e32 v29, v33, v13
	v_subrev_co_ci_u32_e64 v27, s0, s67, v29, vcc_lo
	v_add_co_u32 v29, s0, v2, 2
	s_delay_alu instid0(VALU_DEP_1) | instskip(SKIP_3) | instid1(VALU_DEP_3)
	v_add_co_ci_u32_e64 v30, s0, 0, v22, s0
	v_sub_co_u32 v31, s0, v12, s66
	v_sub_co_ci_u32_e32 v13, vcc_lo, v33, v13, vcc_lo
	v_subrev_co_ci_u32_e64 v27, s0, 0, v27, s0
	v_cmp_le_u32_e32 vcc_lo, s66, v31
	s_delay_alu instid0(VALU_DEP_3) | instskip(SKIP_1) | instid1(VALU_DEP_4)
	v_cmp_eq_u32_e64 s0, s67, v13
	v_cndmask_b32_e64 v31, 0, -1, vcc_lo
	v_cmp_le_u32_e32 vcc_lo, s67, v27
	v_cndmask_b32_e64 v32, 0, -1, vcc_lo
	v_cmp_le_u32_e32 vcc_lo, s66, v12
	;; [unrolled: 2-line block ×3, first 2 shown]
	v_cndmask_b32_e64 v33, 0, -1, vcc_lo
	v_cmp_eq_u32_e32 vcc_lo, s67, v27
	s_delay_alu instid0(VALU_DEP_2) | instskip(SKIP_3) | instid1(VALU_DEP_3)
	v_cndmask_b32_e64 v12, v33, v12, s0
	v_cndmask_b32_e32 v27, v32, v31, vcc_lo
	v_add_co_u32 v31, vcc_lo, v2, 1
	v_add_co_ci_u32_e32 v32, vcc_lo, 0, v22, vcc_lo
	v_cmp_ne_u32_e32 vcc_lo, 0, v27
	s_delay_alu instid0(VALU_DEP_3) | instskip(NEXT) | instid1(VALU_DEP_3)
	v_cndmask_b32_e32 v27, v31, v29, vcc_lo
	v_cndmask_b32_e32 v13, v32, v30, vcc_lo
	v_cmp_ne_u32_e32 vcc_lo, 0, v12
	v_xor_b32_e32 v29, s64, v20
	s_delay_alu instid0(VALU_DEP_4) | instskip(NEXT) | instid1(VALU_DEP_4)
	v_cndmask_b32_e32 v2, v2, v27, vcc_lo
	v_cndmask_b32_e32 v12, v22, v13, vcc_lo
	s_delay_alu instid0(VALU_DEP_2) | instskip(NEXT) | instid1(VALU_DEP_2)
	v_xor_b32_e32 v2, v2, v29
	v_xor_b32_e32 v13, v12, v29
	s_delay_alu instid0(VALU_DEP_2) | instskip(NEXT) | instid1(VALU_DEP_2)
	v_sub_co_u32 v12, vcc_lo, v2, v29
	v_sub_co_ci_u32_e32 v13, vcc_lo, v13, v29, vcc_lo
.LBB31_17:                              ;   in Loop: Header=BB31_3 Depth=1
	s_and_not1_saveexec_b32 s0, s83
	s_cbranch_execz .LBB31_19
; %bb.18:                               ;   in Loop: Header=BB31_3 Depth=1
	v_rcp_iflag_f32_e32 v2, v28
	s_sub_i32 s64, 0, s40
	s_waitcnt_depctr 0xfff
	v_mul_f32_e32 v2, 0x4f7ffffe, v2
	s_delay_alu instid0(VALU_DEP_1) | instskip(NEXT) | instid1(VALU_DEP_1)
	v_cvt_u32_f32_e32 v2, v2
	v_mul_lo_u32 v12, s64, v2
	s_delay_alu instid0(VALU_DEP_1) | instskip(NEXT) | instid1(VALU_DEP_1)
	v_mul_hi_u32 v12, v2, v12
	v_add_nc_u32_e32 v2, v2, v12
	s_delay_alu instid0(VALU_DEP_1) | instskip(NEXT) | instid1(VALU_DEP_1)
	v_mul_hi_u32 v2, v23, v2
	v_mul_lo_u32 v12, v2, s40
	v_add_nc_u32_e32 v13, 1, v2
	s_delay_alu instid0(VALU_DEP_2) | instskip(NEXT) | instid1(VALU_DEP_1)
	v_sub_nc_u32_e32 v12, v23, v12
	v_subrev_nc_u32_e32 v22, s40, v12
	v_cmp_le_u32_e32 vcc_lo, s40, v12
	s_delay_alu instid0(VALU_DEP_2) | instskip(SKIP_1) | instid1(VALU_DEP_2)
	v_cndmask_b32_e32 v12, v12, v22, vcc_lo
	v_cndmask_b32_e32 v2, v2, v13, vcc_lo
	v_cmp_le_u32_e32 vcc_lo, s40, v12
	s_delay_alu instid0(VALU_DEP_2) | instskip(NEXT) | instid1(VALU_DEP_1)
	v_add_nc_u32_e32 v13, 1, v2
	v_dual_cndmask_b32 v12, v2, v13 :: v_dual_mov_b32 v13, v1
.LBB31_19:                              ;   in Loop: Header=BB31_3 Depth=1
	s_or_b32 exec_lo, exec_lo, s0
	s_delay_alu instid0(VALU_DEP_1) | instskip(NEXT) | instid1(VALU_DEP_2)
	v_mul_lo_u32 v2, v13, s40
	v_mul_lo_u32 v22, v12, s41
	v_mad_u64_u32 v[29:30], null, v12, s40, 0
	v_mul_lo_u32 v27, v12, s13
	s_mov_b32 s0, exec_lo
	s_delay_alu instid0(VALU_DEP_2) | instskip(SKIP_1) | instid1(VALU_DEP_4)
	v_add3_u32 v2, v30, v22, v2
	v_mul_lo_u32 v22, v13, s12
	v_sub_co_u32 v13, vcc_lo, v9, v29
	v_mad_u64_u32 v[29:30], null, v12, s12, 0
	s_delay_alu instid0(VALU_DEP_4) | instskip(NEXT) | instid1(VALU_DEP_3)
	v_sub_co_ci_u32_e32 v2, vcc_lo, v10, v2, vcc_lo
	v_add_co_u32 v31, vcc_lo, v3, v13
	s_delay_alu instid0(VALU_DEP_2) | instskip(NEXT) | instid1(VALU_DEP_2)
	v_add_co_ci_u32_e32 v2, vcc_lo, v4, v2, vcc_lo
	v_mul_lo_u32 v32, v31, s15
	v_mad_u64_u32 v[12:13], null, v31, s14, 0
	s_delay_alu instid0(VALU_DEP_3) | instskip(SKIP_1) | instid1(VALU_DEP_1)
	v_mul_lo_u32 v2, v2, s14
	v_add3_u32 v30, v30, v27, v22
	v_lshlrev_b64 v[29:30], 1, v[29:30]
	s_delay_alu instid0(VALU_DEP_3) | instskip(NEXT) | instid1(VALU_DEP_2)
	v_add3_u32 v13, v13, v32, v2
	v_add_co_u32 v2, vcc_lo, s34, v29
	s_delay_alu instid0(VALU_DEP_2) | instskip(NEXT) | instid1(VALU_DEP_4)
	v_lshlrev_b64 v[12:13], 1, v[12:13]
	v_add_co_ci_u32_e32 v22, vcc_lo, s35, v30, vcc_lo
	s_delay_alu instid0(VALU_DEP_2) | instskip(NEXT) | instid1(VALU_DEP_2)
	v_add_co_u32 v12, vcc_lo, v2, v12
	v_add_co_ci_u32_e32 v13, vcc_lo, v22, v13, vcc_lo
	v_add_co_u32 v2, vcc_lo, v11, 3
	v_add_co_ci_u32_e32 v11, vcc_lo, 0, v14, vcc_lo
	global_load_u16 v27, v[12:13], off
	v_mul_lo_u32 v13, s5, v2
	v_mul_lo_u32 v14, s4, v11
	v_mad_u64_u32 v[11:12], null, s4, v2, 0
	s_delay_alu instid0(VALU_DEP_1) | instskip(NEXT) | instid1(VALU_DEP_2)
	v_add3_u32 v12, v12, v14, v13
	v_add_co_u32 v29, vcc_lo, v3, v11
                                        ; implicit-def: $vgpr13_vgpr14
	s_delay_alu instid0(VALU_DEP_2) | instskip(NEXT) | instid1(VALU_DEP_1)
	v_add_co_ci_u32_e32 v30, vcc_lo, v4, v12, vcc_lo
	v_or_b32_e32 v2, s41, v30
	v_ashrrev_i32_e32 v22, 31, v30
	s_delay_alu instid0(VALU_DEP_2)
	v_cmpx_ne_u64_e32 0, v[1:2]
	s_xor_b32 s83, exec_lo, s0
	s_cbranch_execz .LBB31_21
; %bb.20:                               ;   in Loop: Header=BB31_3 Depth=1
	s_ashr_i32 s64, s41, 31
	s_delay_alu instid0(SALU_CYCLE_1) | instskip(SKIP_2) | instid1(SALU_CYCLE_1)
	s_add_u32 s66, s40, s64
	s_mov_b32 s65, s64
	s_addc_u32 s67, s41, s64
	s_xor_b64 s[66:67], s[66:67], s[64:65]
	s_delay_alu instid0(SALU_CYCLE_1) | instskip(SKIP_3) | instid1(VALU_DEP_1)
	v_cvt_f32_u32_e32 v2, s66
	v_cvt_f32_u32_e32 v13, s67
	s_sub_u32 s0, 0, s66
	s_subb_u32 s65, 0, s67
	v_fmac_f32_e32 v2, 0x4f800000, v13
	s_delay_alu instid0(VALU_DEP_1) | instskip(SKIP_2) | instid1(VALU_DEP_1)
	v_rcp_f32_e32 v2, v2
	s_waitcnt_depctr 0xfff
	v_mul_f32_e32 v2, 0x5f7ffffc, v2
	v_mul_f32_e32 v13, 0x2f800000, v2
	s_delay_alu instid0(VALU_DEP_1) | instskip(NEXT) | instid1(VALU_DEP_1)
	v_trunc_f32_e32 v13, v13
	v_fmac_f32_e32 v2, 0xcf800000, v13
	v_cvt_u32_f32_e32 v13, v13
	s_delay_alu instid0(VALU_DEP_2) | instskip(NEXT) | instid1(VALU_DEP_2)
	v_cvt_u32_f32_e32 v2, v2
	v_mul_lo_u32 v14, s0, v13
	s_delay_alu instid0(VALU_DEP_2) | instskip(SKIP_1) | instid1(VALU_DEP_2)
	v_mul_hi_u32 v28, s0, v2
	v_mul_lo_u32 v31, s65, v2
	v_add_nc_u32_e32 v14, v28, v14
	v_mul_lo_u32 v28, s0, v2
	s_delay_alu instid0(VALU_DEP_2) | instskip(NEXT) | instid1(VALU_DEP_2)
	v_add_nc_u32_e32 v14, v14, v31
	v_mul_hi_u32 v31, v2, v28
	s_delay_alu instid0(VALU_DEP_2)
	v_mul_lo_u32 v32, v2, v14
	v_mul_hi_u32 v33, v2, v14
	v_mul_hi_u32 v34, v13, v28
	v_mul_lo_u32 v28, v13, v28
	v_mul_hi_u32 v35, v13, v14
	v_mul_lo_u32 v14, v13, v14
	v_add_co_u32 v31, vcc_lo, v31, v32
	v_add_co_ci_u32_e32 v32, vcc_lo, 0, v33, vcc_lo
	s_delay_alu instid0(VALU_DEP_2) | instskip(NEXT) | instid1(VALU_DEP_2)
	v_add_co_u32 v28, vcc_lo, v31, v28
	v_add_co_ci_u32_e32 v28, vcc_lo, v32, v34, vcc_lo
	v_add_co_ci_u32_e32 v31, vcc_lo, 0, v35, vcc_lo
	s_delay_alu instid0(VALU_DEP_2) | instskip(NEXT) | instid1(VALU_DEP_2)
	v_add_co_u32 v14, vcc_lo, v28, v14
	v_add_co_ci_u32_e32 v28, vcc_lo, 0, v31, vcc_lo
	s_delay_alu instid0(VALU_DEP_2) | instskip(NEXT) | instid1(VALU_DEP_2)
	v_add_co_u32 v2, vcc_lo, v2, v14
	v_add_co_ci_u32_e32 v13, vcc_lo, v13, v28, vcc_lo
	s_delay_alu instid0(VALU_DEP_2) | instskip(SKIP_1) | instid1(VALU_DEP_3)
	v_mul_hi_u32 v14, s0, v2
	v_mul_lo_u32 v31, s65, v2
	v_mul_lo_u32 v28, s0, v13
	s_delay_alu instid0(VALU_DEP_1) | instskip(SKIP_1) | instid1(VALU_DEP_2)
	v_add_nc_u32_e32 v14, v14, v28
	v_mul_lo_u32 v28, s0, v2
	v_add_nc_u32_e32 v14, v14, v31
	s_delay_alu instid0(VALU_DEP_2) | instskip(NEXT) | instid1(VALU_DEP_2)
	v_mul_hi_u32 v31, v2, v28
	v_mul_lo_u32 v32, v2, v14
	v_mul_hi_u32 v33, v2, v14
	v_mul_hi_u32 v34, v13, v28
	v_mul_lo_u32 v28, v13, v28
	v_mul_hi_u32 v35, v13, v14
	v_mul_lo_u32 v14, v13, v14
	v_add_co_u32 v31, vcc_lo, v31, v32
	v_add_co_ci_u32_e32 v32, vcc_lo, 0, v33, vcc_lo
	s_delay_alu instid0(VALU_DEP_2) | instskip(NEXT) | instid1(VALU_DEP_2)
	v_add_co_u32 v28, vcc_lo, v31, v28
	v_add_co_ci_u32_e32 v28, vcc_lo, v32, v34, vcc_lo
	v_add_co_ci_u32_e32 v31, vcc_lo, 0, v35, vcc_lo
	v_add_co_u32 v32, vcc_lo, v29, v22
	v_add_co_ci_u32_e32 v33, vcc_lo, v30, v22, vcc_lo
	s_delay_alu instid0(VALU_DEP_4) | instskip(NEXT) | instid1(VALU_DEP_4)
	v_add_co_u32 v14, vcc_lo, v28, v14
	v_add_co_ci_u32_e32 v28, vcc_lo, 0, v31, vcc_lo
	s_delay_alu instid0(VALU_DEP_4) | instskip(NEXT) | instid1(VALU_DEP_3)
	v_xor_b32_e32 v35, v32, v22
	v_add_co_u32 v2, vcc_lo, v2, v14
	s_delay_alu instid0(VALU_DEP_3) | instskip(SKIP_1) | instid1(VALU_DEP_3)
	v_add_co_ci_u32_e32 v28, vcc_lo, v13, v28, vcc_lo
	v_xor_b32_e32 v36, v33, v22
	v_mul_hi_u32 v37, v35, v2
	s_delay_alu instid0(VALU_DEP_3) | instskip(NEXT) | instid1(VALU_DEP_3)
	v_mad_u64_u32 v[13:14], null, v35, v28, 0
	v_mad_u64_u32 v[31:32], null, v36, v2, 0
	;; [unrolled: 1-line block ×3, first 2 shown]
	s_delay_alu instid0(VALU_DEP_3) | instskip(NEXT) | instid1(VALU_DEP_4)
	v_add_co_u32 v2, vcc_lo, v37, v13
	v_add_co_ci_u32_e32 v13, vcc_lo, 0, v14, vcc_lo
	s_delay_alu instid0(VALU_DEP_2) | instskip(NEXT) | instid1(VALU_DEP_2)
	v_add_co_u32 v2, vcc_lo, v2, v31
	v_add_co_ci_u32_e32 v2, vcc_lo, v13, v32, vcc_lo
	v_add_co_ci_u32_e32 v13, vcc_lo, 0, v34, vcc_lo
	s_delay_alu instid0(VALU_DEP_2) | instskip(NEXT) | instid1(VALU_DEP_2)
	v_add_co_u32 v2, vcc_lo, v2, v33
	v_add_co_ci_u32_e32 v28, vcc_lo, 0, v13, vcc_lo
	s_delay_alu instid0(VALU_DEP_2) | instskip(SKIP_1) | instid1(VALU_DEP_3)
	v_mul_lo_u32 v31, s67, v2
	v_mad_u64_u32 v[13:14], null, s66, v2, 0
	v_mul_lo_u32 v32, s66, v28
	s_delay_alu instid0(VALU_DEP_2) | instskip(NEXT) | instid1(VALU_DEP_2)
	v_sub_co_u32 v13, vcc_lo, v35, v13
	v_add3_u32 v14, v14, v32, v31
	s_delay_alu instid0(VALU_DEP_1) | instskip(NEXT) | instid1(VALU_DEP_1)
	v_sub_nc_u32_e32 v31, v36, v14
	v_subrev_co_ci_u32_e64 v31, s0, s67, v31, vcc_lo
	v_add_co_u32 v32, s0, v2, 2
	s_delay_alu instid0(VALU_DEP_1) | instskip(SKIP_3) | instid1(VALU_DEP_3)
	v_add_co_ci_u32_e64 v33, s0, 0, v28, s0
	v_sub_co_u32 v34, s0, v13, s66
	v_sub_co_ci_u32_e32 v14, vcc_lo, v36, v14, vcc_lo
	v_subrev_co_ci_u32_e64 v31, s0, 0, v31, s0
	v_cmp_le_u32_e32 vcc_lo, s66, v34
	s_delay_alu instid0(VALU_DEP_3) | instskip(SKIP_1) | instid1(VALU_DEP_4)
	v_cmp_eq_u32_e64 s0, s67, v14
	v_cndmask_b32_e64 v34, 0, -1, vcc_lo
	v_cmp_le_u32_e32 vcc_lo, s67, v31
	v_cndmask_b32_e64 v35, 0, -1, vcc_lo
	v_cmp_le_u32_e32 vcc_lo, s66, v13
	;; [unrolled: 2-line block ×3, first 2 shown]
	v_cndmask_b32_e64 v36, 0, -1, vcc_lo
	v_cmp_eq_u32_e32 vcc_lo, s67, v31
	s_delay_alu instid0(VALU_DEP_2) | instskip(SKIP_3) | instid1(VALU_DEP_3)
	v_cndmask_b32_e64 v13, v36, v13, s0
	v_cndmask_b32_e32 v31, v35, v34, vcc_lo
	v_add_co_u32 v34, vcc_lo, v2, 1
	v_add_co_ci_u32_e32 v35, vcc_lo, 0, v28, vcc_lo
	v_cmp_ne_u32_e32 vcc_lo, 0, v31
	s_delay_alu instid0(VALU_DEP_2) | instskip(SKIP_2) | instid1(VALU_DEP_3)
	v_dual_cndmask_b32 v14, v35, v33 :: v_dual_cndmask_b32 v31, v34, v32
	v_cmp_ne_u32_e32 vcc_lo, 0, v13
	v_xor_b32_e32 v32, s64, v22
	v_dual_cndmask_b32 v13, v28, v14 :: v_dual_cndmask_b32 v2, v2, v31
                                        ; implicit-def: $vgpr28
	s_delay_alu instid0(VALU_DEP_1) | instskip(NEXT) | instid1(VALU_DEP_2)
	v_xor_b32_e32 v14, v13, v32
	v_xor_b32_e32 v2, v2, v32
	s_delay_alu instid0(VALU_DEP_1) | instskip(NEXT) | instid1(VALU_DEP_3)
	v_sub_co_u32 v13, vcc_lo, v2, v32
	v_sub_co_ci_u32_e32 v14, vcc_lo, v14, v32, vcc_lo
.LBB31_21:                              ;   in Loop: Header=BB31_3 Depth=1
	s_and_not1_saveexec_b32 s0, s83
	s_cbranch_execz .LBB31_23
; %bb.22:                               ;   in Loop: Header=BB31_3 Depth=1
	v_rcp_iflag_f32_e32 v2, v28
	s_sub_i32 s64, 0, s40
	s_waitcnt_depctr 0xfff
	v_mul_f32_e32 v2, 0x4f7ffffe, v2
	s_delay_alu instid0(VALU_DEP_1) | instskip(NEXT) | instid1(VALU_DEP_1)
	v_cvt_u32_f32_e32 v2, v2
	v_mul_lo_u32 v13, s64, v2
	s_delay_alu instid0(VALU_DEP_1) | instskip(NEXT) | instid1(VALU_DEP_1)
	v_mul_hi_u32 v13, v2, v13
	v_add_nc_u32_e32 v2, v2, v13
	s_delay_alu instid0(VALU_DEP_1) | instskip(NEXT) | instid1(VALU_DEP_1)
	v_mul_hi_u32 v2, v29, v2
	v_mul_lo_u32 v13, v2, s40
	v_add_nc_u32_e32 v14, 1, v2
	s_delay_alu instid0(VALU_DEP_2) | instskip(NEXT) | instid1(VALU_DEP_1)
	v_sub_nc_u32_e32 v13, v29, v13
	v_subrev_nc_u32_e32 v28, s40, v13
	v_cmp_le_u32_e32 vcc_lo, s40, v13
	s_delay_alu instid0(VALU_DEP_2) | instskip(NEXT) | instid1(VALU_DEP_1)
	v_dual_cndmask_b32 v13, v13, v28 :: v_dual_cndmask_b32 v2, v2, v14
	v_cmp_le_u32_e32 vcc_lo, s40, v13
	s_delay_alu instid0(VALU_DEP_2) | instskip(NEXT) | instid1(VALU_DEP_1)
	v_add_nc_u32_e32 v14, 1, v2
	v_dual_cndmask_b32 v13, v2, v14 :: v_dual_mov_b32 v14, v1
.LBB31_23:                              ;   in Loop: Header=BB31_3 Depth=1
	s_or_b32 exec_lo, exec_lo, s0
	s_delay_alu instid0(VALU_DEP_1) | instskip(NEXT) | instid1(VALU_DEP_2)
	v_mul_lo_u32 v2, v14, s40
	v_mul_lo_u32 v28, v13, s41
	v_mad_u64_u32 v[31:32], null, v13, s40, 0
	v_mul_lo_u32 v33, v13, s13
	s_mov_b32 s0, exec_lo
	s_delay_alu instid0(VALU_DEP_2) | instskip(SKIP_1) | instid1(VALU_DEP_4)
	v_add3_u32 v2, v32, v28, v2
	v_mul_lo_u32 v28, v14, s12
	v_sub_co_u32 v14, vcc_lo, v11, v31
	v_mad_u64_u32 v[31:32], null, v13, s12, 0
	s_delay_alu instid0(VALU_DEP_4) | instskip(NEXT) | instid1(VALU_DEP_3)
	v_sub_co_ci_u32_e32 v2, vcc_lo, v12, v2, vcc_lo
	v_add_co_u32 v34, vcc_lo, v3, v14
	s_delay_alu instid0(VALU_DEP_2) | instskip(NEXT) | instid1(VALU_DEP_2)
	v_add_co_ci_u32_e32 v2, vcc_lo, v4, v2, vcc_lo
	v_mul_lo_u32 v35, v34, s15
	v_mad_u64_u32 v[13:14], null, v34, s14, 0
	s_delay_alu instid0(VALU_DEP_3) | instskip(SKIP_1) | instid1(VALU_DEP_1)
	v_mul_lo_u32 v2, v2, s14
	v_add3_u32 v32, v32, v33, v28
	v_lshlrev_b64 v[31:32], 1, v[31:32]
	s_delay_alu instid0(VALU_DEP_3) | instskip(NEXT) | instid1(VALU_DEP_2)
	v_add3_u32 v14, v14, v35, v2
	v_add_co_u32 v2, vcc_lo, s34, v31
	s_delay_alu instid0(VALU_DEP_2) | instskip(NEXT) | instid1(VALU_DEP_4)
	v_lshlrev_b64 v[13:14], 1, v[13:14]
	v_add_co_ci_u32_e32 v28, vcc_lo, s35, v32, vcc_lo
	s_delay_alu instid0(VALU_DEP_2) | instskip(NEXT) | instid1(VALU_DEP_2)
	v_add_co_u32 v13, vcc_lo, v2, v13
	v_add_co_ci_u32_e32 v14, vcc_lo, v28, v14, vcc_lo
	v_or_b32_e32 v2, s47, v18
	global_load_u16 v28, v[13:14], off
                                        ; implicit-def: $vgpr13_vgpr14
	v_cmpx_ne_u64_e32 0, v[1:2]
	s_xor_b32 s83, exec_lo, s0
	s_cbranch_execz .LBB31_25
; %bb.24:                               ;   in Loop: Header=BB31_3 Depth=1
	s_ashr_i32 s64, s47, 31
	s_delay_alu instid0(SALU_CYCLE_1) | instskip(SKIP_2) | instid1(SALU_CYCLE_1)
	s_add_u32 s66, s46, s64
	s_mov_b32 s65, s64
	s_addc_u32 s67, s47, s64
	s_xor_b64 s[66:67], s[66:67], s[64:65]
	s_delay_alu instid0(SALU_CYCLE_1) | instskip(SKIP_3) | instid1(VALU_DEP_1)
	v_cvt_f32_u32_e32 v2, s66
	v_cvt_f32_u32_e32 v13, s67
	s_sub_u32 s0, 0, s66
	s_subb_u32 s65, 0, s67
	v_fmac_f32_e32 v2, 0x4f800000, v13
	s_delay_alu instid0(VALU_DEP_1) | instskip(SKIP_2) | instid1(VALU_DEP_1)
	v_rcp_f32_e32 v2, v2
	s_waitcnt_depctr 0xfff
	v_mul_f32_e32 v2, 0x5f7ffffc, v2
	v_mul_f32_e32 v13, 0x2f800000, v2
	s_delay_alu instid0(VALU_DEP_1) | instskip(NEXT) | instid1(VALU_DEP_1)
	v_trunc_f32_e32 v13, v13
	v_fmac_f32_e32 v2, 0xcf800000, v13
	v_cvt_u32_f32_e32 v13, v13
	s_delay_alu instid0(VALU_DEP_2) | instskip(NEXT) | instid1(VALU_DEP_2)
	v_cvt_u32_f32_e32 v2, v2
	v_mul_lo_u32 v14, s0, v13
	s_delay_alu instid0(VALU_DEP_2) | instskip(SKIP_1) | instid1(VALU_DEP_2)
	v_mul_hi_u32 v31, s0, v2
	v_mul_lo_u32 v32, s65, v2
	v_add_nc_u32_e32 v14, v31, v14
	v_mul_lo_u32 v31, s0, v2
	s_delay_alu instid0(VALU_DEP_2) | instskip(NEXT) | instid1(VALU_DEP_2)
	v_add_nc_u32_e32 v14, v14, v32
	v_mul_hi_u32 v32, v2, v31
	s_delay_alu instid0(VALU_DEP_2)
	v_mul_lo_u32 v33, v2, v14
	v_mul_hi_u32 v34, v2, v14
	v_mul_hi_u32 v35, v13, v31
	v_mul_lo_u32 v31, v13, v31
	v_mul_hi_u32 v36, v13, v14
	v_mul_lo_u32 v14, v13, v14
	v_add_co_u32 v32, vcc_lo, v32, v33
	v_add_co_ci_u32_e32 v33, vcc_lo, 0, v34, vcc_lo
	s_delay_alu instid0(VALU_DEP_2) | instskip(NEXT) | instid1(VALU_DEP_2)
	v_add_co_u32 v31, vcc_lo, v32, v31
	v_add_co_ci_u32_e32 v31, vcc_lo, v33, v35, vcc_lo
	v_add_co_ci_u32_e32 v32, vcc_lo, 0, v36, vcc_lo
	s_delay_alu instid0(VALU_DEP_2) | instskip(NEXT) | instid1(VALU_DEP_2)
	v_add_co_u32 v14, vcc_lo, v31, v14
	v_add_co_ci_u32_e32 v31, vcc_lo, 0, v32, vcc_lo
	s_delay_alu instid0(VALU_DEP_2) | instskip(NEXT) | instid1(VALU_DEP_2)
	v_add_co_u32 v2, vcc_lo, v2, v14
	v_add_co_ci_u32_e32 v13, vcc_lo, v13, v31, vcc_lo
	s_delay_alu instid0(VALU_DEP_2) | instskip(SKIP_1) | instid1(VALU_DEP_3)
	v_mul_hi_u32 v14, s0, v2
	v_mul_lo_u32 v32, s65, v2
	v_mul_lo_u32 v31, s0, v13
	s_delay_alu instid0(VALU_DEP_1) | instskip(SKIP_1) | instid1(VALU_DEP_2)
	v_add_nc_u32_e32 v14, v14, v31
	v_mul_lo_u32 v31, s0, v2
	v_add_nc_u32_e32 v14, v14, v32
	s_delay_alu instid0(VALU_DEP_2) | instskip(NEXT) | instid1(VALU_DEP_2)
	v_mul_hi_u32 v32, v2, v31
	v_mul_lo_u32 v33, v2, v14
	v_mul_hi_u32 v34, v2, v14
	v_mul_hi_u32 v35, v13, v31
	v_mul_lo_u32 v31, v13, v31
	v_mul_hi_u32 v36, v13, v14
	v_mul_lo_u32 v14, v13, v14
	v_add_co_u32 v32, vcc_lo, v32, v33
	v_add_co_ci_u32_e32 v33, vcc_lo, 0, v34, vcc_lo
	s_delay_alu instid0(VALU_DEP_2) | instskip(NEXT) | instid1(VALU_DEP_2)
	v_add_co_u32 v31, vcc_lo, v32, v31
	v_add_co_ci_u32_e32 v31, vcc_lo, v33, v35, vcc_lo
	v_add_co_ci_u32_e32 v32, vcc_lo, 0, v36, vcc_lo
	v_add_co_u32 v16, vcc_lo, v16, v15
	v_add_co_ci_u32_e32 v18, vcc_lo, v18, v15, vcc_lo
	s_delay_alu instid0(VALU_DEP_4) | instskip(NEXT) | instid1(VALU_DEP_4)
	v_add_co_u32 v14, vcc_lo, v31, v14
	v_add_co_ci_u32_e32 v31, vcc_lo, 0, v32, vcc_lo
	s_delay_alu instid0(VALU_DEP_4) | instskip(NEXT) | instid1(VALU_DEP_3)
	v_xor_b32_e32 v16, v16, v15
	v_add_co_u32 v2, vcc_lo, v2, v14
	s_delay_alu instid0(VALU_DEP_3) | instskip(SKIP_1) | instid1(VALU_DEP_3)
	v_add_co_ci_u32_e32 v35, vcc_lo, v13, v31, vcc_lo
	v_xor_b32_e32 v18, v18, v15
	v_mul_hi_u32 v36, v16, v2
	v_xor_b32_e32 v15, s64, v15
	s_delay_alu instid0(VALU_DEP_4) | instskip(NEXT) | instid1(VALU_DEP_4)
	v_mad_u64_u32 v[13:14], null, v16, v35, 0
	v_mad_u64_u32 v[31:32], null, v18, v2, 0
	;; [unrolled: 1-line block ×3, first 2 shown]
	s_delay_alu instid0(VALU_DEP_3) | instskip(NEXT) | instid1(VALU_DEP_4)
	v_add_co_u32 v2, vcc_lo, v36, v13
	v_add_co_ci_u32_e32 v13, vcc_lo, 0, v14, vcc_lo
	s_delay_alu instid0(VALU_DEP_2) | instskip(NEXT) | instid1(VALU_DEP_2)
	v_add_co_u32 v2, vcc_lo, v2, v31
	v_add_co_ci_u32_e32 v2, vcc_lo, v13, v32, vcc_lo
	v_add_co_ci_u32_e32 v13, vcc_lo, 0, v34, vcc_lo
	s_delay_alu instid0(VALU_DEP_2) | instskip(NEXT) | instid1(VALU_DEP_2)
	v_add_co_u32 v2, vcc_lo, v2, v33
	v_add_co_ci_u32_e32 v31, vcc_lo, 0, v13, vcc_lo
	s_delay_alu instid0(VALU_DEP_2) | instskip(SKIP_1) | instid1(VALU_DEP_3)
	v_mul_lo_u32 v32, s67, v2
	v_mad_u64_u32 v[13:14], null, s66, v2, 0
	v_mul_lo_u32 v33, s66, v31
	s_delay_alu instid0(VALU_DEP_2) | instskip(NEXT) | instid1(VALU_DEP_2)
	v_sub_co_u32 v13, vcc_lo, v16, v13
	v_add3_u32 v14, v14, v33, v32
	s_delay_alu instid0(VALU_DEP_1) | instskip(NEXT) | instid1(VALU_DEP_1)
	v_sub_nc_u32_e32 v32, v18, v14
	v_subrev_co_ci_u32_e64 v16, s0, s67, v32, vcc_lo
	v_add_co_u32 v32, s0, v2, 2
	s_delay_alu instid0(VALU_DEP_1) | instskip(SKIP_3) | instid1(VALU_DEP_3)
	v_add_co_ci_u32_e64 v33, s0, 0, v31, s0
	v_sub_co_u32 v34, s0, v13, s66
	v_sub_co_ci_u32_e32 v14, vcc_lo, v18, v14, vcc_lo
	v_subrev_co_ci_u32_e64 v16, s0, 0, v16, s0
	v_cmp_le_u32_e32 vcc_lo, s66, v34
	s_delay_alu instid0(VALU_DEP_3) | instskip(SKIP_1) | instid1(VALU_DEP_4)
	v_cmp_eq_u32_e64 s0, s67, v14
	v_cndmask_b32_e64 v18, 0, -1, vcc_lo
	v_cmp_le_u32_e32 vcc_lo, s67, v16
	v_cndmask_b32_e64 v34, 0, -1, vcc_lo
	v_cmp_le_u32_e32 vcc_lo, s66, v13
	;; [unrolled: 2-line block ×3, first 2 shown]
	v_cndmask_b32_e64 v35, 0, -1, vcc_lo
	v_cmp_eq_u32_e32 vcc_lo, s67, v16
	s_delay_alu instid0(VALU_DEP_2) | instskip(SKIP_3) | instid1(VALU_DEP_3)
	v_cndmask_b32_e64 v13, v35, v13, s0
	v_cndmask_b32_e32 v16, v34, v18, vcc_lo
	v_add_co_u32 v18, vcc_lo, v2, 1
	v_add_co_ci_u32_e32 v34, vcc_lo, 0, v31, vcc_lo
	v_cmp_ne_u32_e32 vcc_lo, 0, v16
	s_delay_alu instid0(VALU_DEP_2) | instskip(NEXT) | instid1(VALU_DEP_4)
	v_cndmask_b32_e32 v14, v34, v33, vcc_lo
	v_cndmask_b32_e32 v16, v18, v32, vcc_lo
	v_cmp_ne_u32_e32 vcc_lo, 0, v13
	s_delay_alu instid0(VALU_DEP_2) | instskip(NEXT) | instid1(VALU_DEP_1)
	v_dual_cndmask_b32 v2, v2, v16 :: v_dual_cndmask_b32 v13, v31, v14
                                        ; implicit-def: $vgpr16
	v_xor_b32_e32 v2, v2, v15
	s_delay_alu instid0(VALU_DEP_2) | instskip(NEXT) | instid1(VALU_DEP_2)
	v_xor_b32_e32 v14, v13, v15
	v_sub_co_u32 v13, vcc_lo, v2, v15
	s_delay_alu instid0(VALU_DEP_2)
	v_sub_co_ci_u32_e32 v14, vcc_lo, v14, v15, vcc_lo
.LBB31_25:                              ;   in Loop: Header=BB31_3 Depth=1
	s_or_saveexec_b32 s0, s83
	v_cvt_f32_u32_e32 v31, s46
	s_xor_b32 exec_lo, exec_lo, s0
	s_cbranch_execz .LBB31_27
; %bb.26:                               ;   in Loop: Header=BB31_3 Depth=1
	s_delay_alu instid0(VALU_DEP_1) | instskip(SKIP_3) | instid1(VALU_DEP_1)
	v_rcp_iflag_f32_e32 v2, v31
	s_sub_i32 s64, 0, s46
	s_waitcnt_depctr 0xfff
	v_mul_f32_e32 v2, 0x4f7ffffe, v2
	v_cvt_u32_f32_e32 v2, v2
	s_delay_alu instid0(VALU_DEP_1) | instskip(NEXT) | instid1(VALU_DEP_1)
	v_mul_lo_u32 v13, s64, v2
	v_mul_hi_u32 v13, v2, v13
	s_delay_alu instid0(VALU_DEP_1) | instskip(NEXT) | instid1(VALU_DEP_1)
	v_add_nc_u32_e32 v2, v2, v13
	v_mul_hi_u32 v2, v16, v2
	s_delay_alu instid0(VALU_DEP_1) | instskip(SKIP_1) | instid1(VALU_DEP_2)
	v_mul_lo_u32 v13, v2, s46
	v_add_nc_u32_e32 v14, 1, v2
	v_sub_nc_u32_e32 v13, v16, v13
	s_delay_alu instid0(VALU_DEP_1) | instskip(SKIP_1) | instid1(VALU_DEP_2)
	v_subrev_nc_u32_e32 v15, s46, v13
	v_cmp_le_u32_e32 vcc_lo, s46, v13
	v_dual_cndmask_b32 v13, v13, v15 :: v_dual_cndmask_b32 v2, v2, v14
	s_delay_alu instid0(VALU_DEP_1) | instskip(NEXT) | instid1(VALU_DEP_2)
	v_cmp_le_u32_e32 vcc_lo, s46, v13
	v_add_nc_u32_e32 v14, 1, v2
	s_delay_alu instid0(VALU_DEP_1)
	v_dual_cndmask_b32 v13, v2, v14 :: v_dual_mov_b32 v14, v1
.LBB31_27:                              ;   in Loop: Header=BB31_3 Depth=1
	s_or_b32 exec_lo, exec_lo, s0
	v_or_b32_e32 v2, s47, v21
                                        ; implicit-def: $vgpr15_vgpr16
	s_mov_b32 s0, exec_lo
	s_delay_alu instid0(VALU_DEP_1)
	v_cmpx_ne_u64_e32 0, v[1:2]
	s_xor_b32 s83, exec_lo, s0
	s_cbranch_execz .LBB31_29
; %bb.28:                               ;   in Loop: Header=BB31_3 Depth=1
	s_ashr_i32 s64, s47, 31
	s_delay_alu instid0(SALU_CYCLE_1) | instskip(SKIP_2) | instid1(SALU_CYCLE_1)
	s_add_u32 s66, s46, s64
	s_mov_b32 s65, s64
	s_addc_u32 s67, s47, s64
	s_xor_b64 s[66:67], s[66:67], s[64:65]
	s_delay_alu instid0(SALU_CYCLE_1) | instskip(SKIP_3) | instid1(VALU_DEP_1)
	v_cvt_f32_u32_e32 v2, s66
	v_cvt_f32_u32_e32 v15, s67
	s_sub_u32 s0, 0, s66
	s_subb_u32 s65, 0, s67
	v_fmac_f32_e32 v2, 0x4f800000, v15
	s_delay_alu instid0(VALU_DEP_1) | instskip(SKIP_2) | instid1(VALU_DEP_1)
	v_rcp_f32_e32 v2, v2
	s_waitcnt_depctr 0xfff
	v_mul_f32_e32 v2, 0x5f7ffffc, v2
	v_mul_f32_e32 v15, 0x2f800000, v2
	s_delay_alu instid0(VALU_DEP_1) | instskip(NEXT) | instid1(VALU_DEP_1)
	v_trunc_f32_e32 v15, v15
	v_fmac_f32_e32 v2, 0xcf800000, v15
	v_cvt_u32_f32_e32 v15, v15
	s_delay_alu instid0(VALU_DEP_2) | instskip(NEXT) | instid1(VALU_DEP_2)
	v_cvt_u32_f32_e32 v2, v2
	v_mul_lo_u32 v16, s0, v15
	s_delay_alu instid0(VALU_DEP_2) | instskip(SKIP_1) | instid1(VALU_DEP_2)
	v_mul_hi_u32 v18, s0, v2
	v_mul_lo_u32 v32, s65, v2
	v_add_nc_u32_e32 v16, v18, v16
	v_mul_lo_u32 v18, s0, v2
	s_delay_alu instid0(VALU_DEP_2) | instskip(NEXT) | instid1(VALU_DEP_2)
	v_add_nc_u32_e32 v16, v16, v32
	v_mul_hi_u32 v32, v2, v18
	s_delay_alu instid0(VALU_DEP_2)
	v_mul_lo_u32 v33, v2, v16
	v_mul_hi_u32 v34, v2, v16
	v_mul_hi_u32 v35, v15, v18
	v_mul_lo_u32 v18, v15, v18
	v_mul_hi_u32 v36, v15, v16
	v_mul_lo_u32 v16, v15, v16
	v_add_co_u32 v32, vcc_lo, v32, v33
	v_add_co_ci_u32_e32 v33, vcc_lo, 0, v34, vcc_lo
	s_delay_alu instid0(VALU_DEP_2) | instskip(NEXT) | instid1(VALU_DEP_2)
	v_add_co_u32 v18, vcc_lo, v32, v18
	v_add_co_ci_u32_e32 v18, vcc_lo, v33, v35, vcc_lo
	v_add_co_ci_u32_e32 v32, vcc_lo, 0, v36, vcc_lo
	s_delay_alu instid0(VALU_DEP_2) | instskip(NEXT) | instid1(VALU_DEP_2)
	v_add_co_u32 v16, vcc_lo, v18, v16
	v_add_co_ci_u32_e32 v18, vcc_lo, 0, v32, vcc_lo
	s_delay_alu instid0(VALU_DEP_2) | instskip(NEXT) | instid1(VALU_DEP_2)
	v_add_co_u32 v2, vcc_lo, v2, v16
	v_add_co_ci_u32_e32 v15, vcc_lo, v15, v18, vcc_lo
	s_delay_alu instid0(VALU_DEP_2) | instskip(SKIP_1) | instid1(VALU_DEP_3)
	v_mul_hi_u32 v16, s0, v2
	v_mul_lo_u32 v32, s65, v2
	v_mul_lo_u32 v18, s0, v15
	s_delay_alu instid0(VALU_DEP_1) | instskip(SKIP_1) | instid1(VALU_DEP_2)
	v_add_nc_u32_e32 v16, v16, v18
	v_mul_lo_u32 v18, s0, v2
	v_add_nc_u32_e32 v16, v16, v32
	s_delay_alu instid0(VALU_DEP_2) | instskip(NEXT) | instid1(VALU_DEP_2)
	v_mul_hi_u32 v32, v2, v18
	v_mul_lo_u32 v33, v2, v16
	v_mul_hi_u32 v34, v2, v16
	v_mul_hi_u32 v35, v15, v18
	v_mul_lo_u32 v18, v15, v18
	v_mul_hi_u32 v36, v15, v16
	v_mul_lo_u32 v16, v15, v16
	v_add_co_u32 v32, vcc_lo, v32, v33
	v_add_co_ci_u32_e32 v33, vcc_lo, 0, v34, vcc_lo
	s_delay_alu instid0(VALU_DEP_2) | instskip(NEXT) | instid1(VALU_DEP_2)
	v_add_co_u32 v18, vcc_lo, v32, v18
	v_add_co_ci_u32_e32 v18, vcc_lo, v33, v35, vcc_lo
	v_add_co_ci_u32_e32 v32, vcc_lo, 0, v36, vcc_lo
	v_add_co_u32 v19, vcc_lo, v19, v17
	v_add_co_ci_u32_e32 v21, vcc_lo, v21, v17, vcc_lo
	s_delay_alu instid0(VALU_DEP_4) | instskip(NEXT) | instid1(VALU_DEP_4)
	v_add_co_u32 v16, vcc_lo, v18, v16
	v_add_co_ci_u32_e32 v18, vcc_lo, 0, v32, vcc_lo
	s_delay_alu instid0(VALU_DEP_4) | instskip(NEXT) | instid1(VALU_DEP_3)
	v_xor_b32_e32 v34, v19, v17
	v_add_co_u32 v2, vcc_lo, v2, v16
	s_delay_alu instid0(VALU_DEP_3) | instskip(SKIP_1) | instid1(VALU_DEP_3)
	v_add_co_ci_u32_e32 v35, vcc_lo, v15, v18, vcc_lo
	v_xor_b32_e32 v21, v21, v17
	v_mul_hi_u32 v36, v34, v2
	v_xor_b32_e32 v17, s64, v17
	s_delay_alu instid0(VALU_DEP_4) | instskip(NEXT) | instid1(VALU_DEP_4)
	v_mad_u64_u32 v[15:16], null, v34, v35, 0
	v_mad_u64_u32 v[18:19], null, v21, v2, 0
	;; [unrolled: 1-line block ×3, first 2 shown]
	s_delay_alu instid0(VALU_DEP_3) | instskip(NEXT) | instid1(VALU_DEP_4)
	v_add_co_u32 v2, vcc_lo, v36, v15
	v_add_co_ci_u32_e32 v15, vcc_lo, 0, v16, vcc_lo
	s_delay_alu instid0(VALU_DEP_2) | instskip(NEXT) | instid1(VALU_DEP_2)
	v_add_co_u32 v2, vcc_lo, v2, v18
	v_add_co_ci_u32_e32 v2, vcc_lo, v15, v19, vcc_lo
	v_add_co_ci_u32_e32 v15, vcc_lo, 0, v33, vcc_lo
	s_delay_alu instid0(VALU_DEP_2) | instskip(NEXT) | instid1(VALU_DEP_2)
	v_add_co_u32 v2, vcc_lo, v2, v32
	v_add_co_ci_u32_e32 v18, vcc_lo, 0, v15, vcc_lo
	s_delay_alu instid0(VALU_DEP_2) | instskip(SKIP_1) | instid1(VALU_DEP_3)
	v_mul_lo_u32 v19, s67, v2
	v_mad_u64_u32 v[15:16], null, s66, v2, 0
	v_mul_lo_u32 v32, s66, v18
	s_delay_alu instid0(VALU_DEP_2) | instskip(NEXT) | instid1(VALU_DEP_2)
	v_sub_co_u32 v15, vcc_lo, v34, v15
	v_add3_u32 v16, v16, v32, v19
	s_delay_alu instid0(VALU_DEP_1) | instskip(NEXT) | instid1(VALU_DEP_1)
	v_sub_nc_u32_e32 v19, v21, v16
	v_subrev_co_ci_u32_e64 v19, s0, s67, v19, vcc_lo
	v_add_co_u32 v32, s0, v2, 2
	s_delay_alu instid0(VALU_DEP_1) | instskip(SKIP_3) | instid1(VALU_DEP_3)
	v_add_co_ci_u32_e64 v33, s0, 0, v18, s0
	v_sub_co_u32 v34, s0, v15, s66
	v_sub_co_ci_u32_e32 v16, vcc_lo, v21, v16, vcc_lo
	v_subrev_co_ci_u32_e64 v19, s0, 0, v19, s0
	v_cmp_le_u32_e32 vcc_lo, s66, v34
	s_delay_alu instid0(VALU_DEP_3) | instskip(SKIP_1) | instid1(VALU_DEP_4)
	v_cmp_eq_u32_e64 s0, s67, v16
	v_cndmask_b32_e64 v21, 0, -1, vcc_lo
	v_cmp_le_u32_e32 vcc_lo, s67, v19
	v_cndmask_b32_e64 v34, 0, -1, vcc_lo
	v_cmp_le_u32_e32 vcc_lo, s66, v15
	;; [unrolled: 2-line block ×3, first 2 shown]
	v_cndmask_b32_e64 v35, 0, -1, vcc_lo
	v_cmp_eq_u32_e32 vcc_lo, s67, v19
	s_delay_alu instid0(VALU_DEP_2) | instskip(SKIP_3) | instid1(VALU_DEP_3)
	v_cndmask_b32_e64 v15, v35, v15, s0
	v_cndmask_b32_e32 v19, v34, v21, vcc_lo
	v_add_co_u32 v21, vcc_lo, v2, 1
	v_add_co_ci_u32_e32 v34, vcc_lo, 0, v18, vcc_lo
	v_cmp_ne_u32_e32 vcc_lo, 0, v19
	s_delay_alu instid0(VALU_DEP_2) | instskip(SKIP_1) | instid1(VALU_DEP_2)
	v_dual_cndmask_b32 v16, v34, v33 :: v_dual_cndmask_b32 v19, v21, v32
	v_cmp_ne_u32_e32 vcc_lo, 0, v15
	v_cndmask_b32_e32 v15, v18, v16, vcc_lo
	s_delay_alu instid0(VALU_DEP_3) | instskip(NEXT) | instid1(VALU_DEP_2)
	v_cndmask_b32_e32 v2, v2, v19, vcc_lo
                                        ; implicit-def: $vgpr19
	v_xor_b32_e32 v16, v15, v17
	s_delay_alu instid0(VALU_DEP_2) | instskip(NEXT) | instid1(VALU_DEP_1)
	v_xor_b32_e32 v2, v2, v17
	v_sub_co_u32 v15, vcc_lo, v2, v17
	s_delay_alu instid0(VALU_DEP_3)
	v_sub_co_ci_u32_e32 v16, vcc_lo, v16, v17, vcc_lo
.LBB31_29:                              ;   in Loop: Header=BB31_3 Depth=1
	s_and_not1_saveexec_b32 s0, s83
	s_cbranch_execz .LBB31_31
; %bb.30:                               ;   in Loop: Header=BB31_3 Depth=1
	v_rcp_iflag_f32_e32 v2, v31
	s_sub_i32 s64, 0, s46
	s_waitcnt_depctr 0xfff
	v_mul_f32_e32 v2, 0x4f7ffffe, v2
	s_delay_alu instid0(VALU_DEP_1) | instskip(NEXT) | instid1(VALU_DEP_1)
	v_cvt_u32_f32_e32 v2, v2
	v_mul_lo_u32 v15, s64, v2
	s_delay_alu instid0(VALU_DEP_1) | instskip(NEXT) | instid1(VALU_DEP_1)
	v_mul_hi_u32 v15, v2, v15
	v_add_nc_u32_e32 v2, v2, v15
	s_delay_alu instid0(VALU_DEP_1) | instskip(NEXT) | instid1(VALU_DEP_1)
	v_mul_hi_u32 v2, v19, v2
	v_mul_lo_u32 v15, v2, s46
	v_add_nc_u32_e32 v16, 1, v2
	s_delay_alu instid0(VALU_DEP_2) | instskip(NEXT) | instid1(VALU_DEP_1)
	v_sub_nc_u32_e32 v15, v19, v15
	v_subrev_nc_u32_e32 v17, s46, v15
	v_cmp_le_u32_e32 vcc_lo, s46, v15
	s_delay_alu instid0(VALU_DEP_2) | instskip(NEXT) | instid1(VALU_DEP_1)
	v_dual_cndmask_b32 v15, v15, v17 :: v_dual_cndmask_b32 v2, v2, v16
	v_cmp_le_u32_e32 vcc_lo, s46, v15
	s_delay_alu instid0(VALU_DEP_2) | instskip(NEXT) | instid1(VALU_DEP_1)
	v_add_nc_u32_e32 v16, 1, v2
	v_dual_cndmask_b32 v15, v2, v16 :: v_dual_mov_b32 v16, v1
.LBB31_31:                              ;   in Loop: Header=BB31_3 Depth=1
	s_or_b32 exec_lo, exec_lo, s0
	v_or_b32_e32 v2, s47, v24
                                        ; implicit-def: $vgpr17_vgpr18
	s_mov_b32 s0, exec_lo
	s_delay_alu instid0(VALU_DEP_1)
	v_cmpx_ne_u64_e32 0, v[1:2]
	s_xor_b32 s83, exec_lo, s0
	s_cbranch_execz .LBB31_33
; %bb.32:                               ;   in Loop: Header=BB31_3 Depth=1
	s_ashr_i32 s64, s47, 31
	s_delay_alu instid0(SALU_CYCLE_1) | instskip(SKIP_2) | instid1(SALU_CYCLE_1)
	s_add_u32 s66, s46, s64
	s_mov_b32 s65, s64
	s_addc_u32 s67, s47, s64
	s_xor_b64 s[66:67], s[66:67], s[64:65]
	s_delay_alu instid0(SALU_CYCLE_1) | instskip(SKIP_3) | instid1(VALU_DEP_1)
	v_cvt_f32_u32_e32 v2, s66
	v_cvt_f32_u32_e32 v17, s67
	s_sub_u32 s0, 0, s66
	s_subb_u32 s65, 0, s67
	v_fmac_f32_e32 v2, 0x4f800000, v17
	s_delay_alu instid0(VALU_DEP_1) | instskip(SKIP_2) | instid1(VALU_DEP_1)
	v_rcp_f32_e32 v2, v2
	s_waitcnt_depctr 0xfff
	v_mul_f32_e32 v2, 0x5f7ffffc, v2
	v_mul_f32_e32 v17, 0x2f800000, v2
	s_delay_alu instid0(VALU_DEP_1) | instskip(NEXT) | instid1(VALU_DEP_1)
	v_trunc_f32_e32 v17, v17
	v_fmac_f32_e32 v2, 0xcf800000, v17
	v_cvt_u32_f32_e32 v17, v17
	s_delay_alu instid0(VALU_DEP_2) | instskip(NEXT) | instid1(VALU_DEP_2)
	v_cvt_u32_f32_e32 v2, v2
	v_mul_lo_u32 v18, s0, v17
	s_delay_alu instid0(VALU_DEP_2) | instskip(SKIP_1) | instid1(VALU_DEP_2)
	v_mul_hi_u32 v19, s0, v2
	v_mul_lo_u32 v21, s65, v2
	v_add_nc_u32_e32 v18, v19, v18
	v_mul_lo_u32 v19, s0, v2
	s_delay_alu instid0(VALU_DEP_2) | instskip(NEXT) | instid1(VALU_DEP_2)
	v_add_nc_u32_e32 v18, v18, v21
	v_mul_hi_u32 v21, v2, v19
	s_delay_alu instid0(VALU_DEP_2)
	v_mul_lo_u32 v32, v2, v18
	v_mul_hi_u32 v33, v2, v18
	v_mul_hi_u32 v34, v17, v19
	v_mul_lo_u32 v19, v17, v19
	v_mul_hi_u32 v35, v17, v18
	v_mul_lo_u32 v18, v17, v18
	v_add_co_u32 v21, vcc_lo, v21, v32
	v_add_co_ci_u32_e32 v32, vcc_lo, 0, v33, vcc_lo
	s_delay_alu instid0(VALU_DEP_2) | instskip(NEXT) | instid1(VALU_DEP_2)
	v_add_co_u32 v19, vcc_lo, v21, v19
	v_add_co_ci_u32_e32 v19, vcc_lo, v32, v34, vcc_lo
	v_add_co_ci_u32_e32 v21, vcc_lo, 0, v35, vcc_lo
	s_delay_alu instid0(VALU_DEP_2) | instskip(NEXT) | instid1(VALU_DEP_2)
	v_add_co_u32 v18, vcc_lo, v19, v18
	v_add_co_ci_u32_e32 v19, vcc_lo, 0, v21, vcc_lo
	s_delay_alu instid0(VALU_DEP_2) | instskip(NEXT) | instid1(VALU_DEP_2)
	v_add_co_u32 v2, vcc_lo, v2, v18
	v_add_co_ci_u32_e32 v17, vcc_lo, v17, v19, vcc_lo
	s_delay_alu instid0(VALU_DEP_2) | instskip(SKIP_1) | instid1(VALU_DEP_3)
	v_mul_hi_u32 v18, s0, v2
	v_mul_lo_u32 v21, s65, v2
	v_mul_lo_u32 v19, s0, v17
	s_delay_alu instid0(VALU_DEP_1) | instskip(SKIP_1) | instid1(VALU_DEP_2)
	v_add_nc_u32_e32 v18, v18, v19
	v_mul_lo_u32 v19, s0, v2
	v_add_nc_u32_e32 v18, v18, v21
	s_delay_alu instid0(VALU_DEP_2) | instskip(NEXT) | instid1(VALU_DEP_2)
	v_mul_hi_u32 v21, v2, v19
	v_mul_lo_u32 v32, v2, v18
	v_mul_hi_u32 v33, v2, v18
	v_mul_hi_u32 v34, v17, v19
	v_mul_lo_u32 v19, v17, v19
	v_mul_hi_u32 v35, v17, v18
	v_mul_lo_u32 v18, v17, v18
	v_add_co_u32 v21, vcc_lo, v21, v32
	v_add_co_ci_u32_e32 v32, vcc_lo, 0, v33, vcc_lo
	s_delay_alu instid0(VALU_DEP_2) | instskip(NEXT) | instid1(VALU_DEP_2)
	v_add_co_u32 v19, vcc_lo, v21, v19
	v_add_co_ci_u32_e32 v19, vcc_lo, v32, v34, vcc_lo
	v_add_co_ci_u32_e32 v21, vcc_lo, 0, v35, vcc_lo
	v_add_co_u32 v23, vcc_lo, v23, v20
	v_add_co_ci_u32_e32 v24, vcc_lo, v24, v20, vcc_lo
	s_delay_alu instid0(VALU_DEP_4) | instskip(NEXT) | instid1(VALU_DEP_4)
	v_add_co_u32 v18, vcc_lo, v19, v18
	v_add_co_ci_u32_e32 v19, vcc_lo, 0, v21, vcc_lo
	s_delay_alu instid0(VALU_DEP_4) | instskip(NEXT) | instid1(VALU_DEP_3)
	v_xor_b32_e32 v21, v23, v20
	v_add_co_u32 v2, vcc_lo, v2, v18
	s_delay_alu instid0(VALU_DEP_3) | instskip(SKIP_1) | instid1(VALU_DEP_3)
	v_add_co_ci_u32_e32 v19, vcc_lo, v17, v19, vcc_lo
	v_xor_b32_e32 v34, v24, v20
	v_mul_hi_u32 v35, v21, v2
	v_xor_b32_e32 v20, s64, v20
	s_delay_alu instid0(VALU_DEP_4) | instskip(NEXT) | instid1(VALU_DEP_4)
	v_mad_u64_u32 v[17:18], null, v21, v19, 0
	v_mad_u64_u32 v[23:24], null, v34, v2, 0
	;; [unrolled: 1-line block ×3, first 2 shown]
	s_delay_alu instid0(VALU_DEP_3) | instskip(NEXT) | instid1(VALU_DEP_4)
	v_add_co_u32 v2, vcc_lo, v35, v17
	v_add_co_ci_u32_e32 v17, vcc_lo, 0, v18, vcc_lo
	s_delay_alu instid0(VALU_DEP_2) | instskip(NEXT) | instid1(VALU_DEP_2)
	v_add_co_u32 v2, vcc_lo, v2, v23
	v_add_co_ci_u32_e32 v2, vcc_lo, v17, v24, vcc_lo
	v_add_co_ci_u32_e32 v17, vcc_lo, 0, v33, vcc_lo
	s_delay_alu instid0(VALU_DEP_2) | instskip(NEXT) | instid1(VALU_DEP_2)
	v_add_co_u32 v2, vcc_lo, v2, v32
	v_add_co_ci_u32_e32 v19, vcc_lo, 0, v17, vcc_lo
	s_delay_alu instid0(VALU_DEP_2) | instskip(SKIP_1) | instid1(VALU_DEP_3)
	v_mul_lo_u32 v23, s67, v2
	v_mad_u64_u32 v[17:18], null, s66, v2, 0
	v_mul_lo_u32 v24, s66, v19
	s_delay_alu instid0(VALU_DEP_2) | instskip(NEXT) | instid1(VALU_DEP_2)
	v_sub_co_u32 v17, vcc_lo, v21, v17
	v_add3_u32 v18, v18, v24, v23
	s_delay_alu instid0(VALU_DEP_1) | instskip(NEXT) | instid1(VALU_DEP_1)
	v_sub_nc_u32_e32 v23, v34, v18
	v_subrev_co_ci_u32_e64 v21, s0, s67, v23, vcc_lo
	v_add_co_u32 v23, s0, v2, 2
	s_delay_alu instid0(VALU_DEP_1) | instskip(SKIP_3) | instid1(VALU_DEP_3)
	v_add_co_ci_u32_e64 v24, s0, 0, v19, s0
	v_sub_co_u32 v32, s0, v17, s66
	v_sub_co_ci_u32_e32 v18, vcc_lo, v34, v18, vcc_lo
	v_subrev_co_ci_u32_e64 v21, s0, 0, v21, s0
	v_cmp_le_u32_e32 vcc_lo, s66, v32
	s_delay_alu instid0(VALU_DEP_3) | instskip(SKIP_1) | instid1(VALU_DEP_4)
	v_cmp_eq_u32_e64 s0, s67, v18
	v_cndmask_b32_e64 v32, 0, -1, vcc_lo
	v_cmp_le_u32_e32 vcc_lo, s67, v21
	v_cndmask_b32_e64 v33, 0, -1, vcc_lo
	v_cmp_le_u32_e32 vcc_lo, s66, v17
	;; [unrolled: 2-line block ×3, first 2 shown]
	v_cndmask_b32_e64 v34, 0, -1, vcc_lo
	v_cmp_eq_u32_e32 vcc_lo, s67, v21
	s_delay_alu instid0(VALU_DEP_2) | instskip(SKIP_3) | instid1(VALU_DEP_3)
	v_cndmask_b32_e64 v17, v34, v17, s0
	v_cndmask_b32_e32 v21, v33, v32, vcc_lo
	v_add_co_u32 v32, vcc_lo, v2, 1
	v_add_co_ci_u32_e32 v33, vcc_lo, 0, v19, vcc_lo
	v_cmp_ne_u32_e32 vcc_lo, 0, v21
	s_delay_alu instid0(VALU_DEP_2) | instskip(SKIP_1) | instid1(VALU_DEP_2)
	v_dual_cndmask_b32 v18, v33, v24 :: v_dual_cndmask_b32 v21, v32, v23
	v_cmp_ne_u32_e32 vcc_lo, 0, v17
                                        ; implicit-def: $vgpr23
	v_dual_cndmask_b32 v17, v19, v18 :: v_dual_cndmask_b32 v2, v2, v21
	s_delay_alu instid0(VALU_DEP_1) | instskip(NEXT) | instid1(VALU_DEP_2)
	v_xor_b32_e32 v18, v17, v20
	v_xor_b32_e32 v2, v2, v20
	s_delay_alu instid0(VALU_DEP_1) | instskip(NEXT) | instid1(VALU_DEP_3)
	v_sub_co_u32 v17, vcc_lo, v2, v20
	v_sub_co_ci_u32_e32 v18, vcc_lo, v18, v20, vcc_lo
.LBB31_33:                              ;   in Loop: Header=BB31_3 Depth=1
	s_and_not1_saveexec_b32 s0, s83
	s_cbranch_execz .LBB31_35
; %bb.34:                               ;   in Loop: Header=BB31_3 Depth=1
	v_rcp_iflag_f32_e32 v2, v31
	s_sub_i32 s64, 0, s46
	s_waitcnt_depctr 0xfff
	v_mul_f32_e32 v2, 0x4f7ffffe, v2
	s_delay_alu instid0(VALU_DEP_1) | instskip(NEXT) | instid1(VALU_DEP_1)
	v_cvt_u32_f32_e32 v2, v2
	v_mul_lo_u32 v17, s64, v2
	s_delay_alu instid0(VALU_DEP_1) | instskip(NEXT) | instid1(VALU_DEP_1)
	v_mul_hi_u32 v17, v2, v17
	v_add_nc_u32_e32 v2, v2, v17
	s_delay_alu instid0(VALU_DEP_1) | instskip(NEXT) | instid1(VALU_DEP_1)
	v_mul_hi_u32 v2, v23, v2
	v_mul_lo_u32 v17, v2, s46
	v_add_nc_u32_e32 v18, 1, v2
	s_delay_alu instid0(VALU_DEP_2) | instskip(NEXT) | instid1(VALU_DEP_1)
	v_sub_nc_u32_e32 v17, v23, v17
	v_subrev_nc_u32_e32 v19, s46, v17
	v_cmp_le_u32_e32 vcc_lo, s46, v17
	s_delay_alu instid0(VALU_DEP_2) | instskip(NEXT) | instid1(VALU_DEP_1)
	v_dual_cndmask_b32 v17, v17, v19 :: v_dual_cndmask_b32 v2, v2, v18
	v_cmp_le_u32_e32 vcc_lo, s46, v17
	s_delay_alu instid0(VALU_DEP_2) | instskip(NEXT) | instid1(VALU_DEP_1)
	v_add_nc_u32_e32 v18, 1, v2
	v_dual_cndmask_b32 v17, v2, v18 :: v_dual_mov_b32 v18, v1
.LBB31_35:                              ;   in Loop: Header=BB31_3 Depth=1
	s_or_b32 exec_lo, exec_lo, s0
	v_or_b32_e32 v2, s47, v30
                                        ; implicit-def: $vgpr19_vgpr20
	s_mov_b32 s0, exec_lo
	s_delay_alu instid0(VALU_DEP_1)
	v_cmpx_ne_u64_e32 0, v[1:2]
	s_xor_b32 s83, exec_lo, s0
	s_cbranch_execz .LBB31_37
; %bb.36:                               ;   in Loop: Header=BB31_3 Depth=1
	s_ashr_i32 s64, s47, 31
	s_delay_alu instid0(SALU_CYCLE_1) | instskip(SKIP_2) | instid1(SALU_CYCLE_1)
	s_add_u32 s66, s46, s64
	s_mov_b32 s65, s64
	s_addc_u32 s67, s47, s64
	s_xor_b64 s[66:67], s[66:67], s[64:65]
	s_delay_alu instid0(SALU_CYCLE_1) | instskip(SKIP_3) | instid1(VALU_DEP_1)
	v_cvt_f32_u32_e32 v2, s66
	v_cvt_f32_u32_e32 v19, s67
	s_sub_u32 s0, 0, s66
	s_subb_u32 s65, 0, s67
	v_fmac_f32_e32 v2, 0x4f800000, v19
	s_delay_alu instid0(VALU_DEP_1) | instskip(SKIP_2) | instid1(VALU_DEP_1)
	v_rcp_f32_e32 v2, v2
	s_waitcnt_depctr 0xfff
	v_mul_f32_e32 v2, 0x5f7ffffc, v2
	v_mul_f32_e32 v19, 0x2f800000, v2
	s_delay_alu instid0(VALU_DEP_1) | instskip(NEXT) | instid1(VALU_DEP_1)
	v_trunc_f32_e32 v19, v19
	v_fmac_f32_e32 v2, 0xcf800000, v19
	v_cvt_u32_f32_e32 v19, v19
	s_delay_alu instid0(VALU_DEP_2) | instskip(NEXT) | instid1(VALU_DEP_2)
	v_cvt_u32_f32_e32 v2, v2
	v_mul_lo_u32 v20, s0, v19
	s_delay_alu instid0(VALU_DEP_2) | instskip(SKIP_1) | instid1(VALU_DEP_2)
	v_mul_hi_u32 v21, s0, v2
	v_mul_lo_u32 v23, s65, v2
	v_add_nc_u32_e32 v20, v21, v20
	v_mul_lo_u32 v21, s0, v2
	s_delay_alu instid0(VALU_DEP_2) | instskip(NEXT) | instid1(VALU_DEP_2)
	v_add_nc_u32_e32 v20, v20, v23
	v_mul_hi_u32 v23, v2, v21
	s_delay_alu instid0(VALU_DEP_2)
	v_mul_lo_u32 v24, v2, v20
	v_mul_hi_u32 v31, v2, v20
	v_mul_hi_u32 v32, v19, v21
	v_mul_lo_u32 v21, v19, v21
	v_mul_hi_u32 v33, v19, v20
	v_mul_lo_u32 v20, v19, v20
	v_add_co_u32 v23, vcc_lo, v23, v24
	v_add_co_ci_u32_e32 v24, vcc_lo, 0, v31, vcc_lo
	s_delay_alu instid0(VALU_DEP_2) | instskip(NEXT) | instid1(VALU_DEP_2)
	v_add_co_u32 v21, vcc_lo, v23, v21
	v_add_co_ci_u32_e32 v21, vcc_lo, v24, v32, vcc_lo
	v_add_co_ci_u32_e32 v23, vcc_lo, 0, v33, vcc_lo
	s_delay_alu instid0(VALU_DEP_2) | instskip(NEXT) | instid1(VALU_DEP_2)
	v_add_co_u32 v20, vcc_lo, v21, v20
	v_add_co_ci_u32_e32 v21, vcc_lo, 0, v23, vcc_lo
	s_delay_alu instid0(VALU_DEP_2) | instskip(NEXT) | instid1(VALU_DEP_2)
	v_add_co_u32 v2, vcc_lo, v2, v20
	v_add_co_ci_u32_e32 v19, vcc_lo, v19, v21, vcc_lo
	s_delay_alu instid0(VALU_DEP_2) | instskip(SKIP_1) | instid1(VALU_DEP_3)
	v_mul_hi_u32 v20, s0, v2
	v_mul_lo_u32 v23, s65, v2
	v_mul_lo_u32 v21, s0, v19
	s_delay_alu instid0(VALU_DEP_1) | instskip(SKIP_1) | instid1(VALU_DEP_2)
	v_add_nc_u32_e32 v20, v20, v21
	v_mul_lo_u32 v21, s0, v2
	v_add_nc_u32_e32 v20, v20, v23
	s_delay_alu instid0(VALU_DEP_2) | instskip(NEXT) | instid1(VALU_DEP_2)
	v_mul_hi_u32 v23, v2, v21
	v_mul_lo_u32 v24, v2, v20
	v_mul_hi_u32 v31, v2, v20
	v_mul_hi_u32 v32, v19, v21
	v_mul_lo_u32 v21, v19, v21
	v_mul_hi_u32 v33, v19, v20
	v_mul_lo_u32 v20, v19, v20
	v_add_co_u32 v23, vcc_lo, v23, v24
	v_add_co_ci_u32_e32 v24, vcc_lo, 0, v31, vcc_lo
	s_delay_alu instid0(VALU_DEP_2) | instskip(NEXT) | instid1(VALU_DEP_2)
	v_add_co_u32 v21, vcc_lo, v23, v21
	v_add_co_ci_u32_e32 v21, vcc_lo, v24, v32, vcc_lo
	v_add_co_ci_u32_e32 v23, vcc_lo, 0, v33, vcc_lo
	v_add_co_u32 v24, vcc_lo, v29, v22
	v_add_co_ci_u32_e32 v29, vcc_lo, v30, v22, vcc_lo
	s_delay_alu instid0(VALU_DEP_4) | instskip(NEXT) | instid1(VALU_DEP_4)
	v_add_co_u32 v20, vcc_lo, v21, v20
	v_add_co_ci_u32_e32 v21, vcc_lo, 0, v23, vcc_lo
	s_delay_alu instid0(VALU_DEP_4) | instskip(NEXT) | instid1(VALU_DEP_3)
	v_xor_b32_e32 v31, v24, v22
	v_add_co_u32 v2, vcc_lo, v2, v20
	s_delay_alu instid0(VALU_DEP_3) | instskip(SKIP_1) | instid1(VALU_DEP_3)
	v_add_co_ci_u32_e32 v21, vcc_lo, v19, v21, vcc_lo
	v_xor_b32_e32 v32, v29, v22
	v_mul_hi_u32 v33, v31, v2
	v_xor_b32_e32 v22, s64, v22
	s_delay_alu instid0(VALU_DEP_4) | instskip(NEXT) | instid1(VALU_DEP_4)
	v_mad_u64_u32 v[19:20], null, v31, v21, 0
	v_mad_u64_u32 v[23:24], null, v32, v2, 0
	;; [unrolled: 1-line block ×3, first 2 shown]
	s_delay_alu instid0(VALU_DEP_3) | instskip(NEXT) | instid1(VALU_DEP_4)
	v_add_co_u32 v2, vcc_lo, v33, v19
	v_add_co_ci_u32_e32 v19, vcc_lo, 0, v20, vcc_lo
	s_delay_alu instid0(VALU_DEP_2) | instskip(NEXT) | instid1(VALU_DEP_2)
	v_add_co_u32 v2, vcc_lo, v2, v23
	v_add_co_ci_u32_e32 v2, vcc_lo, v19, v24, vcc_lo
	v_add_co_ci_u32_e32 v19, vcc_lo, 0, v30, vcc_lo
	s_delay_alu instid0(VALU_DEP_2) | instskip(NEXT) | instid1(VALU_DEP_2)
	v_add_co_u32 v2, vcc_lo, v2, v29
	v_add_co_ci_u32_e32 v21, vcc_lo, 0, v19, vcc_lo
	s_delay_alu instid0(VALU_DEP_2) | instskip(SKIP_1) | instid1(VALU_DEP_3)
	v_mul_lo_u32 v23, s67, v2
	v_mad_u64_u32 v[19:20], null, s66, v2, 0
	v_mul_lo_u32 v24, s66, v21
	s_delay_alu instid0(VALU_DEP_2) | instskip(NEXT) | instid1(VALU_DEP_2)
	v_sub_co_u32 v19, vcc_lo, v31, v19
	v_add3_u32 v20, v20, v24, v23
	s_delay_alu instid0(VALU_DEP_1) | instskip(NEXT) | instid1(VALU_DEP_1)
	v_sub_nc_u32_e32 v23, v32, v20
	v_subrev_co_ci_u32_e64 v23, s0, s67, v23, vcc_lo
	v_add_co_u32 v24, s0, v2, 2
	s_delay_alu instid0(VALU_DEP_1) | instskip(SKIP_3) | instid1(VALU_DEP_3)
	v_add_co_ci_u32_e64 v29, s0, 0, v21, s0
	v_sub_co_u32 v30, s0, v19, s66
	v_sub_co_ci_u32_e32 v20, vcc_lo, v32, v20, vcc_lo
	v_subrev_co_ci_u32_e64 v23, s0, 0, v23, s0
	v_cmp_le_u32_e32 vcc_lo, s66, v30
	s_delay_alu instid0(VALU_DEP_3) | instskip(SKIP_1) | instid1(VALU_DEP_4)
	v_cmp_eq_u32_e64 s0, s67, v20
	v_cndmask_b32_e64 v30, 0, -1, vcc_lo
	v_cmp_le_u32_e32 vcc_lo, s67, v23
	v_cndmask_b32_e64 v31, 0, -1, vcc_lo
	v_cmp_le_u32_e32 vcc_lo, s66, v19
	;; [unrolled: 2-line block ×3, first 2 shown]
	v_cndmask_b32_e64 v32, 0, -1, vcc_lo
	v_cmp_eq_u32_e32 vcc_lo, s67, v23
	s_delay_alu instid0(VALU_DEP_2) | instskip(SKIP_3) | instid1(VALU_DEP_3)
	v_cndmask_b32_e64 v19, v32, v19, s0
	v_cndmask_b32_e32 v23, v31, v30, vcc_lo
	v_add_co_u32 v30, vcc_lo, v2, 1
	v_add_co_ci_u32_e32 v31, vcc_lo, 0, v21, vcc_lo
	v_cmp_ne_u32_e32 vcc_lo, 0, v23
	s_delay_alu instid0(VALU_DEP_2) | instskip(SKIP_1) | instid1(VALU_DEP_2)
	v_dual_cndmask_b32 v20, v31, v29 :: v_dual_cndmask_b32 v23, v30, v24
	v_cmp_ne_u32_e32 vcc_lo, 0, v19
                                        ; implicit-def: $vgpr31
                                        ; implicit-def: $vgpr29
	v_dual_cndmask_b32 v19, v21, v20 :: v_dual_cndmask_b32 v2, v2, v23
	s_delay_alu instid0(VALU_DEP_1) | instskip(NEXT) | instid1(VALU_DEP_2)
	v_xor_b32_e32 v20, v19, v22
	v_xor_b32_e32 v2, v2, v22
	s_delay_alu instid0(VALU_DEP_1) | instskip(NEXT) | instid1(VALU_DEP_3)
	v_sub_co_u32 v19, vcc_lo, v2, v22
	v_sub_co_ci_u32_e32 v20, vcc_lo, v20, v22, vcc_lo
.LBB31_37:                              ;   in Loop: Header=BB31_3 Depth=1
	s_and_not1_saveexec_b32 s0, s83
	s_cbranch_execz .LBB31_39
; %bb.38:                               ;   in Loop: Header=BB31_3 Depth=1
	v_rcp_iflag_f32_e32 v2, v31
	s_sub_i32 s64, 0, s46
	s_waitcnt_depctr 0xfff
	v_mul_f32_e32 v2, 0x4f7ffffe, v2
	s_delay_alu instid0(VALU_DEP_1) | instskip(NEXT) | instid1(VALU_DEP_1)
	v_cvt_u32_f32_e32 v2, v2
	v_mul_lo_u32 v19, s64, v2
	s_delay_alu instid0(VALU_DEP_1) | instskip(NEXT) | instid1(VALU_DEP_1)
	v_mul_hi_u32 v19, v2, v19
	v_add_nc_u32_e32 v2, v2, v19
	s_delay_alu instid0(VALU_DEP_1) | instskip(NEXT) | instid1(VALU_DEP_1)
	v_mul_hi_u32 v2, v29, v2
	v_mul_lo_u32 v19, v2, s46
	v_add_nc_u32_e32 v20, 1, v2
	s_delay_alu instid0(VALU_DEP_2) | instskip(NEXT) | instid1(VALU_DEP_1)
	v_sub_nc_u32_e32 v19, v29, v19
	v_subrev_nc_u32_e32 v21, s46, v19
	v_cmp_le_u32_e32 vcc_lo, s46, v19
	s_delay_alu instid0(VALU_DEP_2) | instskip(NEXT) | instid1(VALU_DEP_1)
	v_dual_cndmask_b32 v19, v19, v21 :: v_dual_cndmask_b32 v2, v2, v20
	v_cmp_le_u32_e32 vcc_lo, s46, v19
	s_delay_alu instid0(VALU_DEP_2) | instskip(NEXT) | instid1(VALU_DEP_1)
	v_add_nc_u32_e32 v20, 1, v2
	v_dual_cndmask_b32 v19, v2, v20 :: v_dual_mov_b32 v20, v1
.LBB31_39:                              ;   in Loop: Header=BB31_3 Depth=1
	s_or_b32 exec_lo, exec_lo, s0
	v_or_b32_e32 v2, s51, v4
                                        ; implicit-def: $vgpr21_vgpr22
	s_mov_b32 s0, exec_lo
	s_delay_alu instid0(VALU_DEP_1)
	v_cmpx_ne_u64_e32 0, v[1:2]
	s_xor_b32 s83, exec_lo, s0
	s_cbranch_execz .LBB31_41
; %bb.40:                               ;   in Loop: Header=BB31_3 Depth=1
	s_ashr_i32 s64, s51, 31
	s_delay_alu instid0(SALU_CYCLE_1) | instskip(SKIP_2) | instid1(SALU_CYCLE_1)
	s_add_u32 s66, s50, s64
	s_mov_b32 s65, s64
	s_addc_u32 s67, s51, s64
	s_xor_b64 s[66:67], s[66:67], s[64:65]
	s_delay_alu instid0(SALU_CYCLE_1) | instskip(SKIP_3) | instid1(VALU_DEP_1)
	v_cvt_f32_u32_e32 v2, s66
	v_cvt_f32_u32_e32 v21, s67
	s_sub_u32 s0, 0, s66
	s_subb_u32 s65, 0, s67
	v_fmac_f32_e32 v2, 0x4f800000, v21
	s_delay_alu instid0(VALU_DEP_1) | instskip(SKIP_2) | instid1(VALU_DEP_1)
	v_rcp_f32_e32 v2, v2
	s_waitcnt_depctr 0xfff
	v_mul_f32_e32 v2, 0x5f7ffffc, v2
	v_mul_f32_e32 v21, 0x2f800000, v2
	s_delay_alu instid0(VALU_DEP_1) | instskip(NEXT) | instid1(VALU_DEP_1)
	v_trunc_f32_e32 v21, v21
	v_fmac_f32_e32 v2, 0xcf800000, v21
	v_cvt_u32_f32_e32 v21, v21
	s_delay_alu instid0(VALU_DEP_2) | instskip(NEXT) | instid1(VALU_DEP_2)
	v_cvt_u32_f32_e32 v2, v2
	v_mul_lo_u32 v22, s0, v21
	s_delay_alu instid0(VALU_DEP_2) | instskip(SKIP_1) | instid1(VALU_DEP_2)
	v_mul_hi_u32 v23, s0, v2
	v_mul_lo_u32 v24, s65, v2
	v_add_nc_u32_e32 v22, v23, v22
	v_mul_lo_u32 v23, s0, v2
	s_delay_alu instid0(VALU_DEP_2) | instskip(NEXT) | instid1(VALU_DEP_2)
	v_add_nc_u32_e32 v22, v22, v24
	v_mul_hi_u32 v24, v2, v23
	s_delay_alu instid0(VALU_DEP_2)
	v_mul_lo_u32 v29, v2, v22
	v_mul_hi_u32 v30, v2, v22
	v_mul_hi_u32 v31, v21, v23
	v_mul_lo_u32 v23, v21, v23
	v_mul_hi_u32 v32, v21, v22
	v_mul_lo_u32 v22, v21, v22
	v_add_co_u32 v24, vcc_lo, v24, v29
	v_add_co_ci_u32_e32 v29, vcc_lo, 0, v30, vcc_lo
	s_delay_alu instid0(VALU_DEP_2) | instskip(NEXT) | instid1(VALU_DEP_2)
	v_add_co_u32 v23, vcc_lo, v24, v23
	v_add_co_ci_u32_e32 v23, vcc_lo, v29, v31, vcc_lo
	v_add_co_ci_u32_e32 v24, vcc_lo, 0, v32, vcc_lo
	v_ashrrev_i32_e32 v31, 31, v4
	s_delay_alu instid0(VALU_DEP_3) | instskip(NEXT) | instid1(VALU_DEP_3)
	v_add_co_u32 v22, vcc_lo, v23, v22
	v_add_co_ci_u32_e32 v23, vcc_lo, 0, v24, vcc_lo
	s_delay_alu instid0(VALU_DEP_2) | instskip(NEXT) | instid1(VALU_DEP_2)
	v_add_co_u32 v2, vcc_lo, v2, v22
	v_add_co_ci_u32_e32 v21, vcc_lo, v21, v23, vcc_lo
	s_delay_alu instid0(VALU_DEP_2) | instskip(SKIP_1) | instid1(VALU_DEP_3)
	v_mul_hi_u32 v22, s0, v2
	v_mul_lo_u32 v24, s65, v2
	v_mul_lo_u32 v23, s0, v21
	s_delay_alu instid0(VALU_DEP_1) | instskip(SKIP_1) | instid1(VALU_DEP_2)
	v_add_nc_u32_e32 v22, v22, v23
	v_mul_lo_u32 v23, s0, v2
	v_add_nc_u32_e32 v22, v22, v24
	s_delay_alu instid0(VALU_DEP_2) | instskip(NEXT) | instid1(VALU_DEP_2)
	v_mul_hi_u32 v24, v2, v23
	v_mul_lo_u32 v29, v2, v22
	v_mul_hi_u32 v30, v2, v22
	v_mul_hi_u32 v32, v21, v23
	v_mul_lo_u32 v23, v21, v23
	v_mul_hi_u32 v33, v21, v22
	v_mul_lo_u32 v22, v21, v22
	v_add_co_u32 v24, vcc_lo, v24, v29
	v_add_co_ci_u32_e32 v29, vcc_lo, 0, v30, vcc_lo
	s_delay_alu instid0(VALU_DEP_2) | instskip(NEXT) | instid1(VALU_DEP_2)
	v_add_co_u32 v23, vcc_lo, v24, v23
	v_add_co_ci_u32_e32 v23, vcc_lo, v29, v32, vcc_lo
	v_add_co_ci_u32_e32 v24, vcc_lo, 0, v33, vcc_lo
	v_add_co_u32 v29, vcc_lo, v3, v31
	v_add_co_ci_u32_e32 v30, vcc_lo, v4, v31, vcc_lo
	s_delay_alu instid0(VALU_DEP_4) | instskip(NEXT) | instid1(VALU_DEP_4)
	v_add_co_u32 v22, vcc_lo, v23, v22
	v_add_co_ci_u32_e32 v23, vcc_lo, 0, v24, vcc_lo
	s_delay_alu instid0(VALU_DEP_4) | instskip(NEXT) | instid1(VALU_DEP_3)
	v_xor_b32_e32 v32, v29, v31
	v_add_co_u32 v2, vcc_lo, v2, v22
	s_delay_alu instid0(VALU_DEP_3) | instskip(SKIP_1) | instid1(VALU_DEP_3)
	v_add_co_ci_u32_e32 v33, vcc_lo, v21, v23, vcc_lo
	v_xor_b32_e32 v34, v30, v31
	v_mul_hi_u32 v35, v32, v2
	s_delay_alu instid0(VALU_DEP_3) | instskip(NEXT) | instid1(VALU_DEP_3)
	v_mad_u64_u32 v[21:22], null, v32, v33, 0
	v_mad_u64_u32 v[23:24], null, v34, v2, 0
	;; [unrolled: 1-line block ×3, first 2 shown]
	s_delay_alu instid0(VALU_DEP_3) | instskip(NEXT) | instid1(VALU_DEP_4)
	v_add_co_u32 v2, vcc_lo, v35, v21
	v_add_co_ci_u32_e32 v21, vcc_lo, 0, v22, vcc_lo
	s_delay_alu instid0(VALU_DEP_2) | instskip(NEXT) | instid1(VALU_DEP_2)
	v_add_co_u32 v2, vcc_lo, v2, v23
	v_add_co_ci_u32_e32 v2, vcc_lo, v21, v24, vcc_lo
	v_add_co_ci_u32_e32 v21, vcc_lo, 0, v30, vcc_lo
	s_delay_alu instid0(VALU_DEP_2) | instskip(NEXT) | instid1(VALU_DEP_2)
	v_add_co_u32 v2, vcc_lo, v2, v29
	v_add_co_ci_u32_e32 v23, vcc_lo, 0, v21, vcc_lo
	s_delay_alu instid0(VALU_DEP_2) | instskip(SKIP_1) | instid1(VALU_DEP_3)
	v_mul_lo_u32 v24, s67, v2
	v_mad_u64_u32 v[21:22], null, s66, v2, 0
	v_mul_lo_u32 v29, s66, v23
	s_delay_alu instid0(VALU_DEP_2) | instskip(NEXT) | instid1(VALU_DEP_2)
	v_sub_co_u32 v21, vcc_lo, v32, v21
	v_add3_u32 v22, v22, v29, v24
	s_delay_alu instid0(VALU_DEP_1) | instskip(NEXT) | instid1(VALU_DEP_1)
	v_sub_nc_u32_e32 v24, v34, v22
	v_subrev_co_ci_u32_e64 v24, s0, s67, v24, vcc_lo
	v_add_co_u32 v29, s0, v2, 2
	s_delay_alu instid0(VALU_DEP_1) | instskip(SKIP_3) | instid1(VALU_DEP_3)
	v_add_co_ci_u32_e64 v30, s0, 0, v23, s0
	v_sub_co_u32 v32, s0, v21, s66
	v_sub_co_ci_u32_e32 v22, vcc_lo, v34, v22, vcc_lo
	v_subrev_co_ci_u32_e64 v24, s0, 0, v24, s0
	v_cmp_le_u32_e32 vcc_lo, s66, v32
	s_delay_alu instid0(VALU_DEP_3) | instskip(SKIP_1) | instid1(VALU_DEP_4)
	v_cmp_eq_u32_e64 s0, s67, v22
	v_cndmask_b32_e64 v32, 0, -1, vcc_lo
	v_cmp_le_u32_e32 vcc_lo, s67, v24
	v_cndmask_b32_e64 v33, 0, -1, vcc_lo
	v_cmp_le_u32_e32 vcc_lo, s66, v21
	;; [unrolled: 2-line block ×3, first 2 shown]
	v_cndmask_b32_e64 v34, 0, -1, vcc_lo
	v_cmp_eq_u32_e32 vcc_lo, s67, v24
	s_delay_alu instid0(VALU_DEP_2) | instskip(SKIP_3) | instid1(VALU_DEP_3)
	v_cndmask_b32_e64 v21, v34, v21, s0
	v_cndmask_b32_e32 v24, v33, v32, vcc_lo
	v_add_co_u32 v32, vcc_lo, v2, 1
	v_add_co_ci_u32_e32 v33, vcc_lo, 0, v23, vcc_lo
	v_cmp_ne_u32_e32 vcc_lo, 0, v24
	s_delay_alu instid0(VALU_DEP_2) | instskip(NEXT) | instid1(VALU_DEP_4)
	v_cndmask_b32_e32 v22, v33, v30, vcc_lo
	v_cndmask_b32_e32 v24, v32, v29, vcc_lo
	v_cmp_ne_u32_e32 vcc_lo, 0, v21
	v_xor_b32_e32 v29, s64, v31
	s_delay_alu instid0(VALU_DEP_3) | instskip(NEXT) | instid1(VALU_DEP_1)
	v_dual_cndmask_b32 v2, v2, v24 :: v_dual_cndmask_b32 v21, v23, v22
	v_xor_b32_e32 v2, v2, v29
	s_delay_alu instid0(VALU_DEP_2) | instskip(NEXT) | instid1(VALU_DEP_2)
	v_xor_b32_e32 v22, v21, v29
	v_sub_co_u32 v21, vcc_lo, v2, v29
	s_delay_alu instid0(VALU_DEP_2)
	v_sub_co_ci_u32_e32 v22, vcc_lo, v22, v29, vcc_lo
.LBB31_41:                              ;   in Loop: Header=BB31_3 Depth=1
	s_and_not1_saveexec_b32 s0, s83
	s_cbranch_execz .LBB31_43
; %bb.42:                               ;   in Loop: Header=BB31_3 Depth=1
	v_cvt_f32_u32_e32 v2, s50
	s_sub_i32 s64, 0, s50
	s_delay_alu instid0(VALU_DEP_1) | instskip(SKIP_2) | instid1(VALU_DEP_1)
	v_rcp_iflag_f32_e32 v2, v2
	s_waitcnt_depctr 0xfff
	v_mul_f32_e32 v2, 0x4f7ffffe, v2
	v_cvt_u32_f32_e32 v2, v2
	s_delay_alu instid0(VALU_DEP_1) | instskip(NEXT) | instid1(VALU_DEP_1)
	v_mul_lo_u32 v21, s64, v2
	v_mul_hi_u32 v21, v2, v21
	s_delay_alu instid0(VALU_DEP_1) | instskip(NEXT) | instid1(VALU_DEP_1)
	v_add_nc_u32_e32 v2, v2, v21
	v_mul_hi_u32 v2, v3, v2
	s_delay_alu instid0(VALU_DEP_1) | instskip(SKIP_1) | instid1(VALU_DEP_2)
	v_mul_lo_u32 v21, v2, s50
	v_add_nc_u32_e32 v22, 1, v2
	v_sub_nc_u32_e32 v21, v3, v21
	s_delay_alu instid0(VALU_DEP_1) | instskip(SKIP_1) | instid1(VALU_DEP_2)
	v_subrev_nc_u32_e32 v23, s50, v21
	v_cmp_le_u32_e32 vcc_lo, s50, v21
	v_dual_cndmask_b32 v21, v21, v23 :: v_dual_cndmask_b32 v2, v2, v22
	s_delay_alu instid0(VALU_DEP_1) | instskip(NEXT) | instid1(VALU_DEP_2)
	v_cmp_le_u32_e32 vcc_lo, s50, v21
	v_add_nc_u32_e32 v22, 1, v2
	s_delay_alu instid0(VALU_DEP_1)
	v_dual_cndmask_b32 v21, v2, v22 :: v_dual_mov_b32 v22, v1
.LBB31_43:                              ;   in Loop: Header=BB31_3 Depth=1
	s_or_b32 exec_lo, exec_lo, s0
	s_delay_alu instid0(VALU_DEP_1) | instskip(NEXT) | instid1(VALU_DEP_2)
	v_mad_u64_u32 v[23:24], null, s72, v21, v[3:4]
	v_mul_lo_u32 v2, s72, v22
	v_mul_lo_u32 v29, s73, v21
	;; [unrolled: 1-line block ×4, first 2 shown]
	s_mov_b32 s0, exec_lo
	s_delay_alu instid0(VALU_DEP_3) | instskip(SKIP_3) | instid1(VALU_DEP_4)
	v_add3_u32 v2, v29, v24, v2
	v_mad_u64_u32 v[29:30], null, v21, s20, 0
	v_mul_lo_u32 v24, v23, s23
	v_mad_u64_u32 v[21:22], null, v23, s22, 0
	v_mul_lo_u32 v2, v2, s22
	s_delay_alu instid0(VALU_DEP_4) | instskip(NEXT) | instid1(VALU_DEP_2)
	v_add3_u32 v30, v30, v32, v31
	v_add3_u32 v22, v22, v24, v2
	s_delay_alu instid0(VALU_DEP_2) | instskip(NEXT) | instid1(VALU_DEP_2)
	v_lshlrev_b64 v[23:24], 1, v[29:30]
	v_lshlrev_b64 v[21:22], 1, v[21:22]
	s_delay_alu instid0(VALU_DEP_2) | instskip(NEXT) | instid1(VALU_DEP_3)
	v_add_co_u32 v2, vcc_lo, s48, v23
	v_add_co_ci_u32_e32 v23, vcc_lo, s49, v24, vcc_lo
	s_delay_alu instid0(VALU_DEP_2) | instskip(NEXT) | instid1(VALU_DEP_2)
	v_add_co_u32 v21, vcc_lo, v2, v21
	v_add_co_ci_u32_e32 v22, vcc_lo, v23, v22, vcc_lo
	v_or_b32_e32 v2, s55, v4
	global_load_u16 v29, v[21:22], off
                                        ; implicit-def: $vgpr21_vgpr22
	v_cmpx_ne_u64_e32 0, v[1:2]
	s_xor_b32 s83, exec_lo, s0
	s_cbranch_execz .LBB31_45
; %bb.44:                               ;   in Loop: Header=BB31_3 Depth=1
	s_ashr_i32 s64, s55, 31
	s_delay_alu instid0(SALU_CYCLE_1) | instskip(SKIP_2) | instid1(SALU_CYCLE_1)
	s_add_u32 s66, s54, s64
	s_mov_b32 s65, s64
	s_addc_u32 s67, s55, s64
	s_xor_b64 s[66:67], s[66:67], s[64:65]
	s_delay_alu instid0(SALU_CYCLE_1) | instskip(SKIP_3) | instid1(VALU_DEP_1)
	v_cvt_f32_u32_e32 v2, s66
	v_cvt_f32_u32_e32 v21, s67
	s_sub_u32 s0, 0, s66
	s_subb_u32 s65, 0, s67
	v_fmac_f32_e32 v2, 0x4f800000, v21
	s_delay_alu instid0(VALU_DEP_1) | instskip(SKIP_2) | instid1(VALU_DEP_1)
	v_rcp_f32_e32 v2, v2
	s_waitcnt_depctr 0xfff
	v_mul_f32_e32 v2, 0x5f7ffffc, v2
	v_mul_f32_e32 v21, 0x2f800000, v2
	s_delay_alu instid0(VALU_DEP_1) | instskip(NEXT) | instid1(VALU_DEP_1)
	v_trunc_f32_e32 v21, v21
	v_fmac_f32_e32 v2, 0xcf800000, v21
	v_cvt_u32_f32_e32 v21, v21
	s_delay_alu instid0(VALU_DEP_2) | instskip(NEXT) | instid1(VALU_DEP_2)
	v_cvt_u32_f32_e32 v2, v2
	v_mul_lo_u32 v22, s0, v21
	s_delay_alu instid0(VALU_DEP_2) | instskip(SKIP_1) | instid1(VALU_DEP_2)
	v_mul_hi_u32 v23, s0, v2
	v_mul_lo_u32 v24, s65, v2
	v_add_nc_u32_e32 v22, v23, v22
	v_mul_lo_u32 v23, s0, v2
	s_delay_alu instid0(VALU_DEP_2) | instskip(NEXT) | instid1(VALU_DEP_2)
	v_add_nc_u32_e32 v22, v22, v24
	v_mul_hi_u32 v24, v2, v23
	s_delay_alu instid0(VALU_DEP_2)
	v_mul_lo_u32 v30, v2, v22
	v_mul_hi_u32 v31, v2, v22
	v_mul_hi_u32 v32, v21, v23
	v_mul_lo_u32 v23, v21, v23
	v_mul_hi_u32 v33, v21, v22
	v_mul_lo_u32 v22, v21, v22
	v_add_co_u32 v24, vcc_lo, v24, v30
	v_add_co_ci_u32_e32 v30, vcc_lo, 0, v31, vcc_lo
	s_delay_alu instid0(VALU_DEP_2) | instskip(NEXT) | instid1(VALU_DEP_2)
	v_add_co_u32 v23, vcc_lo, v24, v23
	v_add_co_ci_u32_e32 v23, vcc_lo, v30, v32, vcc_lo
	v_add_co_ci_u32_e32 v24, vcc_lo, 0, v33, vcc_lo
	v_ashrrev_i32_e32 v32, 31, v4
	s_delay_alu instid0(VALU_DEP_3) | instskip(NEXT) | instid1(VALU_DEP_3)
	v_add_co_u32 v22, vcc_lo, v23, v22
	v_add_co_ci_u32_e32 v23, vcc_lo, 0, v24, vcc_lo
	s_delay_alu instid0(VALU_DEP_2) | instskip(NEXT) | instid1(VALU_DEP_2)
	v_add_co_u32 v2, vcc_lo, v2, v22
	v_add_co_ci_u32_e32 v21, vcc_lo, v21, v23, vcc_lo
	s_delay_alu instid0(VALU_DEP_2) | instskip(SKIP_1) | instid1(VALU_DEP_3)
	v_mul_hi_u32 v22, s0, v2
	v_mul_lo_u32 v24, s65, v2
	v_mul_lo_u32 v23, s0, v21
	s_delay_alu instid0(VALU_DEP_1) | instskip(SKIP_1) | instid1(VALU_DEP_2)
	v_add_nc_u32_e32 v22, v22, v23
	v_mul_lo_u32 v23, s0, v2
	v_add_nc_u32_e32 v22, v22, v24
	s_delay_alu instid0(VALU_DEP_2) | instskip(NEXT) | instid1(VALU_DEP_2)
	v_mul_hi_u32 v24, v2, v23
	v_mul_lo_u32 v30, v2, v22
	v_mul_hi_u32 v31, v2, v22
	v_mul_hi_u32 v33, v21, v23
	v_mul_lo_u32 v23, v21, v23
	v_mul_hi_u32 v34, v21, v22
	v_mul_lo_u32 v22, v21, v22
	v_add_co_u32 v24, vcc_lo, v24, v30
	v_add_co_ci_u32_e32 v30, vcc_lo, 0, v31, vcc_lo
	s_delay_alu instid0(VALU_DEP_2) | instskip(NEXT) | instid1(VALU_DEP_2)
	v_add_co_u32 v23, vcc_lo, v24, v23
	v_add_co_ci_u32_e32 v23, vcc_lo, v30, v33, vcc_lo
	v_add_co_ci_u32_e32 v24, vcc_lo, 0, v34, vcc_lo
	v_add_co_u32 v30, vcc_lo, v3, v32
	v_add_co_ci_u32_e32 v31, vcc_lo, v4, v32, vcc_lo
	s_delay_alu instid0(VALU_DEP_4) | instskip(NEXT) | instid1(VALU_DEP_4)
	v_add_co_u32 v22, vcc_lo, v23, v22
	v_add_co_ci_u32_e32 v23, vcc_lo, 0, v24, vcc_lo
	s_delay_alu instid0(VALU_DEP_4) | instskip(NEXT) | instid1(VALU_DEP_3)
	v_xor_b32_e32 v33, v30, v32
	v_add_co_u32 v2, vcc_lo, v2, v22
	s_delay_alu instid0(VALU_DEP_3) | instskip(SKIP_1) | instid1(VALU_DEP_3)
	v_add_co_ci_u32_e32 v34, vcc_lo, v21, v23, vcc_lo
	v_xor_b32_e32 v35, v31, v32
	v_mul_hi_u32 v36, v33, v2
	s_delay_alu instid0(VALU_DEP_3) | instskip(NEXT) | instid1(VALU_DEP_3)
	v_mad_u64_u32 v[21:22], null, v33, v34, 0
	v_mad_u64_u32 v[23:24], null, v35, v2, 0
	v_mad_u64_u32 v[30:31], null, v35, v34, 0
	s_delay_alu instid0(VALU_DEP_3) | instskip(NEXT) | instid1(VALU_DEP_4)
	v_add_co_u32 v2, vcc_lo, v36, v21
	v_add_co_ci_u32_e32 v21, vcc_lo, 0, v22, vcc_lo
	s_delay_alu instid0(VALU_DEP_2) | instskip(NEXT) | instid1(VALU_DEP_2)
	v_add_co_u32 v2, vcc_lo, v2, v23
	v_add_co_ci_u32_e32 v2, vcc_lo, v21, v24, vcc_lo
	v_add_co_ci_u32_e32 v21, vcc_lo, 0, v31, vcc_lo
	s_delay_alu instid0(VALU_DEP_2) | instskip(NEXT) | instid1(VALU_DEP_2)
	v_add_co_u32 v2, vcc_lo, v2, v30
	v_add_co_ci_u32_e32 v23, vcc_lo, 0, v21, vcc_lo
	s_delay_alu instid0(VALU_DEP_2) | instskip(SKIP_1) | instid1(VALU_DEP_3)
	v_mul_lo_u32 v24, s67, v2
	v_mad_u64_u32 v[21:22], null, s66, v2, 0
	v_mul_lo_u32 v30, s66, v23
	s_delay_alu instid0(VALU_DEP_2) | instskip(NEXT) | instid1(VALU_DEP_2)
	v_sub_co_u32 v21, vcc_lo, v33, v21
	v_add3_u32 v22, v22, v30, v24
	s_delay_alu instid0(VALU_DEP_1) | instskip(NEXT) | instid1(VALU_DEP_1)
	v_sub_nc_u32_e32 v24, v35, v22
	v_subrev_co_ci_u32_e64 v24, s0, s67, v24, vcc_lo
	v_add_co_u32 v30, s0, v2, 2
	s_delay_alu instid0(VALU_DEP_1) | instskip(SKIP_3) | instid1(VALU_DEP_3)
	v_add_co_ci_u32_e64 v31, s0, 0, v23, s0
	v_sub_co_u32 v33, s0, v21, s66
	v_sub_co_ci_u32_e32 v22, vcc_lo, v35, v22, vcc_lo
	v_subrev_co_ci_u32_e64 v24, s0, 0, v24, s0
	v_cmp_le_u32_e32 vcc_lo, s66, v33
	s_delay_alu instid0(VALU_DEP_3) | instskip(SKIP_1) | instid1(VALU_DEP_4)
	v_cmp_eq_u32_e64 s0, s67, v22
	v_cndmask_b32_e64 v33, 0, -1, vcc_lo
	v_cmp_le_u32_e32 vcc_lo, s67, v24
	v_cndmask_b32_e64 v34, 0, -1, vcc_lo
	v_cmp_le_u32_e32 vcc_lo, s66, v21
	;; [unrolled: 2-line block ×3, first 2 shown]
	v_cndmask_b32_e64 v35, 0, -1, vcc_lo
	v_cmp_eq_u32_e32 vcc_lo, s67, v24
	s_delay_alu instid0(VALU_DEP_2) | instskip(SKIP_3) | instid1(VALU_DEP_3)
	v_cndmask_b32_e64 v21, v35, v21, s0
	v_cndmask_b32_e32 v24, v34, v33, vcc_lo
	v_add_co_u32 v33, vcc_lo, v2, 1
	v_add_co_ci_u32_e32 v34, vcc_lo, 0, v23, vcc_lo
	v_cmp_ne_u32_e32 vcc_lo, 0, v24
	s_delay_alu instid0(VALU_DEP_2) | instskip(NEXT) | instid1(VALU_DEP_4)
	v_cndmask_b32_e32 v22, v34, v31, vcc_lo
	v_cndmask_b32_e32 v24, v33, v30, vcc_lo
	v_cmp_ne_u32_e32 vcc_lo, 0, v21
	v_xor_b32_e32 v30, s64, v32
	s_delay_alu instid0(VALU_DEP_3) | instskip(NEXT) | instid1(VALU_DEP_1)
	v_dual_cndmask_b32 v2, v2, v24 :: v_dual_cndmask_b32 v21, v23, v22
	v_xor_b32_e32 v2, v2, v30
	s_delay_alu instid0(VALU_DEP_2) | instskip(NEXT) | instid1(VALU_DEP_2)
	v_xor_b32_e32 v22, v21, v30
	v_sub_co_u32 v21, vcc_lo, v2, v30
	s_delay_alu instid0(VALU_DEP_2)
	v_sub_co_ci_u32_e32 v22, vcc_lo, v22, v30, vcc_lo
.LBB31_45:                              ;   in Loop: Header=BB31_3 Depth=1
	s_and_not1_saveexec_b32 s0, s83
	s_cbranch_execz .LBB31_47
; %bb.46:                               ;   in Loop: Header=BB31_3 Depth=1
	v_cvt_f32_u32_e32 v2, s54
	s_sub_i32 s64, 0, s54
	s_delay_alu instid0(VALU_DEP_1) | instskip(SKIP_2) | instid1(VALU_DEP_1)
	v_rcp_iflag_f32_e32 v2, v2
	s_waitcnt_depctr 0xfff
	v_mul_f32_e32 v2, 0x4f7ffffe, v2
	v_cvt_u32_f32_e32 v2, v2
	s_delay_alu instid0(VALU_DEP_1) | instskip(NEXT) | instid1(VALU_DEP_1)
	v_mul_lo_u32 v21, s64, v2
	v_mul_hi_u32 v21, v2, v21
	s_delay_alu instid0(VALU_DEP_1) | instskip(NEXT) | instid1(VALU_DEP_1)
	v_add_nc_u32_e32 v2, v2, v21
	v_mul_hi_u32 v2, v3, v2
	s_delay_alu instid0(VALU_DEP_1) | instskip(SKIP_1) | instid1(VALU_DEP_2)
	v_mul_lo_u32 v21, v2, s54
	v_add_nc_u32_e32 v22, 1, v2
	v_sub_nc_u32_e32 v21, v3, v21
	s_delay_alu instid0(VALU_DEP_1) | instskip(SKIP_1) | instid1(VALU_DEP_2)
	v_subrev_nc_u32_e32 v23, s54, v21
	v_cmp_le_u32_e32 vcc_lo, s54, v21
	v_dual_cndmask_b32 v21, v21, v23 :: v_dual_cndmask_b32 v2, v2, v22
	s_delay_alu instid0(VALU_DEP_1) | instskip(NEXT) | instid1(VALU_DEP_2)
	v_cmp_le_u32_e32 vcc_lo, s54, v21
	v_add_nc_u32_e32 v22, 1, v2
	s_delay_alu instid0(VALU_DEP_1)
	v_dual_cndmask_b32 v21, v2, v22 :: v_dual_mov_b32 v22, v1
.LBB31_47:                              ;   in Loop: Header=BB31_3 Depth=1
	s_or_b32 exec_lo, exec_lo, s0
	s_delay_alu instid0(VALU_DEP_1) | instskip(NEXT) | instid1(VALU_DEP_2)
	v_mad_u64_u32 v[23:24], null, s74, v21, v[3:4]
	v_mul_lo_u32 v2, s74, v22
	v_mul_lo_u32 v30, s75, v21
	;; [unrolled: 1-line block ×4, first 2 shown]
	s_mov_b32 s0, exec_lo
	s_delay_alu instid0(VALU_DEP_3) | instskip(SKIP_3) | instid1(VALU_DEP_4)
	v_add3_u32 v2, v30, v24, v2
	v_mad_u64_u32 v[30:31], null, v21, s24, 0
	v_mul_lo_u32 v24, v23, s27
	v_mad_u64_u32 v[21:22], null, v23, s26, 0
	v_mul_lo_u32 v2, v2, s26
	s_delay_alu instid0(VALU_DEP_4) | instskip(NEXT) | instid1(VALU_DEP_2)
	v_add3_u32 v31, v31, v33, v32
	v_add3_u32 v22, v22, v24, v2
	s_delay_alu instid0(VALU_DEP_2) | instskip(NEXT) | instid1(VALU_DEP_2)
	v_lshlrev_b64 v[23:24], 1, v[30:31]
	v_lshlrev_b64 v[21:22], 1, v[21:22]
	s_delay_alu instid0(VALU_DEP_2) | instskip(NEXT) | instid1(VALU_DEP_3)
	v_add_co_u32 v2, vcc_lo, s52, v23
	v_add_co_ci_u32_e32 v23, vcc_lo, s53, v24, vcc_lo
	s_delay_alu instid0(VALU_DEP_2) | instskip(NEXT) | instid1(VALU_DEP_2)
	v_add_co_u32 v21, vcc_lo, v2, v21
	v_add_co_ci_u32_e32 v22, vcc_lo, v23, v22, vcc_lo
	v_or_b32_e32 v2, s61, v4
	global_load_u16 v30, v[21:22], off
                                        ; implicit-def: $vgpr21_vgpr22
	v_cmpx_ne_u64_e32 0, v[1:2]
	s_xor_b32 s83, exec_lo, s0
	s_cbranch_execnz .LBB31_60
; %bb.48:                               ;   in Loop: Header=BB31_3 Depth=1
	s_and_not1_saveexec_b32 s0, s83
	s_cbranch_execnz .LBB31_61
.LBB31_49:                              ;   in Loop: Header=BB31_3 Depth=1
	s_or_b32 exec_lo, exec_lo, s0
	s_delay_alu instid0(SALU_CYCLE_1)
	s_and_not1_b32 vcc_lo, exec_lo, s33
	s_cbranch_vccnz .LBB31_62
.LBB31_50:                              ;   in Loop: Header=BB31_3 Depth=1
	v_or_b32_e32 v2, s57, v4
                                        ; implicit-def: $vgpr23_vgpr24
	s_mov_b32 s0, exec_lo
	s_delay_alu instid0(VALU_DEP_1)
	v_cmpx_ne_u64_e32 0, v[1:2]
	s_xor_b32 s83, exec_lo, s0
	s_cbranch_execz .LBB31_52
; %bb.51:                               ;   in Loop: Header=BB31_3 Depth=1
	s_ashr_i32 s64, s57, 31
	s_delay_alu instid0(SALU_CYCLE_1) | instskip(SKIP_2) | instid1(SALU_CYCLE_1)
	s_add_u32 s66, s56, s64
	s_mov_b32 s65, s64
	s_addc_u32 s67, s57, s64
	s_xor_b64 s[66:67], s[66:67], s[64:65]
	s_delay_alu instid0(SALU_CYCLE_1) | instskip(SKIP_3) | instid1(VALU_DEP_1)
	v_cvt_f32_u32_e32 v2, s66
	v_cvt_f32_u32_e32 v23, s67
	s_sub_u32 s0, 0, s66
	s_subb_u32 s65, 0, s67
	v_fmac_f32_e32 v2, 0x4f800000, v23
	s_delay_alu instid0(VALU_DEP_1) | instskip(SKIP_2) | instid1(VALU_DEP_1)
	v_rcp_f32_e32 v2, v2
	s_waitcnt_depctr 0xfff
	v_mul_f32_e32 v2, 0x5f7ffffc, v2
	v_mul_f32_e32 v23, 0x2f800000, v2
	s_delay_alu instid0(VALU_DEP_1) | instskip(NEXT) | instid1(VALU_DEP_1)
	v_trunc_f32_e32 v23, v23
	v_fmac_f32_e32 v2, 0xcf800000, v23
	v_cvt_u32_f32_e32 v23, v23
	s_delay_alu instid0(VALU_DEP_2) | instskip(NEXT) | instid1(VALU_DEP_2)
	v_cvt_u32_f32_e32 v2, v2
	v_mul_lo_u32 v24, s0, v23
	s_delay_alu instid0(VALU_DEP_2) | instskip(SKIP_1) | instid1(VALU_DEP_2)
	v_mul_hi_u32 v31, s0, v2
	v_mul_lo_u32 v32, s65, v2
	v_add_nc_u32_e32 v24, v31, v24
	v_mul_lo_u32 v31, s0, v2
	s_delay_alu instid0(VALU_DEP_2) | instskip(NEXT) | instid1(VALU_DEP_2)
	v_add_nc_u32_e32 v24, v24, v32
	v_mul_hi_u32 v32, v2, v31
	s_delay_alu instid0(VALU_DEP_2)
	v_mul_lo_u32 v33, v2, v24
	v_mul_hi_u32 v34, v2, v24
	v_mul_hi_u32 v35, v23, v31
	v_mul_lo_u32 v31, v23, v31
	v_mul_hi_u32 v36, v23, v24
	v_mul_lo_u32 v24, v23, v24
	v_add_co_u32 v32, vcc_lo, v32, v33
	v_add_co_ci_u32_e32 v33, vcc_lo, 0, v34, vcc_lo
	s_delay_alu instid0(VALU_DEP_2) | instskip(NEXT) | instid1(VALU_DEP_2)
	v_add_co_u32 v31, vcc_lo, v32, v31
	v_add_co_ci_u32_e32 v31, vcc_lo, v33, v35, vcc_lo
	v_add_co_ci_u32_e32 v32, vcc_lo, 0, v36, vcc_lo
	v_ashrrev_i32_e32 v35, 31, v4
	s_delay_alu instid0(VALU_DEP_3) | instskip(NEXT) | instid1(VALU_DEP_3)
	v_add_co_u32 v24, vcc_lo, v31, v24
	v_add_co_ci_u32_e32 v31, vcc_lo, 0, v32, vcc_lo
	s_delay_alu instid0(VALU_DEP_2) | instskip(NEXT) | instid1(VALU_DEP_2)
	v_add_co_u32 v2, vcc_lo, v2, v24
	v_add_co_ci_u32_e32 v23, vcc_lo, v23, v31, vcc_lo
	s_delay_alu instid0(VALU_DEP_2) | instskip(SKIP_1) | instid1(VALU_DEP_3)
	v_mul_hi_u32 v24, s0, v2
	v_mul_lo_u32 v32, s65, v2
	v_mul_lo_u32 v31, s0, v23
	s_delay_alu instid0(VALU_DEP_1) | instskip(SKIP_1) | instid1(VALU_DEP_2)
	v_add_nc_u32_e32 v24, v24, v31
	v_mul_lo_u32 v31, s0, v2
	v_add_nc_u32_e32 v24, v24, v32
	s_delay_alu instid0(VALU_DEP_2) | instskip(NEXT) | instid1(VALU_DEP_2)
	v_mul_hi_u32 v32, v2, v31
	v_mul_lo_u32 v33, v2, v24
	v_mul_hi_u32 v34, v2, v24
	v_mul_hi_u32 v36, v23, v31
	v_mul_lo_u32 v31, v23, v31
	v_mul_hi_u32 v37, v23, v24
	v_mul_lo_u32 v24, v23, v24
	v_add_co_u32 v32, vcc_lo, v32, v33
	v_add_co_ci_u32_e32 v33, vcc_lo, 0, v34, vcc_lo
	s_delay_alu instid0(VALU_DEP_2) | instskip(NEXT) | instid1(VALU_DEP_2)
	v_add_co_u32 v31, vcc_lo, v32, v31
	v_add_co_ci_u32_e32 v31, vcc_lo, v33, v36, vcc_lo
	v_add_co_ci_u32_e32 v32, vcc_lo, 0, v37, vcc_lo
	v_add_co_u32 v33, vcc_lo, v3, v35
	v_add_co_ci_u32_e32 v34, vcc_lo, v4, v35, vcc_lo
	s_delay_alu instid0(VALU_DEP_4) | instskip(NEXT) | instid1(VALU_DEP_4)
	v_add_co_u32 v24, vcc_lo, v31, v24
	v_add_co_ci_u32_e32 v31, vcc_lo, 0, v32, vcc_lo
	s_delay_alu instid0(VALU_DEP_4) | instskip(NEXT) | instid1(VALU_DEP_3)
	v_xor_b32_e32 v36, v33, v35
	v_add_co_u32 v2, vcc_lo, v2, v24
	s_delay_alu instid0(VALU_DEP_3) | instskip(SKIP_1) | instid1(VALU_DEP_3)
	v_add_co_ci_u32_e32 v37, vcc_lo, v23, v31, vcc_lo
	v_xor_b32_e32 v38, v34, v35
	v_mul_hi_u32 v39, v36, v2
	s_delay_alu instid0(VALU_DEP_3) | instskip(NEXT) | instid1(VALU_DEP_3)
	v_mad_u64_u32 v[23:24], null, v36, v37, 0
	v_mad_u64_u32 v[31:32], null, v38, v2, 0
	;; [unrolled: 1-line block ×3, first 2 shown]
	s_delay_alu instid0(VALU_DEP_3) | instskip(NEXT) | instid1(VALU_DEP_4)
	v_add_co_u32 v2, vcc_lo, v39, v23
	v_add_co_ci_u32_e32 v23, vcc_lo, 0, v24, vcc_lo
	s_delay_alu instid0(VALU_DEP_2) | instskip(NEXT) | instid1(VALU_DEP_2)
	v_add_co_u32 v2, vcc_lo, v2, v31
	v_add_co_ci_u32_e32 v2, vcc_lo, v23, v32, vcc_lo
	v_add_co_ci_u32_e32 v23, vcc_lo, 0, v34, vcc_lo
	s_delay_alu instid0(VALU_DEP_2) | instskip(NEXT) | instid1(VALU_DEP_2)
	v_add_co_u32 v2, vcc_lo, v2, v33
	v_add_co_ci_u32_e32 v31, vcc_lo, 0, v23, vcc_lo
	s_delay_alu instid0(VALU_DEP_2) | instskip(SKIP_1) | instid1(VALU_DEP_3)
	v_mul_lo_u32 v32, s67, v2
	v_mad_u64_u32 v[23:24], null, s66, v2, 0
	v_mul_lo_u32 v33, s66, v31
	s_delay_alu instid0(VALU_DEP_2) | instskip(NEXT) | instid1(VALU_DEP_2)
	v_sub_co_u32 v23, vcc_lo, v36, v23
	v_add3_u32 v24, v24, v33, v32
	s_delay_alu instid0(VALU_DEP_1) | instskip(NEXT) | instid1(VALU_DEP_1)
	v_sub_nc_u32_e32 v32, v38, v24
	v_subrev_co_ci_u32_e64 v32, s0, s67, v32, vcc_lo
	v_add_co_u32 v33, s0, v2, 2
	s_delay_alu instid0(VALU_DEP_1) | instskip(SKIP_3) | instid1(VALU_DEP_3)
	v_add_co_ci_u32_e64 v34, s0, 0, v31, s0
	v_sub_co_u32 v36, s0, v23, s66
	v_sub_co_ci_u32_e32 v24, vcc_lo, v38, v24, vcc_lo
	v_subrev_co_ci_u32_e64 v32, s0, 0, v32, s0
	v_cmp_le_u32_e32 vcc_lo, s66, v36
	s_delay_alu instid0(VALU_DEP_3) | instskip(SKIP_1) | instid1(VALU_DEP_4)
	v_cmp_eq_u32_e64 s0, s67, v24
	v_cndmask_b32_e64 v36, 0, -1, vcc_lo
	v_cmp_le_u32_e32 vcc_lo, s67, v32
	v_cndmask_b32_e64 v37, 0, -1, vcc_lo
	v_cmp_le_u32_e32 vcc_lo, s66, v23
	;; [unrolled: 2-line block ×3, first 2 shown]
	v_cndmask_b32_e64 v38, 0, -1, vcc_lo
	v_cmp_eq_u32_e32 vcc_lo, s67, v32
	s_delay_alu instid0(VALU_DEP_2) | instskip(SKIP_3) | instid1(VALU_DEP_3)
	v_cndmask_b32_e64 v23, v38, v23, s0
	v_cndmask_b32_e32 v32, v37, v36, vcc_lo
	v_add_co_u32 v36, vcc_lo, v2, 1
	v_add_co_ci_u32_e32 v37, vcc_lo, 0, v31, vcc_lo
	v_cmp_ne_u32_e32 vcc_lo, 0, v32
	s_delay_alu instid0(VALU_DEP_2) | instskip(NEXT) | instid1(VALU_DEP_4)
	v_cndmask_b32_e32 v24, v37, v34, vcc_lo
	v_cndmask_b32_e32 v32, v36, v33, vcc_lo
	v_cmp_ne_u32_e32 vcc_lo, 0, v23
	v_xor_b32_e32 v33, s64, v35
	s_delay_alu instid0(VALU_DEP_3) | instskip(SKIP_1) | instid1(VALU_DEP_2)
	v_cndmask_b32_e32 v2, v2, v32, vcc_lo
	v_cndmask_b32_e32 v23, v31, v24, vcc_lo
	v_xor_b32_e32 v2, v2, v33
	s_delay_alu instid0(VALU_DEP_2) | instskip(NEXT) | instid1(VALU_DEP_2)
	v_xor_b32_e32 v24, v23, v33
	v_sub_co_u32 v23, vcc_lo, v2, v33
	s_delay_alu instid0(VALU_DEP_2)
	v_sub_co_ci_u32_e32 v24, vcc_lo, v24, v33, vcc_lo
.LBB31_52:                              ;   in Loop: Header=BB31_3 Depth=1
	s_and_not1_saveexec_b32 s0, s83
	s_cbranch_execz .LBB31_54
; %bb.53:                               ;   in Loop: Header=BB31_3 Depth=1
	v_cvt_f32_u32_e32 v2, s56
	s_sub_i32 s64, 0, s56
	s_delay_alu instid0(VALU_DEP_1) | instskip(SKIP_2) | instid1(VALU_DEP_1)
	v_rcp_iflag_f32_e32 v2, v2
	s_waitcnt_depctr 0xfff
	v_mul_f32_e32 v2, 0x4f7ffffe, v2
	v_cvt_u32_f32_e32 v2, v2
	s_delay_alu instid0(VALU_DEP_1) | instskip(NEXT) | instid1(VALU_DEP_1)
	v_mul_lo_u32 v23, s64, v2
	v_mul_hi_u32 v23, v2, v23
	s_delay_alu instid0(VALU_DEP_1) | instskip(NEXT) | instid1(VALU_DEP_1)
	v_add_nc_u32_e32 v2, v2, v23
	v_mul_hi_u32 v2, v3, v2
	s_delay_alu instid0(VALU_DEP_1) | instskip(SKIP_1) | instid1(VALU_DEP_2)
	v_mul_lo_u32 v23, v2, s56
	v_add_nc_u32_e32 v24, 1, v2
	v_sub_nc_u32_e32 v23, v3, v23
	s_delay_alu instid0(VALU_DEP_1) | instskip(SKIP_1) | instid1(VALU_DEP_2)
	v_subrev_nc_u32_e32 v31, s56, v23
	v_cmp_le_u32_e32 vcc_lo, s56, v23
	v_dual_cndmask_b32 v23, v23, v31 :: v_dual_cndmask_b32 v2, v2, v24
	s_delay_alu instid0(VALU_DEP_1) | instskip(NEXT) | instid1(VALU_DEP_2)
	v_cmp_le_u32_e32 vcc_lo, s56, v23
	v_add_nc_u32_e32 v24, 1, v2
	s_delay_alu instid0(VALU_DEP_1)
	v_dual_cndmask_b32 v23, v2, v24 :: v_dual_mov_b32 v24, v1
.LBB31_54:                              ;   in Loop: Header=BB31_3 Depth=1
	s_or_b32 exec_lo, exec_lo, s0
	s_delay_alu instid0(VALU_DEP_1) | instskip(NEXT) | instid1(VALU_DEP_2)
	v_mad_u64_u32 v[31:32], null, s78, v23, v[3:4]
	v_mul_lo_u32 v2, s78, v24
	v_mul_lo_u32 v33, s79, v23
	;; [unrolled: 1-line block ×5, first 2 shown]
	s_delay_alu instid0(VALU_DEP_4) | instskip(SKIP_2) | instid1(VALU_DEP_3)
	v_add3_u32 v2, v33, v32, v2
	v_mad_u64_u32 v[32:33], null, v23, s8, 0
	v_mad_u64_u32 v[23:24], null, v31, s10, 0
	v_mul_lo_u32 v2, v2, s10
	s_delay_alu instid0(VALU_DEP_3) | instskip(NEXT) | instid1(VALU_DEP_2)
	v_add3_u32 v33, v33, v35, v34
	v_add3_u32 v24, v24, v36, v2
	s_delay_alu instid0(VALU_DEP_2) | instskip(NEXT) | instid1(VALU_DEP_2)
	v_lshlrev_b64 v[31:32], 1, v[32:33]
	v_lshlrev_b64 v[23:24], 1, v[23:24]
	s_delay_alu instid0(VALU_DEP_2) | instskip(NEXT) | instid1(VALU_DEP_3)
	v_add_co_u32 v2, vcc_lo, s2, v31
	v_add_co_ci_u32_e32 v31, vcc_lo, s3, v32, vcc_lo
	s_delay_alu instid0(VALU_DEP_2) | instskip(NEXT) | instid1(VALU_DEP_2)
	v_add_co_u32 v23, vcc_lo, v2, v23
	v_add_co_ci_u32_e32 v24, vcc_lo, v31, v24, vcc_lo
	global_load_u16 v2, v[23:24], off
	s_waitcnt vmcnt(0)
	v_lshlrev_b32_e32 v31, 16, v2
	s_and_not1_b32 vcc_lo, exec_lo, s1
	s_cbranch_vccnz .LBB31_63
.LBB31_55:                              ;   in Loop: Header=BB31_3 Depth=1
	v_or_b32_e32 v2, s63, v4
                                        ; implicit-def: $vgpr23_vgpr24
	s_mov_b32 s0, exec_lo
	s_delay_alu instid0(VALU_DEP_1)
	v_cmpx_ne_u64_e32 0, v[1:2]
	s_xor_b32 s83, exec_lo, s0
	s_cbranch_execz .LBB31_57
; %bb.56:                               ;   in Loop: Header=BB31_3 Depth=1
	s_ashr_i32 s64, s63, 31
	s_delay_alu instid0(SALU_CYCLE_1) | instskip(SKIP_2) | instid1(SALU_CYCLE_1)
	s_add_u32 s66, s62, s64
	s_mov_b32 s65, s64
	s_addc_u32 s67, s63, s64
	s_xor_b64 s[66:67], s[66:67], s[64:65]
	s_delay_alu instid0(SALU_CYCLE_1) | instskip(SKIP_3) | instid1(VALU_DEP_1)
	v_cvt_f32_u32_e32 v2, s66
	v_cvt_f32_u32_e32 v23, s67
	s_sub_u32 s0, 0, s66
	s_subb_u32 s65, 0, s67
	v_fmac_f32_e32 v2, 0x4f800000, v23
	s_delay_alu instid0(VALU_DEP_1) | instskip(SKIP_2) | instid1(VALU_DEP_1)
	v_rcp_f32_e32 v2, v2
	s_waitcnt_depctr 0xfff
	v_mul_f32_e32 v2, 0x5f7ffffc, v2
	v_mul_f32_e32 v23, 0x2f800000, v2
	s_delay_alu instid0(VALU_DEP_1) | instskip(NEXT) | instid1(VALU_DEP_1)
	v_trunc_f32_e32 v23, v23
	v_fmac_f32_e32 v2, 0xcf800000, v23
	v_cvt_u32_f32_e32 v23, v23
	s_delay_alu instid0(VALU_DEP_2) | instskip(NEXT) | instid1(VALU_DEP_2)
	v_cvt_u32_f32_e32 v2, v2
	v_mul_lo_u32 v24, s0, v23
	s_delay_alu instid0(VALU_DEP_2) | instskip(SKIP_1) | instid1(VALU_DEP_2)
	v_mul_hi_u32 v32, s0, v2
	v_mul_lo_u32 v33, s65, v2
	v_add_nc_u32_e32 v24, v32, v24
	v_mul_lo_u32 v32, s0, v2
	s_delay_alu instid0(VALU_DEP_2) | instskip(NEXT) | instid1(VALU_DEP_2)
	v_add_nc_u32_e32 v24, v24, v33
	v_mul_hi_u32 v33, v2, v32
	s_delay_alu instid0(VALU_DEP_2)
	v_mul_lo_u32 v34, v2, v24
	v_mul_hi_u32 v35, v2, v24
	v_mul_hi_u32 v36, v23, v32
	v_mul_lo_u32 v32, v23, v32
	v_mul_hi_u32 v37, v23, v24
	v_mul_lo_u32 v24, v23, v24
	v_add_co_u32 v33, vcc_lo, v33, v34
	v_add_co_ci_u32_e32 v34, vcc_lo, 0, v35, vcc_lo
	s_delay_alu instid0(VALU_DEP_2) | instskip(NEXT) | instid1(VALU_DEP_2)
	v_add_co_u32 v32, vcc_lo, v33, v32
	v_add_co_ci_u32_e32 v32, vcc_lo, v34, v36, vcc_lo
	v_add_co_ci_u32_e32 v33, vcc_lo, 0, v37, vcc_lo
	v_ashrrev_i32_e32 v36, 31, v4
	s_delay_alu instid0(VALU_DEP_3) | instskip(NEXT) | instid1(VALU_DEP_3)
	v_add_co_u32 v24, vcc_lo, v32, v24
	v_add_co_ci_u32_e32 v32, vcc_lo, 0, v33, vcc_lo
	s_delay_alu instid0(VALU_DEP_2) | instskip(NEXT) | instid1(VALU_DEP_2)
	v_add_co_u32 v2, vcc_lo, v2, v24
	v_add_co_ci_u32_e32 v23, vcc_lo, v23, v32, vcc_lo
	s_delay_alu instid0(VALU_DEP_2) | instskip(SKIP_1) | instid1(VALU_DEP_3)
	v_mul_hi_u32 v24, s0, v2
	v_mul_lo_u32 v33, s65, v2
	v_mul_lo_u32 v32, s0, v23
	s_delay_alu instid0(VALU_DEP_1) | instskip(SKIP_1) | instid1(VALU_DEP_2)
	v_add_nc_u32_e32 v24, v24, v32
	v_mul_lo_u32 v32, s0, v2
	v_add_nc_u32_e32 v24, v24, v33
	s_delay_alu instid0(VALU_DEP_2) | instskip(NEXT) | instid1(VALU_DEP_2)
	v_mul_hi_u32 v33, v2, v32
	v_mul_lo_u32 v34, v2, v24
	v_mul_hi_u32 v35, v2, v24
	v_mul_hi_u32 v37, v23, v32
	v_mul_lo_u32 v32, v23, v32
	v_mul_hi_u32 v38, v23, v24
	v_mul_lo_u32 v24, v23, v24
	v_add_co_u32 v33, vcc_lo, v33, v34
	v_add_co_ci_u32_e32 v34, vcc_lo, 0, v35, vcc_lo
	s_delay_alu instid0(VALU_DEP_2) | instskip(NEXT) | instid1(VALU_DEP_2)
	v_add_co_u32 v32, vcc_lo, v33, v32
	v_add_co_ci_u32_e32 v32, vcc_lo, v34, v37, vcc_lo
	v_add_co_ci_u32_e32 v33, vcc_lo, 0, v38, vcc_lo
	v_add_co_u32 v34, vcc_lo, v3, v36
	v_add_co_ci_u32_e32 v35, vcc_lo, v4, v36, vcc_lo
	s_delay_alu instid0(VALU_DEP_4) | instskip(NEXT) | instid1(VALU_DEP_4)
	v_add_co_u32 v24, vcc_lo, v32, v24
	v_add_co_ci_u32_e32 v32, vcc_lo, 0, v33, vcc_lo
	s_delay_alu instid0(VALU_DEP_4) | instskip(NEXT) | instid1(VALU_DEP_3)
	v_xor_b32_e32 v37, v34, v36
	v_add_co_u32 v2, vcc_lo, v2, v24
	s_delay_alu instid0(VALU_DEP_3) | instskip(SKIP_1) | instid1(VALU_DEP_3)
	v_add_co_ci_u32_e32 v38, vcc_lo, v23, v32, vcc_lo
	v_xor_b32_e32 v39, v35, v36
	v_mul_hi_u32 v40, v37, v2
	s_delay_alu instid0(VALU_DEP_3) | instskip(NEXT) | instid1(VALU_DEP_3)
	v_mad_u64_u32 v[23:24], null, v37, v38, 0
	v_mad_u64_u32 v[32:33], null, v39, v2, 0
	;; [unrolled: 1-line block ×3, first 2 shown]
	s_delay_alu instid0(VALU_DEP_3) | instskip(NEXT) | instid1(VALU_DEP_4)
	v_add_co_u32 v2, vcc_lo, v40, v23
	v_add_co_ci_u32_e32 v23, vcc_lo, 0, v24, vcc_lo
	s_delay_alu instid0(VALU_DEP_2) | instskip(NEXT) | instid1(VALU_DEP_2)
	v_add_co_u32 v2, vcc_lo, v2, v32
	v_add_co_ci_u32_e32 v2, vcc_lo, v23, v33, vcc_lo
	v_add_co_ci_u32_e32 v23, vcc_lo, 0, v35, vcc_lo
	s_delay_alu instid0(VALU_DEP_2) | instskip(NEXT) | instid1(VALU_DEP_2)
	v_add_co_u32 v2, vcc_lo, v2, v34
	v_add_co_ci_u32_e32 v32, vcc_lo, 0, v23, vcc_lo
	s_delay_alu instid0(VALU_DEP_2) | instskip(SKIP_1) | instid1(VALU_DEP_3)
	v_mul_lo_u32 v33, s67, v2
	v_mad_u64_u32 v[23:24], null, s66, v2, 0
	v_mul_lo_u32 v34, s66, v32
	s_delay_alu instid0(VALU_DEP_2) | instskip(NEXT) | instid1(VALU_DEP_2)
	v_sub_co_u32 v23, vcc_lo, v37, v23
	v_add3_u32 v24, v24, v34, v33
	s_delay_alu instid0(VALU_DEP_1) | instskip(NEXT) | instid1(VALU_DEP_1)
	v_sub_nc_u32_e32 v33, v39, v24
	v_subrev_co_ci_u32_e64 v33, s0, s67, v33, vcc_lo
	v_add_co_u32 v34, s0, v2, 2
	s_delay_alu instid0(VALU_DEP_1) | instskip(SKIP_3) | instid1(VALU_DEP_3)
	v_add_co_ci_u32_e64 v35, s0, 0, v32, s0
	v_sub_co_u32 v37, s0, v23, s66
	v_sub_co_ci_u32_e32 v24, vcc_lo, v39, v24, vcc_lo
	v_subrev_co_ci_u32_e64 v33, s0, 0, v33, s0
	v_cmp_le_u32_e32 vcc_lo, s66, v37
	s_delay_alu instid0(VALU_DEP_3) | instskip(SKIP_1) | instid1(VALU_DEP_4)
	v_cmp_eq_u32_e64 s0, s67, v24
	v_cndmask_b32_e64 v37, 0, -1, vcc_lo
	v_cmp_le_u32_e32 vcc_lo, s67, v33
	v_cndmask_b32_e64 v38, 0, -1, vcc_lo
	v_cmp_le_u32_e32 vcc_lo, s66, v23
	;; [unrolled: 2-line block ×3, first 2 shown]
	v_cndmask_b32_e64 v39, 0, -1, vcc_lo
	v_cmp_eq_u32_e32 vcc_lo, s67, v33
	s_delay_alu instid0(VALU_DEP_2) | instskip(SKIP_3) | instid1(VALU_DEP_3)
	v_cndmask_b32_e64 v23, v39, v23, s0
	v_cndmask_b32_e32 v33, v38, v37, vcc_lo
	v_add_co_u32 v37, vcc_lo, v2, 1
	v_add_co_ci_u32_e32 v38, vcc_lo, 0, v32, vcc_lo
	v_cmp_ne_u32_e32 vcc_lo, 0, v33
	s_delay_alu instid0(VALU_DEP_2) | instskip(SKIP_2) | instid1(VALU_DEP_3)
	v_dual_cndmask_b32 v33, v37, v34 :: v_dual_cndmask_b32 v24, v38, v35
	v_cmp_ne_u32_e32 vcc_lo, 0, v23
	v_xor_b32_e32 v34, s64, v36
	v_dual_cndmask_b32 v2, v2, v33 :: v_dual_cndmask_b32 v23, v32, v24
	s_delay_alu instid0(VALU_DEP_1) | instskip(NEXT) | instid1(VALU_DEP_2)
	v_xor_b32_e32 v2, v2, v34
	v_xor_b32_e32 v24, v23, v34
	s_delay_alu instid0(VALU_DEP_2) | instskip(NEXT) | instid1(VALU_DEP_2)
	v_sub_co_u32 v23, vcc_lo, v2, v34
	v_sub_co_ci_u32_e32 v24, vcc_lo, v24, v34, vcc_lo
.LBB31_57:                              ;   in Loop: Header=BB31_3 Depth=1
	s_and_not1_saveexec_b32 s0, s83
	s_cbranch_execz .LBB31_59
; %bb.58:                               ;   in Loop: Header=BB31_3 Depth=1
	v_cvt_f32_u32_e32 v2, s62
	s_sub_i32 s64, 0, s62
	s_delay_alu instid0(VALU_DEP_1) | instskip(SKIP_2) | instid1(VALU_DEP_1)
	v_rcp_iflag_f32_e32 v2, v2
	s_waitcnt_depctr 0xfff
	v_mul_f32_e32 v2, 0x4f7ffffe, v2
	v_cvt_u32_f32_e32 v2, v2
	s_delay_alu instid0(VALU_DEP_1) | instskip(NEXT) | instid1(VALU_DEP_1)
	v_mul_lo_u32 v23, s64, v2
	v_mul_hi_u32 v23, v2, v23
	s_delay_alu instid0(VALU_DEP_1) | instskip(NEXT) | instid1(VALU_DEP_1)
	v_add_nc_u32_e32 v2, v2, v23
	v_mul_hi_u32 v2, v3, v2
	s_delay_alu instid0(VALU_DEP_1) | instskip(SKIP_1) | instid1(VALU_DEP_2)
	v_mul_lo_u32 v23, v2, s62
	v_add_nc_u32_e32 v24, 1, v2
	v_sub_nc_u32_e32 v23, v3, v23
	s_delay_alu instid0(VALU_DEP_1) | instskip(SKIP_1) | instid1(VALU_DEP_2)
	v_subrev_nc_u32_e32 v32, s62, v23
	v_cmp_le_u32_e32 vcc_lo, s62, v23
	v_cndmask_b32_e32 v23, v23, v32, vcc_lo
	v_cndmask_b32_e32 v2, v2, v24, vcc_lo
	s_delay_alu instid0(VALU_DEP_2) | instskip(NEXT) | instid1(VALU_DEP_2)
	v_cmp_le_u32_e32 vcc_lo, s62, v23
	v_add_nc_u32_e32 v24, 1, v2
	s_delay_alu instid0(VALU_DEP_1)
	v_dual_cndmask_b32 v23, v2, v24 :: v_dual_mov_b32 v24, v1
.LBB31_59:                              ;   in Loop: Header=BB31_3 Depth=1
	s_or_b32 exec_lo, exec_lo, s0
	s_delay_alu instid0(VALU_DEP_1) | instskip(NEXT) | instid1(VALU_DEP_2)
	v_mad_u64_u32 v[32:33], null, s80, v23, v[3:4]
	v_mul_lo_u32 v2, s80, v24
	v_mul_lo_u32 v34, s81, v23
	;; [unrolled: 1-line block ×5, first 2 shown]
	s_delay_alu instid0(VALU_DEP_4) | instskip(SKIP_2) | instid1(VALU_DEP_3)
	v_add3_u32 v2, v34, v33, v2
	v_mad_u64_u32 v[33:34], null, v23, s28, 0
	v_mad_u64_u32 v[23:24], null, v32, s30, 0
	v_mul_lo_u32 v2, v2, s30
	s_delay_alu instid0(VALU_DEP_3) | instskip(NEXT) | instid1(VALU_DEP_2)
	v_add3_u32 v34, v34, v36, v35
	v_add3_u32 v24, v24, v37, v2
	s_delay_alu instid0(VALU_DEP_2) | instskip(NEXT) | instid1(VALU_DEP_2)
	v_lshlrev_b64 v[32:33], 1, v[33:34]
	v_lshlrev_b64 v[23:24], 1, v[23:24]
	s_delay_alu instid0(VALU_DEP_2) | instskip(NEXT) | instid1(VALU_DEP_3)
	v_add_co_u32 v2, vcc_lo, s42, v32
	v_add_co_ci_u32_e32 v32, vcc_lo, s43, v33, vcc_lo
	s_delay_alu instid0(VALU_DEP_2) | instskip(NEXT) | instid1(VALU_DEP_2)
	v_add_co_u32 v23, vcc_lo, v2, v23
	v_add_co_ci_u32_e32 v24, vcc_lo, v32, v24, vcc_lo
	global_load_u16 v2, v[23:24], off
	s_waitcnt vmcnt(0)
	v_lshlrev_b32_e32 v2, 16, v2
	s_branch .LBB31_64
.LBB31_60:                              ;   in Loop: Header=BB31_3 Depth=1
	s_ashr_i32 s64, s61, 31
	s_delay_alu instid0(SALU_CYCLE_1) | instskip(SKIP_2) | instid1(SALU_CYCLE_1)
	s_add_u32 s66, s60, s64
	s_mov_b32 s65, s64
	s_addc_u32 s67, s61, s64
	s_xor_b64 s[66:67], s[66:67], s[64:65]
	s_delay_alu instid0(SALU_CYCLE_1) | instskip(SKIP_3) | instid1(VALU_DEP_1)
	v_cvt_f32_u32_e32 v2, s66
	v_cvt_f32_u32_e32 v21, s67
	s_sub_u32 s0, 0, s66
	s_subb_u32 s65, 0, s67
	v_fmac_f32_e32 v2, 0x4f800000, v21
	s_delay_alu instid0(VALU_DEP_1) | instskip(SKIP_2) | instid1(VALU_DEP_1)
	v_rcp_f32_e32 v2, v2
	s_waitcnt_depctr 0xfff
	v_mul_f32_e32 v2, 0x5f7ffffc, v2
	v_mul_f32_e32 v21, 0x2f800000, v2
	s_delay_alu instid0(VALU_DEP_1) | instskip(NEXT) | instid1(VALU_DEP_1)
	v_trunc_f32_e32 v21, v21
	v_fmac_f32_e32 v2, 0xcf800000, v21
	v_cvt_u32_f32_e32 v21, v21
	s_delay_alu instid0(VALU_DEP_2) | instskip(NEXT) | instid1(VALU_DEP_2)
	v_cvt_u32_f32_e32 v2, v2
	v_mul_lo_u32 v22, s0, v21
	s_delay_alu instid0(VALU_DEP_2) | instskip(SKIP_1) | instid1(VALU_DEP_2)
	v_mul_hi_u32 v23, s0, v2
	v_mul_lo_u32 v24, s65, v2
	v_add_nc_u32_e32 v22, v23, v22
	v_mul_lo_u32 v23, s0, v2
	s_delay_alu instid0(VALU_DEP_2) | instskip(NEXT) | instid1(VALU_DEP_2)
	v_add_nc_u32_e32 v22, v22, v24
	v_mul_hi_u32 v24, v2, v23
	s_delay_alu instid0(VALU_DEP_2)
	v_mul_lo_u32 v31, v2, v22
	v_mul_hi_u32 v32, v2, v22
	v_mul_hi_u32 v33, v21, v23
	v_mul_lo_u32 v23, v21, v23
	v_mul_hi_u32 v34, v21, v22
	v_mul_lo_u32 v22, v21, v22
	v_add_co_u32 v24, vcc_lo, v24, v31
	v_add_co_ci_u32_e32 v31, vcc_lo, 0, v32, vcc_lo
	s_delay_alu instid0(VALU_DEP_2) | instskip(NEXT) | instid1(VALU_DEP_2)
	v_add_co_u32 v23, vcc_lo, v24, v23
	v_add_co_ci_u32_e32 v23, vcc_lo, v31, v33, vcc_lo
	v_add_co_ci_u32_e32 v24, vcc_lo, 0, v34, vcc_lo
	v_ashrrev_i32_e32 v33, 31, v4
	s_delay_alu instid0(VALU_DEP_3) | instskip(NEXT) | instid1(VALU_DEP_3)
	v_add_co_u32 v22, vcc_lo, v23, v22
	v_add_co_ci_u32_e32 v23, vcc_lo, 0, v24, vcc_lo
	s_delay_alu instid0(VALU_DEP_2) | instskip(NEXT) | instid1(VALU_DEP_2)
	v_add_co_u32 v2, vcc_lo, v2, v22
	v_add_co_ci_u32_e32 v21, vcc_lo, v21, v23, vcc_lo
	s_delay_alu instid0(VALU_DEP_2) | instskip(SKIP_1) | instid1(VALU_DEP_3)
	v_mul_hi_u32 v22, s0, v2
	v_mul_lo_u32 v24, s65, v2
	v_mul_lo_u32 v23, s0, v21
	s_delay_alu instid0(VALU_DEP_1) | instskip(SKIP_1) | instid1(VALU_DEP_2)
	v_add_nc_u32_e32 v22, v22, v23
	v_mul_lo_u32 v23, s0, v2
	v_add_nc_u32_e32 v22, v22, v24
	s_delay_alu instid0(VALU_DEP_2) | instskip(NEXT) | instid1(VALU_DEP_2)
	v_mul_hi_u32 v24, v2, v23
	v_mul_lo_u32 v31, v2, v22
	v_mul_hi_u32 v32, v2, v22
	v_mul_hi_u32 v34, v21, v23
	v_mul_lo_u32 v23, v21, v23
	v_mul_hi_u32 v35, v21, v22
	v_mul_lo_u32 v22, v21, v22
	v_add_co_u32 v24, vcc_lo, v24, v31
	v_add_co_ci_u32_e32 v31, vcc_lo, 0, v32, vcc_lo
	s_delay_alu instid0(VALU_DEP_2) | instskip(NEXT) | instid1(VALU_DEP_2)
	v_add_co_u32 v23, vcc_lo, v24, v23
	v_add_co_ci_u32_e32 v23, vcc_lo, v31, v34, vcc_lo
	v_add_co_ci_u32_e32 v24, vcc_lo, 0, v35, vcc_lo
	v_add_co_u32 v31, vcc_lo, v3, v33
	v_add_co_ci_u32_e32 v32, vcc_lo, v4, v33, vcc_lo
	s_delay_alu instid0(VALU_DEP_4) | instskip(NEXT) | instid1(VALU_DEP_4)
	v_add_co_u32 v22, vcc_lo, v23, v22
	v_add_co_ci_u32_e32 v23, vcc_lo, 0, v24, vcc_lo
	s_delay_alu instid0(VALU_DEP_4) | instskip(NEXT) | instid1(VALU_DEP_3)
	v_xor_b32_e32 v34, v31, v33
	v_add_co_u32 v2, vcc_lo, v2, v22
	s_delay_alu instid0(VALU_DEP_3) | instskip(SKIP_1) | instid1(VALU_DEP_3)
	v_add_co_ci_u32_e32 v35, vcc_lo, v21, v23, vcc_lo
	v_xor_b32_e32 v36, v32, v33
	v_mul_hi_u32 v37, v34, v2
	s_delay_alu instid0(VALU_DEP_3) | instskip(NEXT) | instid1(VALU_DEP_3)
	v_mad_u64_u32 v[21:22], null, v34, v35, 0
	v_mad_u64_u32 v[23:24], null, v36, v2, 0
	;; [unrolled: 1-line block ×3, first 2 shown]
	s_delay_alu instid0(VALU_DEP_3) | instskip(NEXT) | instid1(VALU_DEP_4)
	v_add_co_u32 v2, vcc_lo, v37, v21
	v_add_co_ci_u32_e32 v21, vcc_lo, 0, v22, vcc_lo
	s_delay_alu instid0(VALU_DEP_2) | instskip(NEXT) | instid1(VALU_DEP_2)
	v_add_co_u32 v2, vcc_lo, v2, v23
	v_add_co_ci_u32_e32 v2, vcc_lo, v21, v24, vcc_lo
	v_add_co_ci_u32_e32 v21, vcc_lo, 0, v32, vcc_lo
	s_delay_alu instid0(VALU_DEP_2) | instskip(NEXT) | instid1(VALU_DEP_2)
	v_add_co_u32 v2, vcc_lo, v2, v31
	v_add_co_ci_u32_e32 v23, vcc_lo, 0, v21, vcc_lo
	s_delay_alu instid0(VALU_DEP_2) | instskip(SKIP_1) | instid1(VALU_DEP_3)
	v_mul_lo_u32 v24, s67, v2
	v_mad_u64_u32 v[21:22], null, s66, v2, 0
	v_mul_lo_u32 v31, s66, v23
	s_delay_alu instid0(VALU_DEP_2) | instskip(NEXT) | instid1(VALU_DEP_2)
	v_sub_co_u32 v21, vcc_lo, v34, v21
	v_add3_u32 v22, v22, v31, v24
	s_delay_alu instid0(VALU_DEP_1) | instskip(NEXT) | instid1(VALU_DEP_1)
	v_sub_nc_u32_e32 v24, v36, v22
	v_subrev_co_ci_u32_e64 v24, s0, s67, v24, vcc_lo
	v_add_co_u32 v31, s0, v2, 2
	s_delay_alu instid0(VALU_DEP_1) | instskip(SKIP_3) | instid1(VALU_DEP_3)
	v_add_co_ci_u32_e64 v32, s0, 0, v23, s0
	v_sub_co_u32 v34, s0, v21, s66
	v_sub_co_ci_u32_e32 v22, vcc_lo, v36, v22, vcc_lo
	v_subrev_co_ci_u32_e64 v24, s0, 0, v24, s0
	v_cmp_le_u32_e32 vcc_lo, s66, v34
	s_delay_alu instid0(VALU_DEP_3) | instskip(SKIP_1) | instid1(VALU_DEP_4)
	v_cmp_eq_u32_e64 s0, s67, v22
	v_cndmask_b32_e64 v34, 0, -1, vcc_lo
	v_cmp_le_u32_e32 vcc_lo, s67, v24
	v_cndmask_b32_e64 v35, 0, -1, vcc_lo
	v_cmp_le_u32_e32 vcc_lo, s66, v21
	;; [unrolled: 2-line block ×3, first 2 shown]
	v_cndmask_b32_e64 v36, 0, -1, vcc_lo
	v_cmp_eq_u32_e32 vcc_lo, s67, v24
	s_delay_alu instid0(VALU_DEP_2) | instskip(SKIP_3) | instid1(VALU_DEP_3)
	v_cndmask_b32_e64 v21, v36, v21, s0
	v_cndmask_b32_e32 v24, v35, v34, vcc_lo
	v_add_co_u32 v34, vcc_lo, v2, 1
	v_add_co_ci_u32_e32 v35, vcc_lo, 0, v23, vcc_lo
	v_cmp_ne_u32_e32 vcc_lo, 0, v24
	s_delay_alu instid0(VALU_DEP_2) | instskip(NEXT) | instid1(VALU_DEP_4)
	v_cndmask_b32_e32 v22, v35, v32, vcc_lo
	v_cndmask_b32_e32 v24, v34, v31, vcc_lo
	v_cmp_ne_u32_e32 vcc_lo, 0, v21
	v_xor_b32_e32 v31, s64, v33
	s_delay_alu instid0(VALU_DEP_3) | instskip(NEXT) | instid1(VALU_DEP_1)
	v_dual_cndmask_b32 v2, v2, v24 :: v_dual_cndmask_b32 v21, v23, v22
	v_xor_b32_e32 v2, v2, v31
	s_delay_alu instid0(VALU_DEP_2) | instskip(NEXT) | instid1(VALU_DEP_2)
	v_xor_b32_e32 v22, v21, v31
	v_sub_co_u32 v21, vcc_lo, v2, v31
	s_delay_alu instid0(VALU_DEP_2)
	v_sub_co_ci_u32_e32 v22, vcc_lo, v22, v31, vcc_lo
	s_and_not1_saveexec_b32 s0, s83
	s_cbranch_execz .LBB31_49
.LBB31_61:                              ;   in Loop: Header=BB31_3 Depth=1
	v_cvt_f32_u32_e32 v2, s60
	s_sub_i32 s64, 0, s60
	s_delay_alu instid0(VALU_DEP_1) | instskip(SKIP_2) | instid1(VALU_DEP_1)
	v_rcp_iflag_f32_e32 v2, v2
	s_waitcnt_depctr 0xfff
	v_mul_f32_e32 v2, 0x4f7ffffe, v2
	v_cvt_u32_f32_e32 v2, v2
	s_delay_alu instid0(VALU_DEP_1) | instskip(NEXT) | instid1(VALU_DEP_1)
	v_mul_lo_u32 v21, s64, v2
	v_mul_hi_u32 v21, v2, v21
	s_delay_alu instid0(VALU_DEP_1) | instskip(NEXT) | instid1(VALU_DEP_1)
	v_add_nc_u32_e32 v2, v2, v21
	v_mul_hi_u32 v2, v3, v2
	s_delay_alu instid0(VALU_DEP_1) | instskip(SKIP_1) | instid1(VALU_DEP_2)
	v_mul_lo_u32 v21, v2, s60
	v_add_nc_u32_e32 v22, 1, v2
	v_sub_nc_u32_e32 v21, v3, v21
	s_delay_alu instid0(VALU_DEP_1) | instskip(SKIP_1) | instid1(VALU_DEP_2)
	v_subrev_nc_u32_e32 v23, s60, v21
	v_cmp_le_u32_e32 vcc_lo, s60, v21
	v_dual_cndmask_b32 v21, v21, v23 :: v_dual_cndmask_b32 v2, v2, v22
	s_delay_alu instid0(VALU_DEP_1) | instskip(NEXT) | instid1(VALU_DEP_2)
	v_cmp_le_u32_e32 vcc_lo, s60, v21
	v_add_nc_u32_e32 v22, 1, v2
	s_delay_alu instid0(VALU_DEP_1) | instskip(SKIP_1) | instid1(SALU_CYCLE_1)
	v_dual_cndmask_b32 v21, v2, v22 :: v_dual_mov_b32 v22, v1
	s_or_b32 exec_lo, exec_lo, s0
	s_and_not1_b32 vcc_lo, exec_lo, s33
	s_cbranch_vccz .LBB31_50
.LBB31_62:                              ;   in Loop: Header=BB31_3 Depth=1
	v_mov_b32_e32 v31, 0
	s_and_not1_b32 vcc_lo, exec_lo, s1
	s_cbranch_vccz .LBB31_55
.LBB31_63:                              ;   in Loop: Header=BB31_3 Depth=1
	v_mov_b32_e32 v2, 0
.LBB31_64:                              ;   in Loop: Header=BB31_3 Depth=1
	s_waitcnt vmcnt(0)
	v_lshlrev_b32_e32 v23, 16, v30
                                        ; implicit-def: $vgpr24
	s_delay_alu instid0(VALU_DEP_1) | instskip(NEXT) | instid1(VALU_DEP_1)
	v_cmp_ngt_f32_e64 s0, 0x3f200000, |v23|
	s_and_saveexec_b32 s64, s0
	s_delay_alu instid0(SALU_CYCLE_1)
	s_xor_b32 s0, exec_lo, s64
	s_cbranch_execz .LBB31_66
; %bb.65:                               ;   in Loop: Header=BB31_3 Depth=1
	v_add_f32_e64 v24, |v23|, |v23|
	s_delay_alu instid0(VALU_DEP_1) | instskip(SKIP_1) | instid1(VALU_DEP_2)
	v_mul_f32_e32 v30, 0x3fb8aa3b, v24
	v_cmp_ngt_f32_e32 vcc_lo, 0xc2ce8ed0, v24
	v_rndne_f32_e32 v32, v30
	v_fma_f32 v33, 0x3fb8aa3b, v24, -v30
	s_delay_alu instid0(VALU_DEP_2) | instskip(NEXT) | instid1(VALU_DEP_2)
	v_sub_f32_e32 v30, v30, v32
	v_fmac_f32_e32 v33, 0x32a5705f, v24
	v_cvt_i32_f32_e32 v32, v32
	s_delay_alu instid0(VALU_DEP_2) | instskip(NEXT) | instid1(VALU_DEP_1)
	v_add_f32_e32 v30, v30, v33
	v_exp_f32_e32 v30, v30
	s_waitcnt_depctr 0xfff
	v_ldexp_f32 v30, v30, v32
	s_delay_alu instid0(VALU_DEP_1) | instskip(SKIP_1) | instid1(VALU_DEP_2)
	v_cndmask_b32_e32 v30, 0, v30, vcc_lo
	v_cmp_nlt_f32_e32 vcc_lo, 0x42b17218, v24
	v_cndmask_b32_e32 v24, 0x7f800000, v30, vcc_lo
	s_delay_alu instid0(VALU_DEP_1) | instskip(NEXT) | instid1(VALU_DEP_1)
	v_add_f32_e32 v24, 1.0, v24
	v_rcp_f32_e32 v24, v24
	s_waitcnt_depctr 0xfff
	v_fma_f32 v24, v24, -2.0, 1.0
.LBB31_66:                              ;   in Loop: Header=BB31_3 Depth=1
	s_and_not1_saveexec_b32 s0, s0
	s_cbranch_execz .LBB31_2
; %bb.67:                               ;   in Loop: Header=BB31_3 Depth=1
	v_mul_f32_e32 v24, v23, v23
	s_delay_alu instid0(VALU_DEP_1) | instskip(NEXT) | instid1(VALU_DEP_1)
	v_fmaak_f32 v30, s82, v24, 0x3ca908c9
	v_fmaak_f32 v30, v24, v30, 0xbd5c1c4e
	s_delay_alu instid0(VALU_DEP_1) | instskip(NEXT) | instid1(VALU_DEP_1)
	v_fmaak_f32 v30, v24, v30, 0x3e088382
	v_fmaak_f32 v30, v24, v30, 0xbeaaaa99
	s_delay_alu instid0(VALU_DEP_1) | instskip(NEXT) | instid1(VALU_DEP_1)
	v_mul_f32_e64 v30, |v23|, v30
	v_fma_f32 v24, v24, v30, |v23|
	s_branch .LBB31_2
.LBB31_68:
	s_nop 0
	s_sendmsg sendmsg(MSG_DEALLOC_VGPRS)
	s_endpgm
	.section	.rodata,"a",@progbits
	.p2align	6, 0x0
	.amdhsa_kernel _ZN2at6native12_GLOBAL__N_16kernel18lstm_cell_backwardIN3c108BFloat16EflLi2EEEvNS_4cuda6detail10TensorInfoIT_T1_EESB_SB_SB_SB_SB_SB_SA_SA_
		.amdhsa_group_segment_fixed_size 0
		.amdhsa_private_segment_fixed_size 0
		.amdhsa_kernarg_size 3184
		.amdhsa_user_sgpr_count 15
		.amdhsa_user_sgpr_dispatch_ptr 0
		.amdhsa_user_sgpr_queue_ptr 0
		.amdhsa_user_sgpr_kernarg_segment_ptr 1
		.amdhsa_user_sgpr_dispatch_id 0
		.amdhsa_user_sgpr_private_segment_size 0
		.amdhsa_wavefront_size32 1
		.amdhsa_uses_dynamic_stack 0
		.amdhsa_enable_private_segment 0
		.amdhsa_system_sgpr_workgroup_id_x 1
		.amdhsa_system_sgpr_workgroup_id_y 0
		.amdhsa_system_sgpr_workgroup_id_z 0
		.amdhsa_system_sgpr_workgroup_info 0
		.amdhsa_system_vgpr_workitem_id 0
		.amdhsa_next_free_vgpr 43
		.amdhsa_next_free_sgpr 84
		.amdhsa_reserve_vcc 1
		.amdhsa_float_round_mode_32 0
		.amdhsa_float_round_mode_16_64 0
		.amdhsa_float_denorm_mode_32 3
		.amdhsa_float_denorm_mode_16_64 3
		.amdhsa_dx10_clamp 1
		.amdhsa_ieee_mode 1
		.amdhsa_fp16_overflow 0
		.amdhsa_workgroup_processor_mode 1
		.amdhsa_memory_ordered 1
		.amdhsa_forward_progress 0
		.amdhsa_shared_vgpr_count 0
		.amdhsa_exception_fp_ieee_invalid_op 0
		.amdhsa_exception_fp_denorm_src 0
		.amdhsa_exception_fp_ieee_div_zero 0
		.amdhsa_exception_fp_ieee_overflow 0
		.amdhsa_exception_fp_ieee_underflow 0
		.amdhsa_exception_fp_ieee_inexact 0
		.amdhsa_exception_int_div_zero 0
	.end_amdhsa_kernel
	.section	.text._ZN2at6native12_GLOBAL__N_16kernel18lstm_cell_backwardIN3c108BFloat16EflLi2EEEvNS_4cuda6detail10TensorInfoIT_T1_EESB_SB_SB_SB_SB_SB_SA_SA_,"axG",@progbits,_ZN2at6native12_GLOBAL__N_16kernel18lstm_cell_backwardIN3c108BFloat16EflLi2EEEvNS_4cuda6detail10TensorInfoIT_T1_EESB_SB_SB_SB_SB_SB_SA_SA_,comdat
.Lfunc_end31:
	.size	_ZN2at6native12_GLOBAL__N_16kernel18lstm_cell_backwardIN3c108BFloat16EflLi2EEEvNS_4cuda6detail10TensorInfoIT_T1_EESB_SB_SB_SB_SB_SB_SA_SA_, .Lfunc_end31-_ZN2at6native12_GLOBAL__N_16kernel18lstm_cell_backwardIN3c108BFloat16EflLi2EEEvNS_4cuda6detail10TensorInfoIT_T1_EESB_SB_SB_SB_SB_SB_SA_SA_
                                        ; -- End function
	.section	.AMDGPU.csdata,"",@progbits
; Kernel info:
; codeLenInByte = 17528
; NumSgprs: 86
; NumVgprs: 43
; ScratchSize: 0
; MemoryBound: 0
; FloatMode: 240
; IeeeMode: 1
; LDSByteSize: 0 bytes/workgroup (compile time only)
; SGPRBlocks: 10
; VGPRBlocks: 5
; NumSGPRsForWavesPerEU: 86
; NumVGPRsForWavesPerEU: 43
; Occupancy: 16
; WaveLimiterHint : 1
; COMPUTE_PGM_RSRC2:SCRATCH_EN: 0
; COMPUTE_PGM_RSRC2:USER_SGPR: 15
; COMPUTE_PGM_RSRC2:TRAP_HANDLER: 0
; COMPUTE_PGM_RSRC2:TGID_X_EN: 1
; COMPUTE_PGM_RSRC2:TGID_Y_EN: 0
; COMPUTE_PGM_RSRC2:TGID_Z_EN: 0
; COMPUTE_PGM_RSRC2:TIDIG_COMP_CNT: 0
	.section	.text._ZN2at6native12_GLOBAL__N_16kernel16gru_cell_forwardIddiLi1EEEvNS_4cuda6detail10TensorInfoIT_T1_EES9_S9_S9_S9_S9_S9_S8_S8_,"axG",@progbits,_ZN2at6native12_GLOBAL__N_16kernel16gru_cell_forwardIddiLi1EEEvNS_4cuda6detail10TensorInfoIT_T1_EES9_S9_S9_S9_S9_S9_S8_S8_,comdat
	.globl	_ZN2at6native12_GLOBAL__N_16kernel16gru_cell_forwardIddiLi1EEEvNS_4cuda6detail10TensorInfoIT_T1_EES9_S9_S9_S9_S9_S9_S8_S8_ ; -- Begin function _ZN2at6native12_GLOBAL__N_16kernel16gru_cell_forwardIddiLi1EEEvNS_4cuda6detail10TensorInfoIT_T1_EES9_S9_S9_S9_S9_S9_S8_S8_
	.p2align	8
	.type	_ZN2at6native12_GLOBAL__N_16kernel16gru_cell_forwardIddiLi1EEEvNS_4cuda6detail10TensorInfoIT_T1_EES9_S9_S9_S9_S9_S9_S8_S8_,@function
_ZN2at6native12_GLOBAL__N_16kernel16gru_cell_forwardIddiLi1EEEvNS_4cuda6detail10TensorInfoIT_T1_EES9_S9_S9_S9_S9_S9_S8_S8_: ; @_ZN2at6native12_GLOBAL__N_16kernel16gru_cell_forwardIddiLi1EEEvNS_4cuda6detail10TensorInfoIT_T1_EES9_S9_S9_S9_S9_S9_S8_S8_
; %bb.0:
	s_clause 0x1
	s_load_b32 s4, s[0:1], 0x5fc
	s_load_b64 s[2:3], s[0:1], 0x5e8
	s_add_u32 s18, s0, 0x5f0
	s_addc_u32 s19, s1, 0
	s_waitcnt lgkmcnt(0)
	s_and_b32 s48, s4, 0xffff
	s_mov_b32 s4, exec_lo
	v_mad_u64_u32 v[1:2], null, s15, s48, v[0:1]
	s_delay_alu instid0(VALU_DEP_1)
	v_cmpx_gt_i32_e64 s3, v1
	s_cbranch_execz .LBB32_5
; %bb.1:
	s_clause 0xd
	s_load_b64 s[4:5], s[0:1], 0x1b0
	s_load_b64 s[6:7], s[0:1], 0x0
	s_load_b32 s33, s[0:1], 0x6c
	s_load_b64 s[8:9], s[0:1], 0xd8
	s_load_b32 s54, s[0:1], 0x144
	s_load_b32 s55, s[0:1], 0x21c
	s_load_b64 s[10:11], s[0:1], 0x288
	s_load_b32 s56, s[0:1], 0x2f4
	s_load_b64 s[12:13], s[0:1], 0x360
	;; [unrolled: 2-line block ×4, first 2 shown]
	s_load_b32 s1, s[0:1], 0x57c
	s_load_b32 s60, s[18:19], 0x0
	s_mov_b32 s18, 0x652b82fe
	s_mov_b32 s20, 0x652b82fe
	;; [unrolled: 1-line block ×5, first 2 shown]
	s_waitcnt lgkmcnt(0)
	s_cmp_lg_u64 s[4:5], 0
	s_mov_b32 s28, 0x623fde64
	s_cselect_b32 s58, -1, 0
	s_abs_i32 s59, s2
	s_mov_b32 s30, 0x7c89e6b0
	v_cvt_f32_u32_e32 v0, s59
	s_sub_i32 s0, 0, s59
	s_mov_b32 s34, 0x14761f6e
	s_mov_b32 s36, 0x1852b7b0
	v_mul_lo_u32 v2, v1, s49
	v_rcp_iflag_f32_e32 v0, v0
	v_mul_lo_u32 v4, v1, s50
	s_mov_b32 s38, 0x11122322
	s_mov_b32 s40, 0x555502a1
	s_mul_i32 s60, s60, s48
	s_mov_b32 s42, 0x55555511
	s_mul_i32 s66, s60, s50
	s_mov_b32 s50, 0xfefa3000
	s_mov_b32 s51, 0xbfe62e42
	;; [unrolled: 1-line block ×3, first 2 shown]
	s_waitcnt_depctr 0xfff
	v_mul_f32_e32 v0, 0x4f7ffffe, v0
	s_mov_b32 s46, 0xf278e000
	s_mul_i32 s65, s60, s49
	s_mov_b32 s48, 0xf97b57a0
	s_mov_b32 s57, 0
	v_cvt_u32_f32_e32 v0, v0
	s_mov_b32 s19, 0xbff71547
	s_mov_b32 s21, 0x3ff71547
	;; [unrolled: 1-line block ×4, first 2 shown]
	v_mul_lo_u32 v3, s0, v0
	s_mov_b32 s27, 0x3e5ade15
	s_mov_b32 s29, 0x3ec71dee
	;; [unrolled: 1-line block ×7, first 2 shown]
	v_mul_hi_u32 v3, v0, v3
	s_mov_b32 s43, 0x3fc55555
	s_mov_b32 s45, 0x3fe00000
	;; [unrolled: 1-line block ×3, first 2 shown]
	s_ashr_i32 s61, s2, 31
	s_lshl_b32 s62, s2, 1
	s_lshl_b32 s63, s2, 2
	s_sub_i32 s64, 0, s2
	v_add_nc_u32_e32 v0, v0, v3
	s_mov_b32 s49, 0xbac9cc01
	s_mov_b32 s52, 0xfefa39ef
	;; [unrolled: 1-line block ×3, first 2 shown]
	s_branch .LBB32_3
.LBB32_2:                               ;   in Loop: Header=BB32_3 Depth=1
	s_waitcnt vmcnt(3)
	v_add_f64 v[20:21], v[20:21], v[22:23]
	v_add_f64 v[16:17], v[16:17], v[24:25]
	s_waitcnt vmcnt(0)
	v_add_f64 v[18:19], v[18:19], v[26:27]
	v_add_f64 v[8:9], v[8:9], v[10:11]
	s_delay_alu instid0(VALU_DEP_4) | instskip(NEXT) | instid1(VALU_DEP_2)
	v_add_f64 v[20:21], v[20:21], v[30:31]
	v_add_f64 v[8:9], v[8:9], v[12:13]
	s_delay_alu instid0(VALU_DEP_2) | instskip(NEXT) | instid1(VALU_DEP_2)
	v_add_f64 v[20:21], v[28:29], v[20:21]
	v_add_f64 v[8:9], v[8:9], v[14:15]
	s_delay_alu instid0(VALU_DEP_2) | instskip(SKIP_1) | instid1(VALU_DEP_2)
	v_mul_f64 v[22:23], v[20:21], s[18:19]
	v_cmp_nlt_f64_e64 s0, 0x4090cc00, v[20:21]
	v_rndne_f64_e32 v[22:23], v[22:23]
	s_delay_alu instid0(VALU_DEP_1) | instskip(SKIP_1) | instid1(VALU_DEP_2)
	v_fma_f64 v[28:29], v[22:23], s[52:53], -v[20:21]
	v_cvt_i32_f64_e32 v3, v[22:23]
	v_fma_f64 v[28:29], v[22:23], s[22:23], v[28:29]
	s_delay_alu instid0(VALU_DEP_1) | instskip(NEXT) | instid1(VALU_DEP_1)
	v_fma_f64 v[30:31], v[28:29], s[26:27], s[24:25]
	v_fma_f64 v[30:31], v[28:29], v[30:31], s[28:29]
	s_delay_alu instid0(VALU_DEP_1) | instskip(NEXT) | instid1(VALU_DEP_1)
	v_fma_f64 v[30:31], v[28:29], v[30:31], s[30:31]
	;; [unrolled: 3-line block ×5, first 2 shown]
	v_fma_f64 v[30:31], v[28:29], v[30:31], 1.0
	s_delay_alu instid0(VALU_DEP_1) | instskip(NEXT) | instid1(VALU_DEP_1)
	v_fma_f64 v[22:23], v[28:29], v[30:31], 1.0
	v_ldexp_f64 v[22:23], v[22:23], v3
	s_delay_alu instid0(VALU_DEP_1) | instskip(NEXT) | instid1(VALU_DEP_1)
	v_add_f64 v[22:23], v[22:23], 1.0
	v_div_scale_f64 v[28:29], null, v[22:23], v[22:23], 1.0
	v_div_scale_f64 v[36:37], vcc_lo, 1.0, v[22:23], 1.0
	s_delay_alu instid0(VALU_DEP_2) | instskip(SKIP_2) | instid1(VALU_DEP_1)
	v_rcp_f64_e32 v[30:31], v[28:29]
	s_waitcnt_depctr 0xfff
	v_fma_f64 v[34:35], -v[28:29], v[30:31], 1.0
	v_fma_f64 v[30:31], v[30:31], v[34:35], v[30:31]
	s_delay_alu instid0(VALU_DEP_1) | instskip(NEXT) | instid1(VALU_DEP_1)
	v_fma_f64 v[34:35], -v[28:29], v[30:31], 1.0
	v_fma_f64 v[30:31], v[30:31], v[34:35], v[30:31]
	s_delay_alu instid0(VALU_DEP_1) | instskip(NEXT) | instid1(VALU_DEP_1)
	v_mul_f64 v[34:35], v[36:37], v[30:31]
	v_fma_f64 v[28:29], -v[28:29], v[34:35], v[36:37]
	s_delay_alu instid0(VALU_DEP_1) | instskip(SKIP_1) | instid1(VALU_DEP_2)
	v_div_fmas_f64 v[28:29], v[28:29], v[30:31], v[34:35]
	v_cmp_ngt_f64_e32 vcc_lo, 0xc0900000, v[20:21]
	v_div_fixup_f64 v[22:23], v[28:29], v[22:23], 1.0
	s_delay_alu instid0(VALU_DEP_1) | instskip(SKIP_1) | instid1(VALU_DEP_2)
	v_cndmask_b32_e32 v3, 0, v23, vcc_lo
	s_and_b32 vcc_lo, s0, vcc_lo
	v_cndmask_b32_e32 v20, 0, v22, vcc_lo
	s_delay_alu instid0(VALU_DEP_2) | instskip(NEXT) | instid1(VALU_DEP_1)
	v_cndmask_b32_e64 v21, 0x3ff00000, v3, s0
	v_fma_f64 v[16:17], v[18:19], v[20:21], v[16:17]
	s_delay_alu instid0(VALU_DEP_1) | instskip(SKIP_1) | instid1(VALU_DEP_2)
	v_mul_f64 v[22:23], |v[16:17]|, s[20:21]
	v_cmp_nlt_f64_e64 s0, 0x40331000, |v[16:17]|
	v_rndne_f64_e32 v[22:23], v[22:23]
	s_delay_alu instid0(VALU_DEP_1) | instskip(SKIP_2) | instid1(VALU_DEP_3)
	v_fma_f64 v[24:25], v[22:23], s[50:51], |v[16:17]|
	v_mul_f64 v[26:27], v[22:23], s[46:47]
	v_cvt_i32_f64_e32 v3, v[22:23]
	v_add_f64 v[28:29], v[24:25], 0
	s_delay_alu instid0(VALU_DEP_1) | instskip(SKIP_1) | instid1(VALU_DEP_2)
	v_add_f64 v[30:31], v[28:29], v[26:27]
	v_add_f64 v[24:25], v[24:25], -v[28:29]
	v_add_f64 v[28:29], v[28:29], -v[30:31]
	s_delay_alu instid0(VALU_DEP_2) | instskip(NEXT) | instid1(VALU_DEP_2)
	v_add_f64 v[24:25], v[24:25], 0
	v_add_f64 v[26:27], v[28:29], v[26:27]
	s_delay_alu instid0(VALU_DEP_1) | instskip(SKIP_1) | instid1(VALU_DEP_2)
	v_add_f64 v[24:25], v[24:25], v[26:27]
	v_mul_f64 v[26:27], v[22:23], s[48:49]
	v_add_f64 v[28:29], v[30:31], v[24:25]
	s_delay_alu instid0(VALU_DEP_1) | instskip(SKIP_1) | instid1(VALU_DEP_2)
	v_add_f64 v[34:35], v[28:29], v[26:27]
	v_add_f64 v[30:31], v[30:31], -v[28:29]
	v_add_f64 v[28:29], v[28:29], -v[34:35]
	s_delay_alu instid0(VALU_DEP_2) | instskip(NEXT) | instid1(VALU_DEP_2)
	v_add_f64 v[24:25], v[24:25], v[30:31]
	v_add_f64 v[26:27], v[28:29], v[26:27]
	s_delay_alu instid0(VALU_DEP_1) | instskip(NEXT) | instid1(VALU_DEP_1)
	v_add_f64 v[24:25], v[24:25], v[26:27]
	v_add_f64 v[26:27], v[34:35], v[24:25]
	s_delay_alu instid0(VALU_DEP_1) | instskip(SKIP_2) | instid1(VALU_DEP_3)
	v_fma_f64 v[28:29], v[26:27], s[26:27], s[24:25]
	v_add_f64 v[30:31], v[34:35], -v[26:27]
	v_mul_f64 v[34:35], v[26:27], v[26:27]
	v_fma_f64 v[28:29], v[26:27], v[28:29], s[28:29]
	s_delay_alu instid0(VALU_DEP_3) | instskip(NEXT) | instid1(VALU_DEP_3)
	v_add_f64 v[24:25], v[24:25], v[30:31]
	v_fma_f64 v[30:31], v[26:27], v[26:27], -v[34:35]
	s_delay_alu instid0(VALU_DEP_3) | instskip(NEXT) | instid1(VALU_DEP_3)
	v_fma_f64 v[28:29], v[26:27], v[28:29], s[30:31]
	v_add_f64 v[36:37], v[24:25], v[24:25]
	s_delay_alu instid0(VALU_DEP_2) | instskip(NEXT) | instid1(VALU_DEP_2)
	v_fma_f64 v[28:29], v[26:27], v[28:29], s[34:35]
	v_fma_f64 v[30:31], v[26:27], v[36:37], v[30:31]
	s_delay_alu instid0(VALU_DEP_2) | instskip(NEXT) | instid1(VALU_DEP_2)
	v_fma_f64 v[28:29], v[26:27], v[28:29], s[36:37]
	v_add_f64 v[36:37], v[34:35], v[30:31]
	s_delay_alu instid0(VALU_DEP_2) | instskip(NEXT) | instid1(VALU_DEP_2)
	v_fma_f64 v[28:29], v[26:27], v[28:29], s[38:39]
	v_add_f64 v[34:35], v[36:37], -v[34:35]
	s_delay_alu instid0(VALU_DEP_2) | instskip(NEXT) | instid1(VALU_DEP_2)
	v_fma_f64 v[28:29], v[26:27], v[28:29], s[40:41]
	v_add_f64 v[30:31], v[30:31], -v[34:35]
	s_delay_alu instid0(VALU_DEP_2) | instskip(NEXT) | instid1(VALU_DEP_1)
	v_fma_f64 v[28:29], v[26:27], v[28:29], s[42:43]
	v_fma_f64 v[28:29], v[26:27], v[28:29], s[44:45]
	s_delay_alu instid0(VALU_DEP_1) | instskip(NEXT) | instid1(VALU_DEP_1)
	v_mul_f64 v[38:39], v[36:37], v[28:29]
	v_fma_f64 v[34:35], v[36:37], v[28:29], -v[38:39]
	s_delay_alu instid0(VALU_DEP_1) | instskip(NEXT) | instid1(VALU_DEP_1)
	v_fma_f64 v[28:29], v[30:31], v[28:29], v[34:35]
	v_add_f64 v[30:31], v[38:39], v[28:29]
	s_delay_alu instid0(VALU_DEP_1) | instskip(SKIP_1) | instid1(VALU_DEP_2)
	v_add_f64 v[34:35], v[26:27], v[30:31]
	v_add_f64 v[36:37], v[30:31], -v[38:39]
	v_add_f64 v[26:27], v[34:35], -v[26:27]
	s_delay_alu instid0(VALU_DEP_2) | instskip(NEXT) | instid1(VALU_DEP_2)
	v_add_f64 v[28:29], v[28:29], -v[36:37]
	v_add_f64 v[26:27], v[30:31], -v[26:27]
	s_delay_alu instid0(VALU_DEP_2) | instskip(NEXT) | instid1(VALU_DEP_1)
	v_add_f64 v[24:25], v[24:25], v[28:29]
	v_add_f64 v[24:25], v[24:25], v[26:27]
	s_delay_alu instid0(VALU_DEP_1) | instskip(NEXT) | instid1(VALU_DEP_1)
	v_add_f64 v[26:27], v[34:35], v[24:25]
	v_add_f64 v[28:29], v[26:27], 1.0
	v_add_f64 v[30:31], v[26:27], -v[34:35]
	s_delay_alu instid0(VALU_DEP_2) | instskip(NEXT) | instid1(VALU_DEP_2)
	v_add_f64 v[34:35], v[28:29], -1.0
	v_add_f64 v[24:25], v[24:25], -v[30:31]
	s_delay_alu instid0(VALU_DEP_2) | instskip(NEXT) | instid1(VALU_DEP_1)
	v_add_f64 v[26:27], v[26:27], -v[34:35]
	v_add_f64 v[24:25], v[24:25], v[26:27]
	s_delay_alu instid0(VALU_DEP_1) | instskip(NEXT) | instid1(VALU_DEP_1)
	v_add_f64 v[22:23], v[28:29], v[24:25]
	v_ldexp_f64 v[26:27], v[22:23], v3
	v_add_f64 v[22:23], v[22:23], -v[28:29]
	s_delay_alu instid0(VALU_DEP_2) | instskip(NEXT) | instid1(VALU_DEP_1)
	v_rcp_f64_e32 v[30:31], v[26:27]
	v_add_f64 v[22:23], v[24:25], -v[22:23]
	s_delay_alu instid0(VALU_DEP_1) | instskip(SKIP_2) | instid1(VALU_DEP_1)
	v_ldexp_f64 v[22:23], v[22:23], v3
	s_waitcnt_depctr 0xfff
	v_fma_f64 v[34:35], -v[26:27], v[30:31], 1.0
	v_fma_f64 v[30:31], v[34:35], v[30:31], v[30:31]
	s_delay_alu instid0(VALU_DEP_1) | instskip(NEXT) | instid1(VALU_DEP_1)
	v_fma_f64 v[34:35], -v[26:27], v[30:31], 1.0
	v_fma_f64 v[28:29], v[34:35], v[30:31], v[30:31]
	s_delay_alu instid0(VALU_DEP_1) | instskip(NEXT) | instid1(VALU_DEP_1)
	v_mul_f64 v[24:25], v[26:27], v[28:29]
	v_fma_f64 v[30:31], v[28:29], v[26:27], -v[24:25]
	s_delay_alu instid0(VALU_DEP_1) | instskip(NEXT) | instid1(VALU_DEP_1)
	v_fma_f64 v[30:31], v[28:29], v[22:23], v[30:31]
	v_add_f64 v[34:35], v[24:25], v[30:31]
	s_delay_alu instid0(VALU_DEP_1) | instskip(SKIP_1) | instid1(VALU_DEP_2)
	v_add_f64 v[36:37], -v[34:35], 1.0
	v_add_f64 v[24:25], v[34:35], -v[24:25]
	v_add_f64 v[38:39], -v[36:37], 1.0
	s_delay_alu instid0(VALU_DEP_2) | instskip(NEXT) | instid1(VALU_DEP_2)
	v_add_f64 v[24:25], v[24:25], -v[30:31]
	v_add_f64 v[30:31], v[38:39], -v[34:35]
	s_delay_alu instid0(VALU_DEP_1) | instskip(NEXT) | instid1(VALU_DEP_1)
	v_add_f64 v[24:25], v[24:25], v[30:31]
	v_add_f64 v[30:31], v[36:37], v[24:25]
	s_delay_alu instid0(VALU_DEP_1) | instskip(SKIP_1) | instid1(VALU_DEP_2)
	v_mul_f64 v[34:35], v[28:29], v[30:31]
	v_add_f64 v[36:37], v[36:37], -v[30:31]
	v_mul_f64 v[38:39], v[26:27], v[34:35]
	s_delay_alu instid0(VALU_DEP_2) | instskip(SKIP_1) | instid1(VALU_DEP_3)
	v_add_f64 v[24:25], v[24:25], v[36:37]
	v_add_f64 v[10:11], v[28:29], v[34:35]
	v_fma_f64 v[40:41], v[34:35], v[26:27], -v[38:39]
	s_delay_alu instid0(VALU_DEP_2) | instskip(NEXT) | instid1(VALU_DEP_2)
	v_add_f64 v[12:13], v[10:11], -v[28:29]
	v_fma_f64 v[40:41], v[34:35], v[22:23], v[40:41]
	s_delay_alu instid0(VALU_DEP_2) | instskip(NEXT) | instid1(VALU_DEP_2)
	v_add_f64 v[12:13], v[34:35], -v[12:13]
	v_add_f64 v[42:43], v[38:39], v[40:41]
	s_delay_alu instid0(VALU_DEP_1) | instskip(SKIP_1) | instid1(VALU_DEP_2)
	v_add_f64 v[44:45], v[30:31], -v[42:43]
	v_add_f64 v[36:37], v[42:43], -v[38:39]
	;; [unrolled: 1-line block ×3, first 2 shown]
	s_delay_alu instid0(VALU_DEP_2) | instskip(NEXT) | instid1(VALU_DEP_2)
	v_add_f64 v[36:37], v[36:37], -v[40:41]
	v_add_f64 v[30:31], v[30:31], -v[42:43]
	s_delay_alu instid0(VALU_DEP_1) | instskip(NEXT) | instid1(VALU_DEP_1)
	v_add_f64 v[24:25], v[24:25], v[30:31]
	v_add_f64 v[24:25], v[36:37], v[24:25]
	s_delay_alu instid0(VALU_DEP_1) | instskip(NEXT) | instid1(VALU_DEP_1)
	v_add_f64 v[24:25], v[44:45], v[24:25]
	v_mul_f64 v[14:15], v[28:29], v[24:25]
	v_mul_f64 v[24:25], v[8:9], s[18:19]
	s_delay_alu instid0(VALU_DEP_2) | instskip(NEXT) | instid1(VALU_DEP_2)
	v_add_f64 v[12:13], v[12:13], v[14:15]
	v_rndne_f64_e32 v[14:15], v[24:25]
	s_delay_alu instid0(VALU_DEP_2) | instskip(NEXT) | instid1(VALU_DEP_2)
	v_add_f64 v[24:25], v[10:11], v[12:13]
	v_fma_f64 v[28:29], v[14:15], s[52:53], -v[8:9]
	v_cvt_i32_f64_e32 v3, v[14:15]
	s_delay_alu instid0(VALU_DEP_3) | instskip(SKIP_1) | instid1(VALU_DEP_4)
	v_add_f64 v[30:31], v[26:27], v[24:25]
	v_add_f64 v[10:11], v[24:25], -v[10:11]
	v_fma_f64 v[28:29], v[14:15], s[22:23], v[28:29]
	v_add_f64 v[38:39], v[26:27], -v[24:25]
	s_delay_alu instid0(VALU_DEP_4) | instskip(NEXT) | instid1(VALU_DEP_4)
	v_add_f64 v[34:35], v[30:31], -v[26:27]
	v_add_f64 v[10:11], v[12:13], -v[10:11]
	s_delay_alu instid0(VALU_DEP_4) | instskip(NEXT) | instid1(VALU_DEP_4)
	v_fma_f64 v[12:13], v[28:29], s[26:27], s[24:25]
	v_add_f64 v[26:27], v[26:27], -v[38:39]
	s_delay_alu instid0(VALU_DEP_4) | instskip(NEXT) | instid1(VALU_DEP_4)
	v_add_f64 v[34:35], v[24:25], -v[34:35]
	v_add_f64 v[36:37], v[22:23], v[10:11]
	s_delay_alu instid0(VALU_DEP_4) | instskip(NEXT) | instid1(VALU_DEP_4)
	v_fma_f64 v[12:13], v[28:29], v[12:13], s[28:29]
	v_add_f64 v[24:25], v[26:27], -v[24:25]
	s_delay_alu instid0(VALU_DEP_3) | instskip(NEXT) | instid1(VALU_DEP_3)
	v_add_f64 v[34:35], v[36:37], v[34:35]
	v_fma_f64 v[12:13], v[28:29], v[12:13], s[30:31]
	s_delay_alu instid0(VALU_DEP_3) | instskip(NEXT) | instid1(VALU_DEP_3)
	v_add_f64 v[22:23], v[22:23], v[24:25]
	v_add_f64 v[36:37], v[30:31], v[34:35]
	s_delay_alu instid0(VALU_DEP_3) | instskip(NEXT) | instid1(VALU_DEP_3)
	v_fma_f64 v[12:13], v[28:29], v[12:13], s[34:35]
	v_add_f64 v[10:11], v[22:23], -v[10:11]
	s_delay_alu instid0(VALU_DEP_3) | instskip(NEXT) | instid1(VALU_DEP_2)
	v_rcp_f64_e32 v[40:41], v[36:37]
	v_fma_f64 v[12:13], v[28:29], v[12:13], s[36:37]
	v_add_f64 v[30:31], v[36:37], -v[30:31]
	s_delay_alu instid0(VALU_DEP_2) | instskip(SKIP_4) | instid1(VALU_DEP_3)
	v_fma_f64 v[12:13], v[28:29], v[12:13], s[38:39]
	s_waitcnt_depctr 0xfff
	v_fma_f64 v[26:27], -v[36:37], v[40:41], 1.0
	v_add_f64 v[14:15], v[34:35], -v[30:31]
	v_fma_f64 v[12:13], v[28:29], v[12:13], s[40:41]
	v_fma_f64 v[24:25], v[26:27], v[40:41], v[40:41]
	v_add_f64 v[26:27], v[38:39], v[10:11]
	s_delay_alu instid0(VALU_DEP_3) | instskip(NEXT) | instid1(VALU_DEP_3)
	v_fma_f64 v[12:13], v[28:29], v[12:13], s[42:43]
	v_fma_f64 v[22:23], -v[36:37], v[24:25], 1.0
	s_delay_alu instid0(VALU_DEP_2) | instskip(NEXT) | instid1(VALU_DEP_2)
	v_fma_f64 v[12:13], v[28:29], v[12:13], s[44:45]
	v_fma_f64 v[22:23], v[22:23], v[24:25], v[24:25]
	s_delay_alu instid0(VALU_DEP_2) | instskip(NEXT) | instid1(VALU_DEP_2)
	v_fma_f64 v[12:13], v[28:29], v[12:13], 1.0
	v_mul_f64 v[24:25], v[26:27], v[22:23]
	s_delay_alu instid0(VALU_DEP_2) | instskip(NEXT) | instid1(VALU_DEP_2)
	v_fma_f64 v[12:13], v[28:29], v[12:13], 1.0
	v_mul_f64 v[40:41], v[36:37], v[24:25]
	s_delay_alu instid0(VALU_DEP_2) | instskip(NEXT) | instid1(VALU_DEP_2)
	v_ldexp_f64 v[12:13], v[12:13], v3
	v_fma_f64 v[28:29], v[24:25], v[36:37], -v[40:41]
	s_delay_alu instid0(VALU_DEP_2) | instskip(NEXT) | instid1(VALU_DEP_2)
	v_add_f64 v[12:13], v[12:13], 1.0
	v_fma_f64 v[14:15], v[24:25], v[14:15], v[28:29]
	s_delay_alu instid0(VALU_DEP_2) | instskip(NEXT) | instid1(VALU_DEP_2)
	v_div_scale_f64 v[30:31], null, v[12:13], v[12:13], 1.0
	v_add_f64 v[28:29], v[40:41], v[14:15]
	s_delay_alu instid0(VALU_DEP_2) | instskip(NEXT) | instid1(VALU_DEP_1)
	v_rcp_f64_e32 v[36:37], v[30:31]
	v_add_f64 v[34:35], v[26:27], -v[28:29]
	v_add_f64 v[40:41], v[28:29], -v[40:41]
	s_delay_alu instid0(VALU_DEP_2)
	v_add_f64 v[42:43], v[26:27], -v[34:35]
	s_waitcnt_depctr 0xfff
	v_fma_f64 v[44:45], -v[30:31], v[36:37], 1.0
	v_add_f64 v[26:27], v[26:27], -v[38:39]
	v_add_f64 v[14:15], v[14:15], -v[40:41]
	;; [unrolled: 1-line block ×3, first 2 shown]
	s_delay_alu instid0(VALU_DEP_4) | instskip(NEXT) | instid1(VALU_DEP_4)
	v_fma_f64 v[36:37], v[36:37], v[44:45], v[36:37]
	v_add_f64 v[10:11], v[10:11], -v[26:27]
	s_delay_alu instid0(VALU_DEP_3) | instskip(NEXT) | instid1(VALU_DEP_3)
	v_add_f64 v[14:15], v[28:29], -v[14:15]
	v_fma_f64 v[26:27], -v[30:31], v[36:37], 1.0
	s_delay_alu instid0(VALU_DEP_2) | instskip(SKIP_1) | instid1(VALU_DEP_3)
	v_add_f64 v[10:11], v[10:11], v[14:15]
	v_div_scale_f64 v[14:15], vcc_lo, 1.0, v[12:13], 1.0
	v_fma_f64 v[26:27], v[36:37], v[26:27], v[36:37]
	s_delay_alu instid0(VALU_DEP_3) | instskip(NEXT) | instid1(VALU_DEP_2)
	v_add_f64 v[10:11], v[34:35], v[10:11]
	v_mul_f64 v[28:29], v[14:15], v[26:27]
	s_delay_alu instid0(VALU_DEP_2) | instskip(NEXT) | instid1(VALU_DEP_2)
	v_mul_f64 v[10:11], v[22:23], v[10:11]
	v_fma_f64 v[14:15], -v[30:31], v[28:29], v[14:15]
	s_delay_alu instid0(VALU_DEP_2) | instskip(NEXT) | instid1(VALU_DEP_2)
	v_add_f64 v[10:11], v[24:25], v[10:11]
	v_div_fmas_f64 v[14:15], v[14:15], v[26:27], v[28:29]
	v_cmp_gt_f64_e64 vcc_lo, 0x3e400000, |v[16:17]|
	s_delay_alu instid0(VALU_DEP_3) | instskip(NEXT) | instid1(VALU_DEP_4)
	v_cndmask_b32_e64 v3, 0x3ff00000, v11, s0
	v_cndmask_b32_e64 v22, 0, v10, s0
	v_cmp_nlt_f64_e64 s0, 0x4090cc00, v[8:9]
	v_div_fixup_f64 v[10:11], v[14:15], v[12:13], 1.0
	v_and_b32_e32 v13, 0x7fffffff, v17
	v_mad_u64_u32 v[14:15], null, s63, v33, v[1:2]
	v_cndmask_b32_e32 v12, v22, v16, vcc_lo
	s_delay_alu instid0(VALU_DEP_3)
	v_dual_cndmask_b32 v3, v3, v13 :: v_dual_add_nc_u32 v2, s65, v2
	v_cmp_ngt_f64_e32 vcc_lo, 0xc0900000, v[8:9]
	v_lshlrev_b32_e32 v16, 2, v5
	v_ashrrev_i32_e32 v5, 31, v4
	v_mul_lo_u32 v22, v14, s1
	v_bfi_b32 v13, 0x7fffffff, v3, v17
	s_delay_alu instid0(VALU_DEP_1) | instskip(NEXT) | instid1(VALU_DEP_3)
	v_add_f64 v[8:9], v[6:7], -v[12:13]
	v_ashrrev_i32_e32 v23, 31, v22
	v_cndmask_b32_e32 v11, 0, v11, vcc_lo
	s_and_b32 vcc_lo, s0, vcc_lo
	v_dual_cndmask_b32 v10, 0, v10 :: v_dual_lshlrev_b32 v3, 2, v32
	s_delay_alu instid0(VALU_DEP_2) | instskip(NEXT) | instid1(VALU_DEP_2)
	v_cndmask_b32_e64 v11, 0x3ff00000, v11, s0
	v_sub_nc_u32_e32 v3, v3, v16
	v_lshlrev_b64 v[15:16], 3, v[4:5]
	v_add_nc_u32_e32 v4, s66, v4
	s_delay_alu instid0(VALU_DEP_4) | instskip(NEXT) | instid1(VALU_DEP_4)
	v_fma_f64 v[8:9], v[10:11], v[8:9], v[12:13]
	v_or_b32_e32 v5, 1, v3
	v_or_b32_e32 v14, 2, v3
	v_or_b32_e32 v17, 3, v3
	v_add_nc_u32_e32 v3, 4, v3
	v_add_co_u32 v30, vcc_lo, s14, v15
	v_mad_u64_u32 v[24:25], null, s2, v5, v[1:2]
	v_mad_u64_u32 v[25:26], null, s2, v14, v[1:2]
	;; [unrolled: 1-line block ×4, first 2 shown]
	s_delay_alu instid0(VALU_DEP_4)
	v_mul_lo_u32 v14, v24, s1
	v_add_co_ci_u32_e32 v31, vcc_lo, s15, v16, vcc_lo
	v_mul_lo_u32 v24, v25, s1
	v_mul_lo_u32 v26, v26, s1
	v_lshlrev_b64 v[16:17], 3, v[22:23]
	v_mul_lo_u32 v28, v27, s1
	v_add_nc_u32_e32 v1, s60, v1
	v_ashrrev_i32_e32 v15, 31, v14
	v_ashrrev_i32_e32 v25, 31, v24
	v_ashrrev_i32_e32 v27, 31, v26
	s_delay_alu instid0(VALU_DEP_3) | instskip(SKIP_1) | instid1(VALU_DEP_4)
	v_lshlrev_b64 v[14:15], 3, v[14:15]
	v_add_co_u32 v16, s0, s16, v16
	v_lshlrev_b64 v[22:23], 3, v[24:25]
	v_ashrrev_i32_e32 v29, 31, v28
	v_add_co_ci_u32_e64 v17, s0, s17, v17, s0
	v_lshlrev_b64 v[24:25], 3, v[26:27]
	v_add_co_u32 v14, s0, s16, v14
	s_delay_alu instid0(VALU_DEP_1)
	v_add_co_ci_u32_e64 v15, s0, s17, v15, s0
	v_lshlrev_b64 v[26:27], 3, v[28:29]
	v_add_co_u32 v22, s0, s16, v22
	v_cmp_le_i32_e32 vcc_lo, s3, v1
	v_add_co_ci_u32_e64 v23, s0, s17, v23, s0
	v_add_co_u32 v24, s0, s16, v24
	s_delay_alu instid0(VALU_DEP_1)
	v_add_co_ci_u32_e64 v25, s0, s17, v25, s0
	v_add_co_u32 v26, s0, s16, v26
	s_or_b32 s57, vcc_lo, s57
	v_add_co_ci_u32_e64 v27, s0, s17, v27, s0
	global_store_b64 v[30:31], v[8:9], off
	s_clause 0x4
	global_store_b64 v[16:17], v[20:21], off
	global_store_b64 v[14:15], v[10:11], off
	;; [unrolled: 1-line block ×5, first 2 shown]
	s_and_not1_b32 exec_lo, exec_lo, s57
	s_cbranch_execz .LBB32_5
.LBB32_3:                               ; =>This Inner Loop Header: Depth=1
	v_sub_nc_u32_e32 v3, 0, v1
	s_delay_alu instid0(VALU_DEP_1) | instskip(NEXT) | instid1(VALU_DEP_1)
	v_max_i32_e32 v3, v1, v3
	v_mul_hi_u32 v5, v3, v0
	s_delay_alu instid0(VALU_DEP_1) | instskip(NEXT) | instid1(VALU_DEP_1)
	v_mul_lo_u32 v6, v5, s59
	v_sub_nc_u32_e32 v3, v3, v6
	s_delay_alu instid0(VALU_DEP_1) | instskip(SKIP_1) | instid1(VALU_DEP_2)
	v_subrev_nc_u32_e32 v7, s59, v3
	v_cmp_le_u32_e32 vcc_lo, s59, v3
	v_dual_cndmask_b32 v3, v3, v7 :: v_dual_add_nc_u32 v6, 1, v5
	s_delay_alu instid0(VALU_DEP_1) | instskip(SKIP_1) | instid1(VALU_DEP_3)
	v_cndmask_b32_e32 v6, v5, v6, vcc_lo
	v_ashrrev_i32_e32 v5, 31, v1
	v_cmp_le_u32_e32 vcc_lo, s59, v3
	s_delay_alu instid0(VALU_DEP_3) | instskip(NEXT) | instid1(VALU_DEP_3)
	v_add_nc_u32_e32 v7, 1, v6
	v_xor_b32_e32 v5, s61, v5
	s_delay_alu instid0(VALU_DEP_2) | instskip(NEXT) | instid1(VALU_DEP_1)
	v_cndmask_b32_e32 v3, v6, v7, vcc_lo
	v_xor_b32_e32 v32, v3, v5
	v_lshlrev_b32_e32 v3, 1, v5
	s_delay_alu instid0(VALU_DEP_2) | instskip(SKIP_1) | instid1(VALU_DEP_1)
	v_lshlrev_b32_e32 v8, 1, v32
	v_sub_nc_u32_e32 v33, v32, v5
	v_mad_u64_u32 v[6:7], null, s62, v33, v[1:2]
	s_delay_alu instid0(VALU_DEP_3) | instskip(SKIP_1) | instid1(VALU_DEP_2)
	v_sub_nc_u32_e32 v7, v8, v3
	v_ashrrev_i32_e32 v3, 31, v2
	v_or_b32_e32 v8, 1, v7
	v_add_nc_u32_e32 v10, 2, v7
	v_mul_lo_u32 v7, v6, s33
	v_mul_lo_u32 v9, v6, s54
	s_delay_alu instid0(VALU_DEP_4) | instskip(NEXT) | instid1(VALU_DEP_4)
	v_mad_u64_u32 v[11:12], null, s2, v8, v[1:2]
	v_mad_u64_u32 v[12:13], null, s2, v10, v[1:2]
	v_lshlrev_b64 v[13:14], 3, v[2:3]
	v_ashrrev_i32_e32 v8, 31, v7
	v_ashrrev_i32_e32 v10, 31, v9
	v_mul_lo_u32 v6, v11, s33
	v_mul_lo_u32 v11, v11, s54
	;; [unrolled: 1-line block ×3, first 2 shown]
	v_lshlrev_b64 v[19:20], 3, v[7:8]
	v_add_co_u32 v13, vcc_lo, s12, v13
	v_lshlrev_b64 v[8:9], 3, v[9:10]
	v_mul_lo_u32 v17, v12, s54
	v_ashrrev_i32_e32 v7, 31, v6
	v_add_co_ci_u32_e32 v14, vcc_lo, s13, v14, vcc_lo
	v_ashrrev_i32_e32 v16, 31, v15
	v_add_co_u32 v19, vcc_lo, s6, v19
	v_add_co_ci_u32_e32 v20, vcc_lo, s7, v20, vcc_lo
	v_lshlrev_b64 v[6:7], 3, v[6:7]
	v_ashrrev_i32_e32 v12, 31, v11
	v_add_co_u32 v22, vcc_lo, s8, v8
	v_add_co_ci_u32_e32 v23, vcc_lo, s9, v9, vcc_lo
	v_lshlrev_b64 v[8:9], 3, v[15:16]
	v_ashrrev_i32_e32 v18, 31, v17
	v_lshlrev_b64 v[10:11], 3, v[11:12]
	v_add_co_u32 v6, vcc_lo, s6, v6
	v_add_co_ci_u32_e32 v7, vcc_lo, s7, v7, vcc_lo
	s_delay_alu instid0(VALU_DEP_4)
	v_lshlrev_b64 v[15:16], 3, v[17:18]
	v_add_co_u32 v17, vcc_lo, s6, v8
	v_add_co_ci_u32_e32 v18, vcc_lo, s7, v9, vcc_lo
	v_add_co_u32 v10, vcc_lo, s8, v10
	v_add_co_ci_u32_e32 v11, vcc_lo, s9, v11, vcc_lo
	;; [unrolled: 2-line block ×3, first 2 shown]
	s_clause 0x2
	global_load_b64 v[20:21], v[19:20], off
	global_load_b64 v[8:9], v[6:7], off
	;; [unrolled: 1-line block ×3, first 2 shown]
	s_clause 0x2
	global_load_b64 v[22:23], v[22:23], off
	global_load_b64 v[10:11], v[10:11], off
	;; [unrolled: 1-line block ×4, first 2 shown]
	v_mov_b32_e32 v12, 0
	v_mov_b32_e32 v13, 0
	s_and_not1_b32 vcc_lo, exec_lo, s58
	s_delay_alu instid0(VALU_DEP_1)
	v_dual_mov_b32 v25, v13 :: v_dual_mov_b32 v24, v12
	v_dual_mov_b32 v29, v13 :: v_dual_mov_b32 v28, v12
	;; [unrolled: 1-line block ×5, first 2 shown]
	s_cbranch_vccnz .LBB32_2
; %bb.4:                                ;   in Loop: Header=BB32_3 Depth=1
	v_sub_nc_u32_e32 v3, v5, v32
	v_mad_u64_u32 v[12:13], null, s64, v33, v[1:2]
	s_delay_alu instid0(VALU_DEP_2) | instskip(SKIP_1) | instid1(VALU_DEP_3)
	v_mul_lo_u32 v14, s2, v3
	v_add_nc_u32_e32 v3, 2, v3
	v_mul_lo_u32 v13, v12, s55
	v_mul_lo_u32 v24, v12, s56
	s_delay_alu instid0(VALU_DEP_3) | instskip(SKIP_1) | instid1(VALU_DEP_4)
	v_mad_u64_u32 v[26:27], null, s2, v3, v[1:2]
	v_add3_u32 v3, v14, s2, v1
	v_ashrrev_i32_e32 v14, 31, v13
	s_delay_alu instid0(VALU_DEP_2) | instskip(NEXT) | instid1(VALU_DEP_4)
	v_mul_lo_u32 v12, v3, s55
	v_mul_lo_u32 v27, v26, s55
	;; [unrolled: 1-line block ×3, first 2 shown]
	v_ashrrev_i32_e32 v25, 31, v24
	v_lshlrev_b64 v[14:15], 3, v[13:14]
	v_mul_lo_u32 v34, v26, s56
	s_delay_alu instid0(VALU_DEP_3) | instskip(SKIP_4) | instid1(VALU_DEP_4)
	v_lshlrev_b64 v[24:25], 3, v[24:25]
	v_ashrrev_i32_e32 v13, 31, v12
	v_ashrrev_i32_e32 v28, 31, v27
	v_add_co_u32 v14, vcc_lo, s4, v14
	v_add_co_ci_u32_e32 v15, vcc_lo, s5, v15, vcc_lo
	v_lshlrev_b64 v[12:13], 3, v[12:13]
	s_delay_alu instid0(VALU_DEP_4) | instskip(SKIP_2) | instid1(VALU_DEP_4)
	v_lshlrev_b64 v[26:27], 3, v[27:28]
	v_ashrrev_i32_e32 v30, 31, v29
	v_ashrrev_i32_e32 v35, 31, v34
	v_add_co_u32 v12, vcc_lo, s4, v12
	v_add_co_ci_u32_e32 v13, vcc_lo, s5, v13, vcc_lo
	v_add_co_u32 v26, vcc_lo, s4, v26
	v_lshlrev_b64 v[28:29], 3, v[29:30]
	v_add_co_ci_u32_e32 v27, vcc_lo, s5, v27, vcc_lo
	v_add_co_u32 v36, vcc_lo, s10, v24
	v_add_co_ci_u32_e32 v37, vcc_lo, s11, v25, vcc_lo
	v_lshlrev_b64 v[24:25], 3, v[34:35]
	v_add_co_u32 v34, vcc_lo, s10, v28
	v_add_co_ci_u32_e32 v35, vcc_lo, s11, v29, vcc_lo
	s_delay_alu instid0(VALU_DEP_3) | instskip(NEXT) | instid1(VALU_DEP_4)
	v_add_co_u32 v38, vcc_lo, s10, v24
	v_add_co_ci_u32_e32 v39, vcc_lo, s11, v25, vcc_lo
	s_clause 0x2
	global_load_b64 v[30:31], v[14:15], off
	global_load_b64 v[12:13], v[12:13], off
	;; [unrolled: 1-line block ×3, first 2 shown]
	s_clause 0x2
	global_load_b64 v[28:29], v[36:37], off
	global_load_b64 v[14:15], v[34:35], off
	;; [unrolled: 1-line block ×3, first 2 shown]
	s_branch .LBB32_2
.LBB32_5:
	s_nop 0
	s_sendmsg sendmsg(MSG_DEALLOC_VGPRS)
	s_endpgm
	.section	.rodata,"a",@progbits
	.p2align	6, 0x0
	.amdhsa_kernel _ZN2at6native12_GLOBAL__N_16kernel16gru_cell_forwardIddiLi1EEEvNS_4cuda6detail10TensorInfoIT_T1_EES9_S9_S9_S9_S9_S9_S8_S8_
		.amdhsa_group_segment_fixed_size 0
		.amdhsa_private_segment_fixed_size 0
		.amdhsa_kernarg_size 1776
		.amdhsa_user_sgpr_count 15
		.amdhsa_user_sgpr_dispatch_ptr 0
		.amdhsa_user_sgpr_queue_ptr 0
		.amdhsa_user_sgpr_kernarg_segment_ptr 1
		.amdhsa_user_sgpr_dispatch_id 0
		.amdhsa_user_sgpr_private_segment_size 0
		.amdhsa_wavefront_size32 1
		.amdhsa_uses_dynamic_stack 0
		.amdhsa_enable_private_segment 0
		.amdhsa_system_sgpr_workgroup_id_x 1
		.amdhsa_system_sgpr_workgroup_id_y 0
		.amdhsa_system_sgpr_workgroup_id_z 0
		.amdhsa_system_sgpr_workgroup_info 0
		.amdhsa_system_vgpr_workitem_id 0
		.amdhsa_next_free_vgpr 46
		.amdhsa_next_free_sgpr 67
		.amdhsa_reserve_vcc 1
		.amdhsa_float_round_mode_32 0
		.amdhsa_float_round_mode_16_64 0
		.amdhsa_float_denorm_mode_32 3
		.amdhsa_float_denorm_mode_16_64 3
		.amdhsa_dx10_clamp 1
		.amdhsa_ieee_mode 1
		.amdhsa_fp16_overflow 0
		.amdhsa_workgroup_processor_mode 1
		.amdhsa_memory_ordered 1
		.amdhsa_forward_progress 0
		.amdhsa_shared_vgpr_count 0
		.amdhsa_exception_fp_ieee_invalid_op 0
		.amdhsa_exception_fp_denorm_src 0
		.amdhsa_exception_fp_ieee_div_zero 0
		.amdhsa_exception_fp_ieee_overflow 0
		.amdhsa_exception_fp_ieee_underflow 0
		.amdhsa_exception_fp_ieee_inexact 0
		.amdhsa_exception_int_div_zero 0
	.end_amdhsa_kernel
	.section	.text._ZN2at6native12_GLOBAL__N_16kernel16gru_cell_forwardIddiLi1EEEvNS_4cuda6detail10TensorInfoIT_T1_EES9_S9_S9_S9_S9_S9_S8_S8_,"axG",@progbits,_ZN2at6native12_GLOBAL__N_16kernel16gru_cell_forwardIddiLi1EEEvNS_4cuda6detail10TensorInfoIT_T1_EES9_S9_S9_S9_S9_S9_S8_S8_,comdat
.Lfunc_end32:
	.size	_ZN2at6native12_GLOBAL__N_16kernel16gru_cell_forwardIddiLi1EEEvNS_4cuda6detail10TensorInfoIT_T1_EES9_S9_S9_S9_S9_S9_S8_S8_, .Lfunc_end32-_ZN2at6native12_GLOBAL__N_16kernel16gru_cell_forwardIddiLi1EEEvNS_4cuda6detail10TensorInfoIT_T1_EES9_S9_S9_S9_S9_S9_S8_S8_
                                        ; -- End function
	.section	.AMDGPU.csdata,"",@progbits
; Kernel info:
; codeLenInByte = 3924
; NumSgprs: 69
; NumVgprs: 46
; ScratchSize: 0
; MemoryBound: 0
; FloatMode: 240
; IeeeMode: 1
; LDSByteSize: 0 bytes/workgroup (compile time only)
; SGPRBlocks: 8
; VGPRBlocks: 5
; NumSGPRsForWavesPerEU: 69
; NumVGPRsForWavesPerEU: 46
; Occupancy: 16
; WaveLimiterHint : 1
; COMPUTE_PGM_RSRC2:SCRATCH_EN: 0
; COMPUTE_PGM_RSRC2:USER_SGPR: 15
; COMPUTE_PGM_RSRC2:TRAP_HANDLER: 0
; COMPUTE_PGM_RSRC2:TGID_X_EN: 1
; COMPUTE_PGM_RSRC2:TGID_Y_EN: 0
; COMPUTE_PGM_RSRC2:TGID_Z_EN: 0
; COMPUTE_PGM_RSRC2:TIDIG_COMP_CNT: 0
	.section	.text._ZN2at6native12_GLOBAL__N_16kernel16gru_cell_forwardIddiLi2EEEvNS_4cuda6detail10TensorInfoIT_T1_EES9_S9_S9_S9_S9_S9_S8_S8_,"axG",@progbits,_ZN2at6native12_GLOBAL__N_16kernel16gru_cell_forwardIddiLi2EEEvNS_4cuda6detail10TensorInfoIT_T1_EES9_S9_S9_S9_S9_S9_S8_S8_,comdat
	.globl	_ZN2at6native12_GLOBAL__N_16kernel16gru_cell_forwardIddiLi2EEEvNS_4cuda6detail10TensorInfoIT_T1_EES9_S9_S9_S9_S9_S9_S8_S8_ ; -- Begin function _ZN2at6native12_GLOBAL__N_16kernel16gru_cell_forwardIddiLi2EEEvNS_4cuda6detail10TensorInfoIT_T1_EES9_S9_S9_S9_S9_S9_S8_S8_
	.p2align	8
	.type	_ZN2at6native12_GLOBAL__N_16kernel16gru_cell_forwardIddiLi2EEEvNS_4cuda6detail10TensorInfoIT_T1_EES9_S9_S9_S9_S9_S9_S8_S8_,@function
_ZN2at6native12_GLOBAL__N_16kernel16gru_cell_forwardIddiLi2EEEvNS_4cuda6detail10TensorInfoIT_T1_EES9_S9_S9_S9_S9_S9_S8_S8_: ; @_ZN2at6native12_GLOBAL__N_16kernel16gru_cell_forwardIddiLi2EEEvNS_4cuda6detail10TensorInfoIT_T1_EES9_S9_S9_S9_S9_S9_S8_S8_
; %bb.0:
	s_clause 0x1
	s_load_b32 s6, s[0:1], 0x5fc
	s_load_b64 s[4:5], s[0:1], 0x5e8
	s_add_u32 s2, s0, 0x5f0
	s_addc_u32 s3, s1, 0
	s_waitcnt lgkmcnt(0)
	s_and_b32 s30, s6, 0xffff
	s_mov_b32 s6, exec_lo
	v_mad_u64_u32 v[1:2], null, s15, s30, v[0:1]
	s_delay_alu instid0(VALU_DEP_1)
	v_cmpx_gt_i32_e64 s5, v1
	s_cbranch_execz .LBB33_5
; %bb.1:
	s_clause 0x2
	s_load_b64 s[6:7], s[0:1], 0x1b0
	s_load_b32 s33, s[0:1], 0xe4
	s_load_b64 s[8:9], s[0:1], 0x144
	s_load_b32 s72, s[2:3], 0x0
	s_clause 0xf
	s_load_b64 s[10:11], s[0:1], 0x0
	s_load_b32 s66, s[0:1], 0xc
	s_load_b32 s2, s[0:1], 0x36c
	s_load_b64 s[12:13], s[0:1], 0x288
	s_load_b32 s67, s[0:1], 0x2f4
	s_load_b64 s[14:15], s[0:1], 0x360
	s_load_b64 s[16:17], s[0:1], 0x3cc
	;; [unrolled: 1-line block ×3, first 2 shown]
	s_load_b32 s3, s[0:1], 0x444
	s_load_b32 s68, s[0:1], 0x51c
	s_load_b64 s[20:21], s[0:1], 0x510
	s_load_b64 s[22:23], s[0:1], 0x6c
	;; [unrolled: 1-line block ×3, first 2 shown]
	s_load_b32 s69, s[0:1], 0x21c
	s_load_b64 s[26:27], s[0:1], 0x4a4
	s_load_b64 s[28:29], s[0:1], 0x57c
	s_waitcnt lgkmcnt(0)
	s_cmp_lg_u64 s[6:7], 0
	s_mov_b32 s34, 0xfefa39ef
	s_cselect_b32 s70, -1, 0
	s_abs_i32 s71, s4
	s_abs_i32 s75, s33
	v_cvt_f32_u32_e32 v0, s71
	v_cvt_f32_u32_e32 v3, s75
	s_abs_i32 s74, s66
	s_abs_i32 s76, s2
	v_cvt_f32_u32_e32 v2, s74
	v_rcp_iflag_f32_e32 v0, v0
	v_rcp_iflag_f32_e32 v3, v3
	s_abs_i32 s77, s3
	s_abs_i32 s78, s68
	v_rcp_iflag_f32_e32 v2, v2
	v_cvt_f32_u32_e32 v5, s77
	v_cvt_f32_u32_e32 v4, s76
	s_mul_i32 s72, s72, s30
	v_cvt_f32_u32_e32 v6, s78
	s_sub_i32 s30, 0, s75
	s_waitcnt_depctr 0xfff
	v_dual_mul_f32 v0, 0x4f7ffffe, v0 :: v_dual_mul_f32 v3, 0x4f7ffffe, v3
	v_rcp_iflag_f32_e32 v5, v5
	v_rcp_iflag_f32_e32 v4, v4
	;; [unrolled: 1-line block ×3, first 2 shown]
	v_mul_f32_e32 v2, 0x4f7ffffe, v2
	v_cvt_u32_f32_e32 v3, v3
	v_cvt_u32_f32_e32 v0, v0
	s_sub_i32 s0, 0, s71
	s_sub_i32 s1, 0, s74
	s_mov_b32 s36, 0x3b39803f
	v_mul_lo_u32 v9, s30, v3
	v_mul_f32_e32 v5, 0x4f7ffffe, v5
	v_cvt_u32_f32_e32 v2, v2
	v_mul_f32_e32 v6, 0x4f7ffffe, v6
	v_mul_lo_u32 v7, s0, v0
	s_sub_i32 s0, 0, s76
	v_cvt_u32_f32_e32 v5, v5
	v_mul_lo_u32 v8, s1, v2
	v_mul_hi_u32 v9, v3, v9
	v_mul_f32_e32 v4, 0x4f7ffffe, v4
	v_cvt_u32_f32_e32 v6, v6
	s_sub_i32 s1, 0, s77
	v_mul_hi_u32 v7, v0, v7
	v_mul_lo_u32 v11, s1, v5
	s_mov_b32 s30, 0x652b82fe
	v_mul_hi_u32 v8, v2, v8
	v_add_nc_u32_e32 v29, v3, v9
	v_cvt_u32_f32_e32 v4, v4
	s_mov_b32 s38, 0xfca7ab0c
	s_mov_b32 s40, 0x6a5dcb37
	v_add_nc_u32_e32 v0, v0, v7
	s_mov_b32 s42, 0x623fde64
	v_mul_lo_u32 v10, s0, v4
	s_sub_i32 s0, 0, s78
	v_add_nc_u32_e32 v28, v2, v8
	v_mul_lo_u32 v12, s0, v6
	s_mov_b32 s44, 0x7c89e6b0
	s_mov_b32 s46, 0x14761f6e
	;; [unrolled: 1-line block ×4, first 2 shown]
	v_mul_hi_u32 v7, v4, v10
	v_mul_hi_u32 v10, v5, v11
	s_mov_b32 s52, 0x555502a1
	v_mul_hi_u32 v2, v6, v12
	s_mov_b32 s54, 0x55555511
	s_mov_b32 s56, 11
	;; [unrolled: 1-line block ×4, first 2 shown]
	v_add_nc_u32_e32 v30, v4, v7
	v_add_nc_u32_e32 v31, v5, v10
	s_ashr_i32 s73, s4, 31
	v_add_nc_u32_e32 v32, v6, v2
	s_mov_b32 s79, 0
	s_ashr_i32 s80, s66, 31
	s_ashr_i32 s81, s33, 31
	;; [unrolled: 1-line block ×5, first 2 shown]
	s_lshl_b32 s85, s4, 1
	s_lshl_b32 s86, s4, 2
	s_sub_i32 s87, 0, s4
	s_sub_i32 s88, 0, s2
	s_mov_b32 s31, 0xbff71547
	s_mov_b32 s35, 0xbfe62e42
	;; [unrolled: 1-line block ×15, first 2 shown]
	s_sub_i32 s89, 0, s3
	s_mov_b32 s63, 0x3ff71547
	s_mov_b32 s64, 0xfefa3000
	s_branch .LBB33_3
.LBB33_2:                               ;   in Loop: Header=BB33_3 Depth=1
	s_waitcnt vmcnt(3)
	v_add_f64 v[18:19], v[18:19], v[22:23]
	v_add_f64 v[16:17], v[4:5], v[16:17]
	s_waitcnt vmcnt(0)
	v_add_f64 v[4:5], v[6:7], v[20:21]
	s_mov_b32 s62, s30
	s_mov_b32 s65, s35
	v_add_f64 v[8:9], v[8:9], v[10:11]
	v_lshlrev_b32_e32 v36, 2, v36
	v_lshlrev_b32_e32 v35, 2, v35
	v_mul_lo_u32 v37, s86, v37
	v_xor_b32_e32 v34, s83, v34
	s_delay_alu instid0(VALU_DEP_3) | instskip(SKIP_2) | instid1(VALU_DEP_2)
	v_sub_nc_u32_e32 v35, v36, v35
	v_add_f64 v[18:19], v[18:19], v[26:27]
	v_add_f64 v[8:9], v[8:9], v[12:13]
	v_add_f64 v[18:19], v[24:25], v[18:19]
	s_delay_alu instid0(VALU_DEP_2) | instskip(NEXT) | instid1(VALU_DEP_2)
	v_add_f64 v[8:9], v[8:9], v[14:15]
	v_mul_f64 v[22:23], v[18:19], s[30:31]
	v_cmp_nlt_f64_e64 s0, 0x4090cc00, v[18:19]
	s_delay_alu instid0(VALU_DEP_2) | instskip(NEXT) | instid1(VALU_DEP_1)
	v_rndne_f64_e32 v[22:23], v[22:23]
	v_fma_f64 v[24:25], v[22:23], s[34:35], -v[18:19]
	v_cvt_i32_f64_e32 v38, v[22:23]
	s_delay_alu instid0(VALU_DEP_2) | instskip(NEXT) | instid1(VALU_DEP_1)
	v_fma_f64 v[24:25], v[22:23], s[36:37], v[24:25]
	v_fma_f64 v[26:27], v[24:25], s[40:41], s[38:39]
	s_delay_alu instid0(VALU_DEP_1) | instskip(NEXT) | instid1(VALU_DEP_1)
	v_fma_f64 v[26:27], v[24:25], v[26:27], s[42:43]
	v_fma_f64 v[26:27], v[24:25], v[26:27], s[44:45]
	s_delay_alu instid0(VALU_DEP_1) | instskip(NEXT) | instid1(VALU_DEP_1)
	;; [unrolled: 3-line block ×5, first 2 shown]
	v_fma_f64 v[26:27], v[24:25], v[26:27], 1.0
	v_fma_f64 v[22:23], v[24:25], v[26:27], 1.0
	s_delay_alu instid0(VALU_DEP_1) | instskip(NEXT) | instid1(VALU_DEP_1)
	v_ldexp_f64 v[22:23], v[22:23], v38
	v_add_f64 v[22:23], v[22:23], 1.0
	s_delay_alu instid0(VALU_DEP_1) | instskip(SKIP_1) | instid1(VALU_DEP_2)
	v_div_scale_f64 v[24:25], null, v[22:23], v[22:23], 1.0
	v_div_scale_f64 v[40:41], vcc_lo, 1.0, v[22:23], 1.0
	v_rcp_f64_e32 v[26:27], v[24:25]
	s_waitcnt_depctr 0xfff
	v_fma_f64 v[38:39], -v[24:25], v[26:27], 1.0
	s_delay_alu instid0(VALU_DEP_1) | instskip(NEXT) | instid1(VALU_DEP_1)
	v_fma_f64 v[26:27], v[26:27], v[38:39], v[26:27]
	v_fma_f64 v[38:39], -v[24:25], v[26:27], 1.0
	s_delay_alu instid0(VALU_DEP_1) | instskip(NEXT) | instid1(VALU_DEP_1)
	v_fma_f64 v[26:27], v[26:27], v[38:39], v[26:27]
	v_mul_f64 v[38:39], v[40:41], v[26:27]
	s_delay_alu instid0(VALU_DEP_1) | instskip(NEXT) | instid1(VALU_DEP_1)
	v_fma_f64 v[24:25], -v[24:25], v[38:39], v[40:41]
	v_div_fmas_f64 v[24:25], v[24:25], v[26:27], v[38:39]
	v_cmp_ngt_f64_e32 vcc_lo, 0xc0900000, v[18:19]
	s_delay_alu instid0(VALU_DEP_2) | instskip(NEXT) | instid1(VALU_DEP_1)
	v_div_fixup_f64 v[22:23], v[24:25], v[22:23], 1.0
	v_cndmask_b32_e32 v23, 0, v23, vcc_lo
	s_and_b32 vcc_lo, s0, vcc_lo
	s_delay_alu instid0(VALU_DEP_2) | instskip(NEXT) | instid1(VALU_DEP_2)
	v_cndmask_b32_e32 v6, 0, v22, vcc_lo
	v_cndmask_b32_e64 v7, 0x3ff00000, v23, s0
	s_delay_alu instid0(VALU_DEP_1) | instskip(NEXT) | instid1(VALU_DEP_1)
	v_fma_f64 v[16:17], v[4:5], v[6:7], v[16:17]
	v_mul_f64 v[18:19], |v[16:17]|, s[62:63]
	s_delay_alu instid0(VALU_DEP_1) | instskip(NEXT) | instid1(VALU_DEP_1)
	v_rndne_f64_e32 v[18:19], v[18:19]
	v_fma_f64 v[20:21], v[18:19], s[64:65], |v[16:17]|
	v_mul_f64 v[22:23], v[18:19], s[58:59]
	s_delay_alu instid0(VALU_DEP_2) | instskip(NEXT) | instid1(VALU_DEP_1)
	v_add_f64 v[24:25], v[20:21], 0
	v_add_f64 v[26:27], v[24:25], v[22:23]
	v_add_f64 v[20:21], v[20:21], -v[24:25]
	s_delay_alu instid0(VALU_DEP_2) | instskip(NEXT) | instid1(VALU_DEP_2)
	v_add_f64 v[24:25], v[24:25], -v[26:27]
	v_add_f64 v[20:21], v[20:21], 0
	s_delay_alu instid0(VALU_DEP_2) | instskip(NEXT) | instid1(VALU_DEP_1)
	v_add_f64 v[22:23], v[24:25], v[22:23]
	v_add_f64 v[20:21], v[20:21], v[22:23]
	v_mul_f64 v[22:23], v[18:19], s[60:61]
	s_delay_alu instid0(VALU_DEP_2) | instskip(NEXT) | instid1(VALU_DEP_1)
	v_add_f64 v[24:25], v[26:27], v[20:21]
	v_add_f64 v[38:39], v[24:25], v[22:23]
	v_add_f64 v[26:27], v[26:27], -v[24:25]
	s_delay_alu instid0(VALU_DEP_2) | instskip(NEXT) | instid1(VALU_DEP_2)
	v_add_f64 v[24:25], v[24:25], -v[38:39]
	v_add_f64 v[20:21], v[20:21], v[26:27]
	s_delay_alu instid0(VALU_DEP_2) | instskip(NEXT) | instid1(VALU_DEP_1)
	v_add_f64 v[22:23], v[24:25], v[22:23]
	v_add_f64 v[20:21], v[20:21], v[22:23]
	s_delay_alu instid0(VALU_DEP_1) | instskip(NEXT) | instid1(VALU_DEP_1)
	v_add_f64 v[22:23], v[38:39], v[20:21]
	v_fma_f64 v[24:25], v[22:23], s[40:41], s[38:39]
	v_add_f64 v[26:27], v[38:39], -v[22:23]
	v_mul_f64 v[38:39], v[22:23], v[22:23]
	s_delay_alu instid0(VALU_DEP_3) | instskip(NEXT) | instid1(VALU_DEP_3)
	v_fma_f64 v[24:25], v[22:23], v[24:25], s[42:43]
	v_add_f64 v[20:21], v[20:21], v[26:27]
	s_delay_alu instid0(VALU_DEP_3) | instskip(NEXT) | instid1(VALU_DEP_3)
	v_fma_f64 v[26:27], v[22:23], v[22:23], -v[38:39]
	v_fma_f64 v[24:25], v[22:23], v[24:25], s[44:45]
	s_delay_alu instid0(VALU_DEP_3) | instskip(NEXT) | instid1(VALU_DEP_2)
	v_add_f64 v[40:41], v[20:21], v[20:21]
	v_fma_f64 v[24:25], v[22:23], v[24:25], s[46:47]
	s_delay_alu instid0(VALU_DEP_2) | instskip(NEXT) | instid1(VALU_DEP_2)
	v_fma_f64 v[26:27], v[22:23], v[40:41], v[26:27]
	v_fma_f64 v[24:25], v[22:23], v[24:25], s[48:49]
	s_delay_alu instid0(VALU_DEP_2) | instskip(NEXT) | instid1(VALU_DEP_2)
	v_add_f64 v[40:41], v[38:39], v[26:27]
	v_fma_f64 v[24:25], v[22:23], v[24:25], s[50:51]
	s_delay_alu instid0(VALU_DEP_2) | instskip(NEXT) | instid1(VALU_DEP_2)
	v_add_f64 v[38:39], v[40:41], -v[38:39]
	v_fma_f64 v[24:25], v[22:23], v[24:25], s[52:53]
	s_delay_alu instid0(VALU_DEP_2) | instskip(NEXT) | instid1(VALU_DEP_2)
	v_add_f64 v[26:27], v[26:27], -v[38:39]
	v_fma_f64 v[24:25], v[22:23], v[24:25], s[54:55]
	s_delay_alu instid0(VALU_DEP_1) | instskip(NEXT) | instid1(VALU_DEP_1)
	v_fma_f64 v[24:25], v[22:23], v[24:25], s[56:57]
	v_mul_f64 v[42:43], v[40:41], v[24:25]
	s_delay_alu instid0(VALU_DEP_1) | instskip(NEXT) | instid1(VALU_DEP_1)
	v_fma_f64 v[38:39], v[40:41], v[24:25], -v[42:43]
	v_fma_f64 v[24:25], v[26:27], v[24:25], v[38:39]
	s_delay_alu instid0(VALU_DEP_1) | instskip(NEXT) | instid1(VALU_DEP_1)
	v_add_f64 v[26:27], v[42:43], v[24:25]
	v_add_f64 v[38:39], v[22:23], v[26:27]
	v_add_f64 v[40:41], v[26:27], -v[42:43]
	s_delay_alu instid0(VALU_DEP_2) | instskip(NEXT) | instid1(VALU_DEP_2)
	v_add_f64 v[22:23], v[38:39], -v[22:23]
	v_add_f64 v[24:25], v[24:25], -v[40:41]
	v_cvt_i32_f64_e32 v40, v[18:19]
	s_delay_alu instid0(VALU_DEP_3) | instskip(NEXT) | instid1(VALU_DEP_3)
	v_add_f64 v[22:23], v[26:27], -v[22:23]
	v_add_f64 v[20:21], v[20:21], v[24:25]
	s_delay_alu instid0(VALU_DEP_1) | instskip(NEXT) | instid1(VALU_DEP_1)
	v_add_f64 v[20:21], v[20:21], v[22:23]
	v_add_f64 v[22:23], v[38:39], v[20:21]
	s_delay_alu instid0(VALU_DEP_1) | instskip(SKIP_1) | instid1(VALU_DEP_2)
	v_add_f64 v[24:25], v[22:23], 1.0
	v_add_f64 v[26:27], v[22:23], -v[38:39]
	v_add_f64 v[38:39], v[24:25], -1.0
	s_delay_alu instid0(VALU_DEP_2) | instskip(NEXT) | instid1(VALU_DEP_2)
	v_add_f64 v[20:21], v[20:21], -v[26:27]
	v_add_f64 v[22:23], v[22:23], -v[38:39]
	s_delay_alu instid0(VALU_DEP_1) | instskip(NEXT) | instid1(VALU_DEP_1)
	v_add_f64 v[20:21], v[20:21], v[22:23]
	v_add_f64 v[18:19], v[24:25], v[20:21]
	s_delay_alu instid0(VALU_DEP_1) | instskip(SKIP_1) | instid1(VALU_DEP_2)
	v_ldexp_f64 v[22:23], v[18:19], v40
	v_add_f64 v[18:19], v[18:19], -v[24:25]
	v_rcp_f64_e32 v[26:27], v[22:23]
	s_delay_alu instid0(VALU_DEP_1) | instskip(NEXT) | instid1(VALU_DEP_1)
	v_add_f64 v[18:19], v[20:21], -v[18:19]
	v_ldexp_f64 v[18:19], v[18:19], v40
	s_waitcnt_depctr 0xfff
	v_fma_f64 v[38:39], -v[22:23], v[26:27], 1.0
	s_delay_alu instid0(VALU_DEP_1) | instskip(NEXT) | instid1(VALU_DEP_1)
	v_fma_f64 v[26:27], v[38:39], v[26:27], v[26:27]
	v_fma_f64 v[38:39], -v[22:23], v[26:27], 1.0
	s_delay_alu instid0(VALU_DEP_1) | instskip(NEXT) | instid1(VALU_DEP_1)
	v_fma_f64 v[24:25], v[38:39], v[26:27], v[26:27]
	v_mul_f64 v[20:21], v[22:23], v[24:25]
	s_delay_alu instid0(VALU_DEP_1) | instskip(NEXT) | instid1(VALU_DEP_1)
	v_fma_f64 v[26:27], v[24:25], v[22:23], -v[20:21]
	v_fma_f64 v[26:27], v[24:25], v[18:19], v[26:27]
	s_delay_alu instid0(VALU_DEP_1) | instskip(NEXT) | instid1(VALU_DEP_1)
	v_add_f64 v[38:39], v[20:21], v[26:27]
	v_add_f64 v[40:41], -v[38:39], 1.0
	v_add_f64 v[20:21], v[38:39], -v[20:21]
	s_delay_alu instid0(VALU_DEP_2) | instskip(NEXT) | instid1(VALU_DEP_2)
	v_add_f64 v[42:43], -v[40:41], 1.0
	v_add_f64 v[20:21], v[20:21], -v[26:27]
	s_delay_alu instid0(VALU_DEP_2) | instskip(NEXT) | instid1(VALU_DEP_1)
	v_add_f64 v[26:27], v[42:43], -v[38:39]
	v_add_f64 v[20:21], v[20:21], v[26:27]
	s_delay_alu instid0(VALU_DEP_1) | instskip(NEXT) | instid1(VALU_DEP_1)
	v_add_f64 v[26:27], v[40:41], v[20:21]
	v_mul_f64 v[38:39], v[24:25], v[26:27]
	v_add_f64 v[40:41], v[40:41], -v[26:27]
	s_delay_alu instid0(VALU_DEP_2) | instskip(NEXT) | instid1(VALU_DEP_2)
	v_mul_f64 v[42:43], v[22:23], v[38:39]
	v_add_f64 v[20:21], v[20:21], v[40:41]
	v_add_f64 v[10:11], v[24:25], v[38:39]
	s_delay_alu instid0(VALU_DEP_3) | instskip(NEXT) | instid1(VALU_DEP_2)
	v_fma_f64 v[44:45], v[38:39], v[22:23], -v[42:43]
	v_add_f64 v[12:13], v[10:11], -v[24:25]
	s_delay_alu instid0(VALU_DEP_2) | instskip(NEXT) | instid1(VALU_DEP_2)
	v_fma_f64 v[44:45], v[38:39], v[18:19], v[44:45]
	v_add_f64 v[12:13], v[38:39], -v[12:13]
	s_delay_alu instid0(VALU_DEP_2) | instskip(NEXT) | instid1(VALU_DEP_1)
	v_add_f64 v[46:47], v[42:43], v[44:45]
	v_add_f64 v[48:49], v[26:27], -v[46:47]
	v_add_f64 v[40:41], v[46:47], -v[42:43]
	s_delay_alu instid0(VALU_DEP_2) | instskip(NEXT) | instid1(VALU_DEP_2)
	v_add_f64 v[26:27], v[26:27], -v[48:49]
	v_add_f64 v[40:41], v[40:41], -v[44:45]
	s_delay_alu instid0(VALU_DEP_2) | instskip(NEXT) | instid1(VALU_DEP_1)
	v_add_f64 v[26:27], v[26:27], -v[46:47]
	v_add_f64 v[20:21], v[20:21], v[26:27]
	s_delay_alu instid0(VALU_DEP_1) | instskip(NEXT) | instid1(VALU_DEP_1)
	v_add_f64 v[20:21], v[40:41], v[20:21]
	v_add_f64 v[20:21], v[48:49], v[20:21]
	s_delay_alu instid0(VALU_DEP_1) | instskip(SKIP_1) | instid1(VALU_DEP_2)
	v_mul_f64 v[14:15], v[24:25], v[20:21]
	v_mul_f64 v[20:21], v[8:9], s[30:31]
	v_add_f64 v[12:13], v[12:13], v[14:15]
	s_delay_alu instid0(VALU_DEP_2) | instskip(NEXT) | instid1(VALU_DEP_2)
	v_rndne_f64_e32 v[14:15], v[20:21]
	v_add_f64 v[20:21], v[10:11], v[12:13]
	s_delay_alu instid0(VALU_DEP_2) | instskip(SKIP_1) | instid1(VALU_DEP_3)
	v_fma_f64 v[24:25], v[14:15], s[34:35], -v[8:9]
	v_cvt_i32_f64_e32 v46, v[14:15]
	v_add_f64 v[26:27], v[22:23], v[20:21]
	v_add_f64 v[10:11], v[20:21], -v[10:11]
	s_delay_alu instid0(VALU_DEP_4) | instskip(SKIP_1) | instid1(VALU_DEP_4)
	v_fma_f64 v[24:25], v[14:15], s[36:37], v[24:25]
	v_add_f64 v[42:43], v[22:23], -v[20:21]
	v_add_f64 v[38:39], v[26:27], -v[22:23]
	s_delay_alu instid0(VALU_DEP_4) | instskip(NEXT) | instid1(VALU_DEP_4)
	v_add_f64 v[10:11], v[12:13], -v[10:11]
	v_fma_f64 v[12:13], v[24:25], s[40:41], s[38:39]
	s_delay_alu instid0(VALU_DEP_4) | instskip(NEXT) | instid1(VALU_DEP_4)
	v_add_f64 v[22:23], v[22:23], -v[42:43]
	v_add_f64 v[38:39], v[20:21], -v[38:39]
	s_delay_alu instid0(VALU_DEP_4) | instskip(NEXT) | instid1(VALU_DEP_4)
	v_add_f64 v[40:41], v[18:19], v[10:11]
	v_fma_f64 v[12:13], v[24:25], v[12:13], s[42:43]
	s_delay_alu instid0(VALU_DEP_4) | instskip(NEXT) | instid1(VALU_DEP_3)
	v_add_f64 v[20:21], v[22:23], -v[20:21]
	v_add_f64 v[38:39], v[40:41], v[38:39]
	s_delay_alu instid0(VALU_DEP_3) | instskip(NEXT) | instid1(VALU_DEP_3)
	v_fma_f64 v[12:13], v[24:25], v[12:13], s[44:45]
	v_add_f64 v[18:19], v[18:19], v[20:21]
	s_delay_alu instid0(VALU_DEP_3) | instskip(NEXT) | instid1(VALU_DEP_3)
	v_add_f64 v[40:41], v[26:27], v[38:39]
	v_fma_f64 v[12:13], v[24:25], v[12:13], s[46:47]
	s_delay_alu instid0(VALU_DEP_3) | instskip(NEXT) | instid1(VALU_DEP_3)
	v_add_f64 v[10:11], v[18:19], -v[10:11]
	v_rcp_f64_e32 v[44:45], v[40:41]
	s_delay_alu instid0(VALU_DEP_2) | instskip(SKIP_1) | instid1(VALU_DEP_2)
	v_fma_f64 v[12:13], v[24:25], v[12:13], s[48:49]
	v_add_f64 v[26:27], v[40:41], -v[26:27]
	v_fma_f64 v[12:13], v[24:25], v[12:13], s[50:51]
	s_waitcnt_depctr 0xfff
	v_fma_f64 v[22:23], -v[40:41], v[44:45], 1.0
	v_add_f64 v[14:15], v[38:39], -v[26:27]
	v_fma_f64 v[12:13], v[24:25], v[12:13], s[52:53]
	s_delay_alu instid0(VALU_DEP_3) | instskip(SKIP_1) | instid1(VALU_DEP_3)
	v_fma_f64 v[20:21], v[22:23], v[44:45], v[44:45]
	v_add_f64 v[22:23], v[42:43], v[10:11]
	v_fma_f64 v[12:13], v[24:25], v[12:13], s[54:55]
	s_delay_alu instid0(VALU_DEP_3) | instskip(NEXT) | instid1(VALU_DEP_2)
	v_fma_f64 v[18:19], -v[40:41], v[20:21], 1.0
	v_fma_f64 v[12:13], v[24:25], v[12:13], s[56:57]
	s_delay_alu instid0(VALU_DEP_2) | instskip(NEXT) | instid1(VALU_DEP_2)
	v_fma_f64 v[18:19], v[18:19], v[20:21], v[20:21]
	v_fma_f64 v[12:13], v[24:25], v[12:13], 1.0
	s_delay_alu instid0(VALU_DEP_2) | instskip(NEXT) | instid1(VALU_DEP_2)
	v_mul_f64 v[20:21], v[22:23], v[18:19]
	v_fma_f64 v[12:13], v[24:25], v[12:13], 1.0
	s_delay_alu instid0(VALU_DEP_2) | instskip(NEXT) | instid1(VALU_DEP_2)
	v_mul_f64 v[44:45], v[40:41], v[20:21]
	v_ldexp_f64 v[12:13], v[12:13], v46
	s_delay_alu instid0(VALU_DEP_2) | instskip(NEXT) | instid1(VALU_DEP_2)
	v_fma_f64 v[24:25], v[20:21], v[40:41], -v[44:45]
	v_add_f64 v[12:13], v[12:13], 1.0
	s_delay_alu instid0(VALU_DEP_2) | instskip(NEXT) | instid1(VALU_DEP_2)
	v_fma_f64 v[14:15], v[20:21], v[14:15], v[24:25]
	v_div_scale_f64 v[26:27], null, v[12:13], v[12:13], 1.0
	s_delay_alu instid0(VALU_DEP_2) | instskip(NEXT) | instid1(VALU_DEP_2)
	v_add_f64 v[24:25], v[44:45], v[14:15]
	v_rcp_f64_e32 v[40:41], v[26:27]
	s_delay_alu instid0(VALU_DEP_1) | instskip(SKIP_1) | instid1(VALU_DEP_2)
	v_add_f64 v[38:39], v[22:23], -v[24:25]
	v_add_f64 v[44:45], v[24:25], -v[44:45]
	;; [unrolled: 1-line block ×3, first 2 shown]
	s_waitcnt_depctr 0xfff
	v_fma_f64 v[48:49], -v[26:27], v[40:41], 1.0
	v_add_f64 v[22:23], v[22:23], -v[42:43]
	v_add_f64 v[14:15], v[14:15], -v[44:45]
	v_or_b32_e32 v42, 2, v35
	v_or_b32_e32 v43, 3, v35
	v_add_f64 v[24:25], v[46:47], -v[24:25]
	v_fma_f64 v[40:41], v[40:41], v[48:49], v[40:41]
	v_add_f64 v[10:11], v[10:11], -v[22:23]
	s_delay_alu instid0(VALU_DEP_3) | instskip(NEXT) | instid1(VALU_DEP_3)
	v_add_f64 v[14:15], v[24:25], -v[14:15]
	v_fma_f64 v[22:23], -v[26:27], v[40:41], 1.0
	s_delay_alu instid0(VALU_DEP_2) | instskip(SKIP_1) | instid1(VALU_DEP_3)
	v_add_f64 v[10:11], v[10:11], v[14:15]
	v_div_scale_f64 v[14:15], vcc_lo, 1.0, v[12:13], 1.0
	v_fma_f64 v[22:23], v[40:41], v[22:23], v[40:41]
	v_add_nc_u32_e32 v40, v1, v37
	v_or_b32_e32 v41, 1, v35
	v_add_f64 v[10:11], v[38:39], v[10:11]
	v_mul_hi_u32 v38, v33, v31
	v_mul_f64 v[24:25], v[14:15], v[22:23]
	s_delay_alu instid0(VALU_DEP_2) | instskip(NEXT) | instid1(VALU_DEP_1)
	v_mul_lo_u32 v36, v38, s77
	v_sub_nc_u32_e32 v33, v33, v36
	s_delay_alu instid0(VALU_DEP_1)
	v_cmp_le_u32_e64 s0, s77, v33
	v_mul_f64 v[10:11], v[18:19], v[10:11]
	v_ashrrev_i32_e32 v19, 31, v40
	v_mul_lo_u32 v40, s4, v42
	v_fma_f64 v[14:15], -v[26:27], v[24:25], v[14:15]
	v_mul_lo_u32 v26, s4, v43
	s_delay_alu instid0(VALU_DEP_4) | instskip(NEXT) | instid1(VALU_DEP_2)
	v_xor_b32_e32 v36, s84, v19
	v_add_nc_u32_e32 v42, v1, v26
	s_delay_alu instid0(VALU_DEP_1) | instskip(NEXT) | instid1(VALU_DEP_1)
	v_ashrrev_i32_e32 v42, 31, v42
	v_add3_u32 v48, v42, v26, v1
	v_xor_b32_e32 v47, s84, v42
	v_add_f64 v[10:11], v[20:21], v[10:11]
	v_div_fmas_f64 v[14:15], v[14:15], v[22:23], v[24:25]
	s_delay_alu instid0(VALU_DEP_4) | instskip(NEXT) | instid1(VALU_DEP_2)
	v_xor_b32_e32 v23, v48, v42
	v_div_fixup_f64 v[12:13], v[14:15], v[12:13], 1.0
	v_add_nc_u32_e32 v18, 4, v35
	v_add_nc_u32_e32 v39, 1, v38
	v_mul_lo_u32 v35, s4, v41
	s_delay_alu instid0(VALU_DEP_3) | instskip(SKIP_1) | instid1(VALU_DEP_4)
	v_mul_lo_u32 v27, s4, v18
	v_add3_u32 v18, v19, v37, v1
	v_cndmask_b32_e64 v38, v38, v39, s0
	v_subrev_nc_u32_e32 v39, s77, v33
	s_delay_alu instid0(VALU_DEP_3) | instskip(SKIP_1) | instid1(VALU_DEP_3)
	v_xor_b32_e32 v18, v18, v19
	v_add_nc_u32_e32 v19, v1, v35
	v_cndmask_b32_e64 v33, v33, v39, s0
	v_add_nc_u32_e32 v39, 1, v38
	v_add_nc_u32_e32 v43, v1, v27
	v_mul_hi_u32 v44, v18, v32
	v_ashrrev_i32_e32 v19, 31, v19
	v_cmp_le_u32_e64 s0, s77, v33
	s_delay_alu instid0(VALU_DEP_4) | instskip(NEXT) | instid1(VALU_DEP_2)
	v_ashrrev_i32_e32 v43, 31, v43
	v_cndmask_b32_e64 v33, v38, v39, s0
	v_mul_lo_u32 v51, v44, s78
	v_add3_u32 v39, v19, v35, v1
	v_add_nc_u32_e32 v20, 1, v44
	v_xor_b32_e32 v38, s84, v19
	v_xor_b32_e32 v33, v33, v34
	v_cmp_nlt_f64_e64 s0, 0x40331000, |v[16:17]|
	v_xor_b32_e32 v21, v39, v19
	v_add3_u32 v50, v43, v27, v1
	v_sub_nc_u32_e32 v39, v18, v51
	v_sub_nc_u32_e32 v25, v33, v34
	v_xor_b32_e32 v49, s84, v43
	v_mul_hi_u32 v33, v21, v32
	v_xor_b32_e32 v24, v50, v43
	v_cmp_le_u32_e32 vcc_lo, s78, v39
	v_mad_u64_u32 v[18:19], null, s89, v25, v[1:2]
	s_delay_alu instid0(VALU_DEP_3)
	v_mul_hi_u32 v42, v24, v32
	v_cndmask_b32_e32 v19, v44, v20, vcc_lo
	v_subrev_nc_u32_e32 v20, s78, v39
	v_mul_lo_u32 v43, v33, s78
	v_add_nc_u32_e32 v44, 1, v33
	v_mul_lo_u32 v18, v18, s27
	s_delay_alu instid0(VALU_DEP_4) | instskip(SKIP_2) | instid1(VALU_DEP_3)
	v_dual_cndmask_b32 v20, v39, v20 :: v_dual_add_nc_u32 v39, 1, v19
	v_mul_lo_u32 v52, v42, s78
	v_add_nc_u32_e32 v53, 1, v42
	v_cmp_le_u32_e32 vcc_lo, s78, v20
	v_sub_nc_u32_e32 v20, v21, v43
	v_cndmask_b32_e32 v19, v19, v39, vcc_lo
	v_cmp_gt_f64_e64 vcc_lo, 0x3e400000, |v[16:17]|
	v_add_nc_u32_e32 v41, v1, v40
	s_delay_alu instid0(VALU_DEP_4) | instskip(NEXT) | instid1(VALU_DEP_2)
	v_subrev_nc_u32_e32 v15, s78, v20
	v_ashrrev_i32_e32 v41, 31, v41
	v_cndmask_b32_e64 v39, 0, v10, s0
	s_delay_alu instid0(VALU_DEP_2) | instskip(SKIP_1) | instid1(VALU_DEP_2)
	v_add3_u32 v46, v41, v40, v1
	v_xor_b32_e32 v45, s84, v41
	v_xor_b32_e32 v22, v46, v41
	v_mul_hi_u32 v41, v23, v32
	s_delay_alu instid0(VALU_DEP_2) | instskip(NEXT) | instid1(VALU_DEP_2)
	v_mul_hi_u32 v34, v22, v32
	v_mul_lo_u32 v50, v41, s78
	v_add_nc_u32_e32 v51, 1, v41
	s_delay_alu instid0(VALU_DEP_3) | instskip(SKIP_1) | instid1(VALU_DEP_2)
	v_mul_lo_u32 v46, v34, s78
	v_add_nc_u32_e32 v48, 1, v34
	v_sub_nc_u32_e32 v21, v22, v46
	v_sub_nc_u32_e32 v22, v23, v50
	;; [unrolled: 1-line block ×3, first 2 shown]
	v_cndmask_b32_e64 v24, 0x3ff00000, v11, s0
	v_mad_u64_u32 v[10:11], null, v25, s26, v[18:19]
	v_xor_b32_e32 v11, v19, v36
	v_cmp_le_u32_e64 s0, s78, v20
	v_cmp_le_u32_e64 s1, s78, v21
	v_subrev_nc_u32_e32 v19, s78, v21
	v_cmp_le_u32_e64 s2, s78, v22
	v_sub_nc_u32_e32 v36, v11, v36
	v_cndmask_b32_e64 v14, v33, v44, s0
	v_cndmask_b32_e64 v11, v20, v15, s0
	;; [unrolled: 1-line block ×4, first 2 shown]
	v_subrev_nc_u32_e32 v33, s78, v22
	v_add_nc_u32_e32 v15, 1, v14
	v_cmp_le_u32_e64 s0, s78, v11
	v_add_nc_u32_e32 v20, 1, v18
	v_cndmask_b32_e64 v25, v41, v51, s2
	v_cmp_le_u32_e64 s3, s78, v23
	v_subrev_nc_u32_e32 v41, s78, v23
	v_cndmask_b32_e64 v11, v14, v15, s0
	v_cmp_le_u32_e64 s0, s78, v19
	v_cndmask_b32_e64 v21, v22, v33, s2
	v_cndmask_b32_e64 v34, v42, v53, s3
	v_add_nc_u32_e32 v22, 1, v25
	v_cndmask_b32_e64 v23, v23, v41, s3
	v_cndmask_b32_e64 v14, v18, v20, s0
	v_and_b32_e32 v18, 0x7fffffff, v17
	v_cmp_le_u32_e64 s0, s78, v21
	v_add_nc_u32_e32 v33, 1, v34
	v_xor_b32_e32 v11, v11, v38
	v_xor_b32_e32 v20, v14, v45
	v_cndmask_b32_e32 v14, v39, v16, vcc_lo
	v_cndmask_b32_e32 v16, v24, v18, vcc_lo
	v_cmp_ngt_f64_e32 vcc_lo, 0xc0900000, v[8:9]
	v_cndmask_b32_e64 v15, v25, v22, s0
	v_cmp_le_u32_e64 s0, s78, v23
	v_mul_lo_u32 v41, v36, s68
	v_sub_nc_u32_e32 v24, v11, v38
	v_sub_nc_u32_e32 v25, v20, v45
	v_xor_b32_e32 v18, v15, v47
	v_cndmask_b32_e64 v19, v34, v33, s0
	v_cmp_nlt_f64_e64 s0, 0x4090cc00, v[8:9]
	v_bfi_b32 v15, 0x7fffffff, v16, v17
	v_mul_lo_u32 v11, v24, s68
	v_sub_nc_u32_e32 v16, v37, v41
	v_sub_nc_u32_e32 v33, v18, v47
	s_delay_alu instid0(VALU_DEP_4) | instskip(NEXT) | instid1(VALU_DEP_2)
	v_add_f64 v[8:9], v[2:3], -v[14:15]
	v_mul_lo_u32 v17, v33, s68
	s_delay_alu instid0(VALU_DEP_1) | instskip(SKIP_4) | instid1(VALU_DEP_3)
	v_sub_nc_u32_e32 v21, v26, v17
	v_cndmask_b32_e32 v23, 0, v13, vcc_lo
	v_xor_b32_e32 v13, v19, v49
	v_sub_nc_u32_e32 v19, v35, v11
	v_ashrrev_i32_e32 v11, 31, v10
	v_sub_nc_u32_e32 v34, v13, v49
	v_add_nc_u32_e32 v13, v1, v16
	v_mul_lo_u32 v16, v25, s68
	v_add_nc_u32_e32 v19, v1, v19
	s_and_b32 vcc_lo, s0, vcc_lo
	v_mul_lo_u32 v18, v34, s68
	v_mul_lo_u32 v13, v13, s29
	v_cndmask_b32_e32 v12, 0, v12, vcc_lo
	v_lshlrev_b64 v[10:11], 3, v[10:11]
	v_sub_nc_u32_e32 v20, v40, v16
	v_sub_nc_u32_e32 v18, v27, v18
	v_mad_u64_u32 v[16:17], null, v36, s28, v[13:14]
	v_mul_lo_u32 v13, v19, s29
	s_delay_alu instid0(VALU_DEP_4) | instskip(SKIP_4) | instid1(VALU_DEP_4)
	v_add_nc_u32_e32 v17, v1, v20
	v_add_nc_u32_e32 v20, v1, v21
	;; [unrolled: 1-line block ×4, first 2 shown]
	v_add_co_u32 v10, vcc_lo, s18, v10
	v_mul_lo_u32 v19, v20, s29
	s_delay_alu instid0(VALU_DEP_4)
	v_mul_lo_u32 v20, v21, s29
	v_mad_u64_u32 v[21:22], null, v24, s28, v[13:14]
	v_cndmask_b32_e64 v13, 0x3ff00000, v23, s0
	v_mul_lo_u32 v18, v17, s29
	v_ashrrev_i32_e32 v17, 31, v16
	v_add_co_ci_u32_e32 v11, vcc_lo, s19, v11, vcc_lo
	s_delay_alu instid0(VALU_DEP_4) | instskip(SKIP_1) | instid1(VALU_DEP_4)
	v_fma_f64 v[8:9], v[12:13], v[8:9], v[14:15]
	v_ashrrev_i32_e32 v22, 31, v21
	v_lshlrev_b64 v[16:17], 3, v[16:17]
	v_cmp_le_i32_e32 vcc_lo, s5, v1
	v_mad_u64_u32 v[23:24], null, v25, s28, v[18:19]
	v_mad_u64_u32 v[25:26], null, v33, s28, v[19:20]
	;; [unrolled: 1-line block ×3, first 2 shown]
	v_lshlrev_b64 v[20:21], 3, v[21:22]
	v_add_co_u32 v16, s0, s20, v16
	v_ashrrev_i32_e32 v24, 31, v23
	v_ashrrev_i32_e32 v26, 31, v25
	v_add_co_ci_u32_e64 v17, s0, s21, v17, s0
	v_ashrrev_i32_e32 v19, 31, v18
	s_delay_alu instid0(VALU_DEP_4) | instskip(NEXT) | instid1(VALU_DEP_4)
	v_lshlrev_b64 v[22:23], 3, v[23:24]
	v_lshlrev_b64 v[24:25], 3, v[25:26]
	v_add_co_u32 v20, s0, s20, v20
	s_delay_alu instid0(VALU_DEP_1) | instskip(SKIP_2) | instid1(VALU_DEP_1)
	v_add_co_ci_u32_e64 v21, s0, s21, v21, s0
	v_lshlrev_b64 v[18:19], 3, v[18:19]
	v_add_co_u32 v22, s0, s20, v22
	v_add_co_ci_u32_e64 v23, s0, s21, v23, s0
	v_add_co_u32 v24, s0, s20, v24
	s_delay_alu instid0(VALU_DEP_1)
	v_add_co_ci_u32_e64 v25, s0, s21, v25, s0
	v_add_co_u32 v18, s0, s20, v18
	s_or_b32 s79, vcc_lo, s79
	v_add_co_ci_u32_e64 v19, s0, s21, v19, s0
	global_store_b64 v[10:11], v[8:9], off
	s_clause 0x4
	global_store_b64 v[16:17], v[6:7], off
	global_store_b64 v[20:21], v[12:13], off
	;; [unrolled: 1-line block ×5, first 2 shown]
	s_and_not1_b32 exec_lo, exec_lo, s79
	s_cbranch_execz .LBB33_5
.LBB33_3:                               ; =>This Inner Loop Header: Depth=1
	v_sub_nc_u32_e32 v2, 0, v1
	v_ashrrev_i32_e32 v34, 31, v1
	s_delay_alu instid0(VALU_DEP_2) | instskip(NEXT) | instid1(VALU_DEP_2)
	v_max_i32_e32 v33, v1, v2
	v_xor_b32_e32 v35, s73, v34
	v_xor_b32_e32 v9, s82, v34
	s_delay_alu instid0(VALU_DEP_3) | instskip(NEXT) | instid1(VALU_DEP_1)
	v_mul_hi_u32 v2, v33, v0
	v_mul_lo_u32 v3, v2, s71
	s_delay_alu instid0(VALU_DEP_1) | instskip(NEXT) | instid1(VALU_DEP_1)
	v_sub_nc_u32_e32 v3, v33, v3
	v_subrev_nc_u32_e32 v5, s71, v3
	v_cmp_le_u32_e32 vcc_lo, s71, v3
	s_delay_alu instid0(VALU_DEP_2) | instskip(NEXT) | instid1(VALU_DEP_1)
	v_dual_cndmask_b32 v3, v3, v5 :: v_dual_add_nc_u32 v4, 1, v2
	v_cndmask_b32_e32 v2, v2, v4, vcc_lo
	v_mul_hi_u32 v4, v33, v30
	s_delay_alu instid0(VALU_DEP_3) | instskip(NEXT) | instid1(VALU_DEP_3)
	v_cmp_le_u32_e32 vcc_lo, s71, v3
	v_add_nc_u32_e32 v5, 1, v2
	s_delay_alu instid0(VALU_DEP_3) | instskip(NEXT) | instid1(VALU_DEP_2)
	v_mul_lo_u32 v3, v4, s76
	v_cndmask_b32_e32 v2, v2, v5, vcc_lo
	v_add_nc_u32_e32 v6, 1, v4
	s_delay_alu instid0(VALU_DEP_2) | instskip(SKIP_2) | instid1(VALU_DEP_3)
	v_xor_b32_e32 v36, v2, v35
	v_lshlrev_b32_e32 v2, 1, v35
	v_sub_nc_u32_e32 v3, v33, v3
	v_sub_nc_u32_e32 v37, v36, v35
	v_lshlrev_b32_e32 v5, 1, v36
	s_delay_alu instid0(VALU_DEP_3) | instskip(SKIP_1) | instid1(VALU_DEP_4)
	v_cmp_le_u32_e32 vcc_lo, s76, v3
	v_subrev_nc_u32_e32 v7, s76, v3
	v_mul_lo_u32 v8, s85, v37
	s_delay_alu instid0(VALU_DEP_4) | instskip(NEXT) | instid1(VALU_DEP_3)
	v_sub_nc_u32_e32 v2, v5, v2
	v_dual_cndmask_b32 v4, v4, v6 :: v_dual_cndmask_b32 v3, v3, v7
	s_delay_alu instid0(VALU_DEP_2) | instskip(SKIP_2) | instid1(VALU_DEP_4)
	v_or_b32_e32 v5, 1, v2
	v_add_nc_u32_e32 v2, 2, v2
	v_add_nc_u32_e32 v6, v1, v8
	v_cmp_le_u32_e32 vcc_lo, s76, v3
	s_delay_alu instid0(VALU_DEP_4) | instskip(NEXT) | instid1(VALU_DEP_4)
	v_mul_lo_u32 v5, s4, v5
	v_mul_lo_u32 v10, s4, v2
	s_delay_alu instid0(VALU_DEP_4) | instskip(NEXT) | instid1(VALU_DEP_1)
	v_ashrrev_i32_e32 v6, 31, v6
	v_add3_u32 v3, v6, v8, v1
	v_xor_b32_e32 v11, s80, v6
	s_delay_alu instid0(VALU_DEP_2) | instskip(SKIP_1) | instid1(VALU_DEP_2)
	v_xor_b32_e32 v3, v3, v6
	v_xor_b32_e32 v6, s81, v6
	v_mul_hi_u32 v12, v3, v28
	v_mul_hi_u32 v15, v3, v29
	s_delay_alu instid0(VALU_DEP_2) | instskip(SKIP_1) | instid1(VALU_DEP_3)
	v_add_nc_u32_e32 v21, 1, v12
	v_add_nc_u32_e32 v7, 1, v4
	v_mul_lo_u32 v19, v15, s75
	s_delay_alu instid0(VALU_DEP_2) | instskip(SKIP_2) | instid1(VALU_DEP_3)
	v_cndmask_b32_e32 v2, v4, v7, vcc_lo
	v_add_nc_u32_e32 v4, v1, v5
	v_add_nc_u32_e32 v7, v1, v10
	v_xor_b32_e32 v2, v2, v9
	s_delay_alu instid0(VALU_DEP_3) | instskip(NEXT) | instid1(VALU_DEP_3)
	v_ashrrev_i32_e32 v4, 31, v4
	v_ashrrev_i32_e32 v7, 31, v7
	s_delay_alu instid0(VALU_DEP_2) | instskip(NEXT) | instid1(VALU_DEP_2)
	v_add3_u32 v14, v4, v5, v1
	v_add3_u32 v16, v7, v10, v1
	v_xor_b32_e32 v13, s80, v4
	v_xor_b32_e32 v17, s80, v7
	;; [unrolled: 1-line block ×6, first 2 shown]
	v_mul_lo_u32 v16, v12, s74
	s_delay_alu instid0(VALU_DEP_4) | instskip(SKIP_1) | instid1(VALU_DEP_4)
	v_mul_hi_u32 v20, v4, v28
	v_mul_hi_u32 v24, v4, v29
	;; [unrolled: 1-line block ×4, first 2 shown]
	v_sub_nc_u32_e32 v16, v3, v16
	v_sub_nc_u32_e32 v3, v3, v19
	v_add_nc_u32_e32 v26, 1, v20
	v_add_nc_u32_e32 v23, 1, v15
	v_mul_lo_u32 v27, v22, s74
	v_cmp_le_u32_e32 vcc_lo, s74, v16
	v_subrev_nc_u32_e32 v43, s74, v16
	v_cmp_le_u32_e64 s0, s75, v3
	v_mul_lo_u32 v19, v20, s74
	v_add_nc_u32_e32 v38, 1, v22
	v_cndmask_b32_e32 v12, v12, v21, vcc_lo
	v_subrev_nc_u32_e32 v21, s75, v3
	v_sub_nc_u32_e32 v27, v7, v27
	v_cndmask_b32_e64 v15, v15, v23, s0
	v_cndmask_b32_e32 v16, v16, v43, vcc_lo
	v_mul_lo_u32 v39, v24, s75
	v_cndmask_b32_e64 v3, v3, v21, s0
	v_cmp_le_u32_e64 s0, s74, v27
	v_sub_nc_u32_e32 v19, v4, v19
	v_cmp_le_u32_e32 vcc_lo, s74, v16
	v_mul_lo_u32 v41, v25, s75
	v_cmp_le_u32_e64 s1, s75, v3
	v_cndmask_b32_e64 v22, v22, v38, s0
	v_add_nc_u32_e32 v23, 1, v12
	v_sub_nc_u32_e32 v4, v4, v39
	v_add_nc_u32_e32 v40, 1, v24
	v_add_nc_u32_e32 v42, 1, v25
	s_delay_alu instid0(VALU_DEP_4) | instskip(SKIP_3) | instid1(VALU_DEP_4)
	v_cndmask_b32_e32 v12, v12, v23, vcc_lo
	v_cmp_le_u32_e32 vcc_lo, s74, v19
	v_sub_nc_u32_e32 v7, v7, v41
	v_subrev_nc_u32_e32 v23, s74, v27
	v_xor_b32_e32 v12, v12, v11
	v_cndmask_b32_e32 v16, v20, v26, vcc_lo
	v_subrev_nc_u32_e32 v20, s74, v19
	v_cmp_le_u32_e64 s2, s75, v7
	v_cndmask_b32_e64 v23, v27, v23, s0
	v_sub_nc_u32_e32 v11, v12, v11
	s_delay_alu instid0(VALU_DEP_4) | instskip(SKIP_1) | instid1(VALU_DEP_2)
	v_dual_cndmask_b32 v19, v19, v20 :: v_dual_add_nc_u32 v26, 1, v22
	v_add_nc_u32_e32 v20, 1, v16
	v_cmp_le_u32_e32 vcc_lo, s74, v19
	s_delay_alu instid0(VALU_DEP_2) | instskip(NEXT) | instid1(VALU_DEP_1)
	v_dual_cndmask_b32 v12, v16, v20 :: v_dual_add_nc_u32 v21, 1, v15
	v_cndmask_b32_e64 v3, v15, v21, s1
	v_cmp_le_u32_e64 s1, s75, v4
	v_subrev_nc_u32_e32 v21, s75, v4
	v_cmp_le_u32_e32 vcc_lo, s74, v23
	v_sub_nc_u32_e32 v20, v2, v9
	v_xor_b32_e32 v3, v3, v6
	v_cndmask_b32_e64 v15, v24, v40, s1
	v_cndmask_b32_e64 v24, v25, v42, s2
	v_subrev_nc_u32_e32 v25, s75, v7
	v_cndmask_b32_e64 v4, v4, v21, s1
	v_cndmask_b32_e32 v16, v22, v26, vcc_lo
	v_sub_nc_u32_e32 v19, v3, v6
	v_xor_b32_e32 v6, v12, v13
	v_cndmask_b32_e64 v7, v7, v25, s2
	v_add_nc_u32_e32 v25, 1, v24
	v_add_nc_u32_e32 v21, 1, v15
	v_cmp_le_u32_e32 vcc_lo, s75, v4
	v_sub_nc_u32_e32 v13, v6, v13
	v_xor_b32_e32 v12, v16, v17
	s_delay_alu instid0(VALU_DEP_4)
	v_cndmask_b32_e32 v3, v15, v21, vcc_lo
	v_cmp_le_u32_e32 vcc_lo, s75, v7
	v_mul_lo_u32 v7, v11, s66
	v_mul_lo_u32 v15, v19, s33
	;; [unrolled: 1-line block ×3, first 2 shown]
	v_xor_b32_e32 v3, v3, v18
	v_cndmask_b32_e32 v4, v24, v25, vcc_lo
	v_sub_nc_u32_e32 v16, v12, v17
	s_delay_alu instid0(VALU_DEP_3) | instskip(NEXT) | instid1(VALU_DEP_3)
	v_sub_nc_u32_e32 v17, v3, v18
	v_xor_b32_e32 v4, v4, v14
	v_sub_nc_u32_e32 v3, v8, v7
	s_delay_alu instid0(VALU_DEP_4) | instskip(SKIP_1) | instid1(VALU_DEP_4)
	v_mul_lo_u32 v7, v16, s66
	v_sub_nc_u32_e32 v6, v5, v6
	v_sub_nc_u32_e32 v18, v4, v14
	;; [unrolled: 1-line block ×3, first 2 shown]
	v_mul_lo_u32 v8, v17, s33
	v_add_nc_u32_e32 v3, v1, v3
	v_add_nc_u32_e32 v6, v1, v6
	v_mul_lo_u32 v9, v18, s33
	v_add_nc_u32_e32 v4, v1, v4
	v_sub_nc_u32_e32 v7, v10, v7
	v_mul_lo_u32 v2, v3, s23
	v_sub_nc_u32_e32 v5, v5, v8
	s_delay_alu instid0(VALU_DEP_4) | instskip(SKIP_4) | instid1(VALU_DEP_3)
	v_mul_lo_u32 v3, v4, s9
	v_mul_lo_u32 v4, v6, s23
	v_sub_nc_u32_e32 v8, v10, v9
	v_add_nc_u32_e32 v7, v1, v7
	v_add_nc_u32_e32 v9, v1, v5
	;; [unrolled: 1-line block ×3, first 2 shown]
	v_mad_u64_u32 v[5:6], null, v11, s22, v[2:3]
	s_delay_alu instid0(VALU_DEP_4) | instskip(SKIP_2) | instid1(VALU_DEP_4)
	v_mul_lo_u32 v2, v7, s23
	v_mad_u64_u32 v[7:8], null, v19, s8, v[3:4]
	v_mul_lo_u32 v3, v9, s9
	v_ashrrev_i32_e32 v6, 31, v5
	v_mad_u64_u32 v[9:10], null, v13, s22, v[4:5]
	v_mad_u64_u32 v[13:14], null, s88, v20, v[1:2]
	s_delay_alu instid0(VALU_DEP_4) | instskip(NEXT) | instid1(VALU_DEP_4)
	v_mad_u64_u32 v[11:12], null, v16, s22, v[2:3]
	v_lshlrev_b64 v[4:5], 3, v[5:6]
	v_mul_lo_u32 v2, v15, s9
	v_ashrrev_i32_e32 v10, 31, v9
	v_ashrrev_i32_e32 v8, 31, v7
	s_delay_alu instid0(VALU_DEP_4) | instskip(SKIP_3) | instid1(VALU_DEP_3)
	v_mad_u64_u32 v[14:15], null, v17, s8, v[3:4]
	v_ashrrev_i32_e32 v12, 31, v11
	v_add_co_u32 v3, vcc_lo, s10, v4
	v_add_co_ci_u32_e32 v4, vcc_lo, s11, v5, vcc_lo
	v_lshlrev_b64 v[5:6], 3, v[11:12]
	v_mul_lo_u32 v11, v13, s17
	s_delay_alu instid0(VALU_DEP_4) | instskip(SKIP_3) | instid1(VALU_DEP_4)
	v_mad_u64_u32 v[12:13], null, v18, s8, v[2:3]
	v_lshlrev_b64 v[9:10], 3, v[9:10]
	v_ashrrev_i32_e32 v15, 31, v14
	v_lshlrev_b64 v[7:8], 3, v[7:8]
	v_mad_u64_u32 v[16:17], null, v20, s16, v[11:12]
	s_delay_alu instid0(VALU_DEP_4)
	v_add_co_u32 v9, vcc_lo, s10, v9
	v_add_co_ci_u32_e32 v10, vcc_lo, s11, v10, vcc_lo
	v_add_co_u32 v5, vcc_lo, s10, v5
	v_ashrrev_i32_e32 v13, 31, v12
	v_add_co_ci_u32_e32 v6, vcc_lo, s11, v6, vcc_lo
	v_lshlrev_b64 v[14:15], 3, v[14:15]
	v_add_co_u32 v20, vcc_lo, s24, v7
	v_ashrrev_i32_e32 v17, 31, v16
	v_add_co_ci_u32_e32 v21, vcc_lo, s25, v8, vcc_lo
	v_lshlrev_b64 v[7:8], 3, v[12:13]
	v_add_co_u32 v11, vcc_lo, s24, v14
	s_delay_alu instid0(VALU_DEP_4) | instskip(SKIP_1) | instid1(VALU_DEP_4)
	v_lshlrev_b64 v[13:14], 3, v[16:17]
	v_add_co_ci_u32_e32 v12, vcc_lo, s25, v15, vcc_lo
	v_add_co_u32 v15, vcc_lo, s24, v7
	v_add_co_ci_u32_e32 v16, vcc_lo, s25, v8, vcc_lo
	s_delay_alu instid0(VALU_DEP_4)
	v_add_co_u32 v13, vcc_lo, s14, v13
	v_add_co_ci_u32_e32 v14, vcc_lo, s15, v14, vcc_lo
	s_clause 0x2
	global_load_b64 v[18:19], v[3:4], off
	global_load_b64 v[8:9], v[9:10], off
	;; [unrolled: 1-line block ×3, first 2 shown]
	s_clause 0x2
	global_load_b64 v[22:23], v[20:21], off
	global_load_b64 v[10:11], v[11:12], off
	;; [unrolled: 1-line block ×4, first 2 shown]
	v_mov_b32_e32 v12, 0
	v_mov_b32_e32 v13, 0
	s_and_not1_b32 vcc_lo, exec_lo, s70
	s_delay_alu instid0(VALU_DEP_1)
	v_mov_b32_e32 v17, v13
	v_mov_b32_e32 v25, v13
	v_dual_mov_b32 v15, v13 :: v_dual_mov_b32 v14, v12
	v_mov_b32_e32 v21, v13
	v_dual_mov_b32 v27, v13 :: v_dual_mov_b32 v16, v12
	v_mov_b32_e32 v24, v12
	v_mov_b32_e32 v20, v12
	;; [unrolled: 1-line block ×3, first 2 shown]
	s_cbranch_vccnz .LBB33_2
; %bb.4:                                ;   in Loop: Header=BB33_3 Depth=1
	v_sub_nc_u32_e32 v14, v35, v36
	s_waitcnt vmcnt(0)
	v_mad_u64_u32 v[12:13], null, s87, v37, v[1:2]
	s_delay_alu instid0(VALU_DEP_2) | instskip(SKIP_1) | instid1(VALU_DEP_3)
	v_mul_lo_u32 v16, s4, v14
	v_add_nc_u32_e32 v14, 2, v14
	v_mul_lo_u32 v13, v12, s69
	v_mul_lo_u32 v15, v12, s67
	s_delay_alu instid0(VALU_DEP_3) | instskip(SKIP_1) | instid1(VALU_DEP_4)
	v_mad_u64_u32 v[20:21], null, s4, v14, v[1:2]
	v_add3_u32 v17, v16, s4, v1
	v_ashrrev_i32_e32 v14, 31, v13
	s_delay_alu instid0(VALU_DEP_2) | instskip(NEXT) | instid1(VALU_DEP_4)
	v_mul_lo_u32 v12, v17, s69
	v_mul_lo_u32 v24, v20, s69
	;; [unrolled: 1-line block ×3, first 2 shown]
	v_ashrrev_i32_e32 v16, 31, v15
	v_lshlrev_b64 v[38:39], 3, v[13:14]
	v_mul_lo_u32 v20, v20, s67
	s_delay_alu instid0(VALU_DEP_3) | instskip(SKIP_4) | instid1(VALU_DEP_4)
	v_lshlrev_b64 v[14:15], 3, v[15:16]
	v_ashrrev_i32_e32 v13, 31, v12
	v_ashrrev_i32_e32 v25, 31, v24
	v_add_co_u32 v16, vcc_lo, s6, v38
	v_ashrrev_i32_e32 v27, 31, v26
	v_lshlrev_b64 v[12:13], 3, v[12:13]
	s_delay_alu instid0(VALU_DEP_4)
	v_lshlrev_b64 v[24:25], 3, v[24:25]
	v_add_co_ci_u32_e32 v17, vcc_lo, s7, v39, vcc_lo
	v_ashrrev_i32_e32 v21, 31, v20
	v_lshlrev_b64 v[26:27], 3, v[26:27]
	v_add_co_u32 v12, vcc_lo, s6, v12
	v_add_co_ci_u32_e32 v13, vcc_lo, s7, v13, vcc_lo
	v_add_co_u32 v24, vcc_lo, s6, v24
	v_add_co_ci_u32_e32 v25, vcc_lo, s7, v25, vcc_lo
	v_add_co_u32 v14, vcc_lo, s12, v14
	v_lshlrev_b64 v[20:21], 3, v[20:21]
	v_add_co_ci_u32_e32 v15, vcc_lo, s13, v15, vcc_lo
	v_add_co_u32 v38, vcc_lo, s12, v26
	v_add_co_ci_u32_e32 v39, vcc_lo, s13, v27, vcc_lo
	s_delay_alu instid0(VALU_DEP_4)
	v_add_co_u32 v20, vcc_lo, s12, v20
	v_add_co_ci_u32_e32 v21, vcc_lo, s13, v21, vcc_lo
	s_clause 0x2
	global_load_b64 v[26:27], v[16:17], off
	global_load_b64 v[12:13], v[12:13], off
	;; [unrolled: 1-line block ×3, first 2 shown]
	s_clause 0x2
	global_load_b64 v[24:25], v[14:15], off
	global_load_b64 v[14:15], v[38:39], off
	;; [unrolled: 1-line block ×3, first 2 shown]
	s_branch .LBB33_2
.LBB33_5:
	s_nop 0
	s_sendmsg sendmsg(MSG_DEALLOC_VGPRS)
	s_endpgm
	.section	.rodata,"a",@progbits
	.p2align	6, 0x0
	.amdhsa_kernel _ZN2at6native12_GLOBAL__N_16kernel16gru_cell_forwardIddiLi2EEEvNS_4cuda6detail10TensorInfoIT_T1_EES9_S9_S9_S9_S9_S9_S8_S8_
		.amdhsa_group_segment_fixed_size 0
		.amdhsa_private_segment_fixed_size 0
		.amdhsa_kernarg_size 1776
		.amdhsa_user_sgpr_count 15
		.amdhsa_user_sgpr_dispatch_ptr 0
		.amdhsa_user_sgpr_queue_ptr 0
		.amdhsa_user_sgpr_kernarg_segment_ptr 1
		.amdhsa_user_sgpr_dispatch_id 0
		.amdhsa_user_sgpr_private_segment_size 0
		.amdhsa_wavefront_size32 1
		.amdhsa_uses_dynamic_stack 0
		.amdhsa_enable_private_segment 0
		.amdhsa_system_sgpr_workgroup_id_x 1
		.amdhsa_system_sgpr_workgroup_id_y 0
		.amdhsa_system_sgpr_workgroup_id_z 0
		.amdhsa_system_sgpr_workgroup_info 0
		.amdhsa_system_vgpr_workitem_id 0
		.amdhsa_next_free_vgpr 54
		.amdhsa_next_free_sgpr 90
		.amdhsa_reserve_vcc 1
		.amdhsa_float_round_mode_32 0
		.amdhsa_float_round_mode_16_64 0
		.amdhsa_float_denorm_mode_32 3
		.amdhsa_float_denorm_mode_16_64 3
		.amdhsa_dx10_clamp 1
		.amdhsa_ieee_mode 1
		.amdhsa_fp16_overflow 0
		.amdhsa_workgroup_processor_mode 1
		.amdhsa_memory_ordered 1
		.amdhsa_forward_progress 0
		.amdhsa_shared_vgpr_count 0
		.amdhsa_exception_fp_ieee_invalid_op 0
		.amdhsa_exception_fp_denorm_src 0
		.amdhsa_exception_fp_ieee_div_zero 0
		.amdhsa_exception_fp_ieee_overflow 0
		.amdhsa_exception_fp_ieee_underflow 0
		.amdhsa_exception_fp_ieee_inexact 0
		.amdhsa_exception_int_div_zero 0
	.end_amdhsa_kernel
	.section	.text._ZN2at6native12_GLOBAL__N_16kernel16gru_cell_forwardIddiLi2EEEvNS_4cuda6detail10TensorInfoIT_T1_EES9_S9_S9_S9_S9_S9_S8_S8_,"axG",@progbits,_ZN2at6native12_GLOBAL__N_16kernel16gru_cell_forwardIddiLi2EEEvNS_4cuda6detail10TensorInfoIT_T1_EES9_S9_S9_S9_S9_S9_S8_S8_,comdat
.Lfunc_end33:
	.size	_ZN2at6native12_GLOBAL__N_16kernel16gru_cell_forwardIddiLi2EEEvNS_4cuda6detail10TensorInfoIT_T1_EES9_S9_S9_S9_S9_S9_S8_S8_, .Lfunc_end33-_ZN2at6native12_GLOBAL__N_16kernel16gru_cell_forwardIddiLi2EEEvNS_4cuda6detail10TensorInfoIT_T1_EES9_S9_S9_S9_S9_S9_S8_S8_
                                        ; -- End function
	.section	.AMDGPU.csdata,"",@progbits
; Kernel info:
; codeLenInByte = 5780
; NumSgprs: 92
; NumVgprs: 54
; ScratchSize: 0
; MemoryBound: 0
; FloatMode: 240
; IeeeMode: 1
; LDSByteSize: 0 bytes/workgroup (compile time only)
; SGPRBlocks: 11
; VGPRBlocks: 6
; NumSGPRsForWavesPerEU: 92
; NumVGPRsForWavesPerEU: 54
; Occupancy: 16
; WaveLimiterHint : 1
; COMPUTE_PGM_RSRC2:SCRATCH_EN: 0
; COMPUTE_PGM_RSRC2:USER_SGPR: 15
; COMPUTE_PGM_RSRC2:TRAP_HANDLER: 0
; COMPUTE_PGM_RSRC2:TGID_X_EN: 1
; COMPUTE_PGM_RSRC2:TGID_Y_EN: 0
; COMPUTE_PGM_RSRC2:TGID_Z_EN: 0
; COMPUTE_PGM_RSRC2:TIDIG_COMP_CNT: 0
	.section	.text._ZN2at6native12_GLOBAL__N_16kernel16gru_cell_forwardIddlLi1EEEvNS_4cuda6detail10TensorInfoIT_T1_EES9_S9_S9_S9_S9_S9_S8_S8_,"axG",@progbits,_ZN2at6native12_GLOBAL__N_16kernel16gru_cell_forwardIddlLi1EEEvNS_4cuda6detail10TensorInfoIT_T1_EES9_S9_S9_S9_S9_S9_S8_S8_,comdat
	.globl	_ZN2at6native12_GLOBAL__N_16kernel16gru_cell_forwardIddlLi1EEEvNS_4cuda6detail10TensorInfoIT_T1_EES9_S9_S9_S9_S9_S9_S8_S8_ ; -- Begin function _ZN2at6native12_GLOBAL__N_16kernel16gru_cell_forwardIddlLi1EEEvNS_4cuda6detail10TensorInfoIT_T1_EES9_S9_S9_S9_S9_S9_S8_S8_
	.p2align	8
	.type	_ZN2at6native12_GLOBAL__N_16kernel16gru_cell_forwardIddlLi1EEEvNS_4cuda6detail10TensorInfoIT_T1_EES9_S9_S9_S9_S9_S9_S8_S8_,@function
_ZN2at6native12_GLOBAL__N_16kernel16gru_cell_forwardIddlLi1EEEvNS_4cuda6detail10TensorInfoIT_T1_EES9_S9_S9_S9_S9_S9_S8_S8_: ; @_ZN2at6native12_GLOBAL__N_16kernel16gru_cell_forwardIddlLi1EEEvNS_4cuda6detail10TensorInfoIT_T1_EES9_S9_S9_S9_S9_S9_S8_S8_
; %bb.0:
	s_clause 0x1
	s_load_b32 s2, s[0:1], 0xb7c
	s_load_b128 s[4:7], s[0:1], 0xb60
	v_mov_b32_e32 v1, 0
	s_add_u32 s8, s0, 0xb70
	s_addc_u32 s9, s1, 0
	s_waitcnt lgkmcnt(0)
	s_and_b32 s26, s2, 0xffff
	s_mov_b32 s2, exec_lo
	v_mad_u64_u32 v[3:4], null, s15, s26, v[0:1]
	v_mov_b32_e32 v4, v1
	s_delay_alu instid0(VALU_DEP_1)
	v_cmpx_gt_i64_e64 s[6:7], v[3:4]
	s_cbranch_execz .LBB34_9
; %bb.1:
	s_clause 0x1
	s_load_b64 s[30:31], s[0:1], 0x750
	s_load_b64 s[2:3], s[0:1], 0x340
	s_load_b32 s27, s[8:9], 0x0
	s_clause 0xb
	s_load_b64 s[34:35], s[0:1], 0x8f0
	s_load_b64 s[36:37], s[0:1], 0x680
	;; [unrolled: 1-line block ×12, first 2 shown]
	s_mov_b32 s40, 0x3b39803f
	s_mov_b32 s42, 0xfca7ab0c
	s_mov_b32 s44, 0x6a5dcb37
	s_mov_b32 s46, 0x623fde64
	s_mov_b32 s48, 0x7c89e6b0
	s_waitcnt lgkmcnt(0)
	v_mul_lo_u32 v0, 0, s30
	v_mul_lo_u32 v2, v3, s31
	v_mad_u64_u32 v[5:6], null, v3, s30, 0
	v_mul_lo_u32 v9, 0, s34
	v_mul_lo_u32 v10, v3, s35
	v_mad_u64_u32 v[7:8], null, v3, s34, 0
	s_cmp_lg_u64 s[2:3], 0
	s_mul_i32 s74, s27, s26
	s_delay_alu instid0(VALU_DEP_4) | instskip(SKIP_3) | instid1(VALU_DEP_3)
	v_add3_u32 v6, v6, v2, v0
	v_cvt_f32_u32_e32 v0, s4
	s_cselect_b32 s75, -1, 0
	s_lshl_b64 s[26:27], s[4:5], 1
	v_add3_u32 v8, v8, v10, v9
	v_lshlrev_b64 v[5:6], 3, v[5:6]
	v_rcp_iflag_f32_e32 v0, v0
	s_lshl_b64 s[28:29], s[4:5], 2
	s_mul_i32 s0, s74, s31
	v_lshlrev_b64 v[7:8], 3, v[7:8]
	s_mul_hi_u32 s1, s74, s30
	v_add_co_u32 v5, vcc_lo, s36, v5
	v_add_co_ci_u32_e32 v6, vcc_lo, s37, v6, vcc_lo
	s_sub_u32 s76, 0, s4
	s_waitcnt_depctr 0xfff
	v_mul_f32_e32 v0, 0x4f7ffffe, v0
	v_add_co_u32 v7, vcc_lo, s38, v7
	s_subb_u32 s77, 0, s5
	s_add_i32 s1, s1, s0
	s_mul_i32 s0, s74, s30
	s_mul_i32 s35, s74, s35
	s_mul_hi_u32 s36, s74, s34
	v_add_co_ci_u32_e32 v8, vcc_lo, s39, v8, vcc_lo
	v_cvt_u32_f32_e32 v0, v0
	s_lshl_b64 s[30:31], s[0:1], 3
	s_add_i32 s1, s36, s35
	s_mul_i32 s0, s74, s34
	s_mov_b32 s36, 0x652b82fe
	s_mov_b32 s38, 0xfefa39ef
	;; [unrolled: 1-line block ×11, first 2 shown]
	s_lshl_b64 s[34:35], s[0:1], 3
	s_mov_b32 s37, 0xbff71547
	s_mov_b32 s39, 0xbfe62e42
	;; [unrolled: 1-line block ×15, first 2 shown]
	s_ashr_i32 s66, s5, 31
	s_mov_b32 s69, 0x3ff71547
	s_mov_b32 s70, 0xfefa3000
	s_branch .LBB34_3
.LBB34_2:                               ;   in Loop: Header=BB34_3 Depth=1
	s_waitcnt vmcnt(3)
	v_add_f64 v[25:26], v[25:26], v[27:28]
	v_add_f64 v[21:22], v[21:22], v[29:30]
	s_waitcnt vmcnt(0)
	v_add_f64 v[23:24], v[23:24], v[31:32]
	s_mov_b32 s68, s36
	s_mov_b32 s71, s39
	v_add_f64 v[13:14], v[13:14], v[15:16]
	s_delay_alu instid0(VALU_DEP_4) | instskip(NEXT) | instid1(VALU_DEP_2)
	v_add_f64 v[25:26], v[25:26], v[35:36]
	v_add_f64 v[13:14], v[13:14], v[17:18]
	s_delay_alu instid0(VALU_DEP_2) | instskip(NEXT) | instid1(VALU_DEP_2)
	v_add_f64 v[25:26], v[33:34], v[25:26]
	v_add_f64 v[13:14], v[13:14], v[19:20]
	s_delay_alu instid0(VALU_DEP_2) | instskip(SKIP_1) | instid1(VALU_DEP_2)
	v_mul_f64 v[27:28], v[25:26], s[36:37]
	v_cmp_nlt_f64_e64 s0, 0x4090cc00, v[25:26]
	v_rndne_f64_e32 v[27:28], v[27:28]
	s_delay_alu instid0(VALU_DEP_1) | instskip(SKIP_1) | instid1(VALU_DEP_2)
	v_fma_f64 v[33:34], v[27:28], s[38:39], -v[25:26]
	v_cvt_i32_f64_e32 v2, v[27:28]
	v_fma_f64 v[33:34], v[27:28], s[40:41], v[33:34]
	s_delay_alu instid0(VALU_DEP_1) | instskip(NEXT) | instid1(VALU_DEP_1)
	v_fma_f64 v[35:36], v[33:34], s[44:45], s[42:43]
	v_fma_f64 v[35:36], v[33:34], v[35:36], s[46:47]
	s_delay_alu instid0(VALU_DEP_1) | instskip(NEXT) | instid1(VALU_DEP_1)
	v_fma_f64 v[35:36], v[33:34], v[35:36], s[48:49]
	;; [unrolled: 3-line block ×5, first 2 shown]
	v_fma_f64 v[35:36], v[33:34], v[35:36], 1.0
	s_delay_alu instid0(VALU_DEP_1) | instskip(NEXT) | instid1(VALU_DEP_1)
	v_fma_f64 v[27:28], v[33:34], v[35:36], 1.0
	v_ldexp_f64 v[27:28], v[27:28], v2
	s_delay_alu instid0(VALU_DEP_1) | instskip(NEXT) | instid1(VALU_DEP_1)
	v_add_f64 v[27:28], v[27:28], 1.0
	v_div_scale_f64 v[33:34], null, v[27:28], v[27:28], 1.0
	v_div_scale_f64 v[39:40], vcc_lo, 1.0, v[27:28], 1.0
	s_delay_alu instid0(VALU_DEP_2) | instskip(SKIP_2) | instid1(VALU_DEP_1)
	v_rcp_f64_e32 v[35:36], v[33:34]
	s_waitcnt_depctr 0xfff
	v_fma_f64 v[37:38], -v[33:34], v[35:36], 1.0
	v_fma_f64 v[35:36], v[35:36], v[37:38], v[35:36]
	s_delay_alu instid0(VALU_DEP_1) | instskip(NEXT) | instid1(VALU_DEP_1)
	v_fma_f64 v[37:38], -v[33:34], v[35:36], 1.0
	v_fma_f64 v[35:36], v[35:36], v[37:38], v[35:36]
	s_delay_alu instid0(VALU_DEP_1) | instskip(NEXT) | instid1(VALU_DEP_1)
	v_mul_f64 v[37:38], v[39:40], v[35:36]
	v_fma_f64 v[33:34], -v[33:34], v[37:38], v[39:40]
	s_delay_alu instid0(VALU_DEP_1) | instskip(SKIP_1) | instid1(VALU_DEP_2)
	v_div_fmas_f64 v[33:34], v[33:34], v[35:36], v[37:38]
	v_cmp_ngt_f64_e32 vcc_lo, 0xc0900000, v[25:26]
	v_div_fixup_f64 v[27:28], v[33:34], v[27:28], 1.0
	s_delay_alu instid0(VALU_DEP_1) | instskip(SKIP_1) | instid1(VALU_DEP_2)
	v_cndmask_b32_e32 v2, 0, v28, vcc_lo
	s_and_b32 vcc_lo, s0, vcc_lo
	v_cndmask_b32_e32 v25, 0, v27, vcc_lo
	s_delay_alu instid0(VALU_DEP_2) | instskip(NEXT) | instid1(VALU_DEP_1)
	v_cndmask_b32_e64 v26, 0x3ff00000, v2, s0
	v_fma_f64 v[21:22], v[23:24], v[25:26], v[21:22]
	s_delay_alu instid0(VALU_DEP_1) | instskip(SKIP_1) | instid1(VALU_DEP_2)
	v_mul_f64 v[27:28], |v[21:22]|, s[68:69]
	v_cmp_nlt_f64_e64 s0, 0x40331000, |v[21:22]|
	v_rndne_f64_e32 v[27:28], v[27:28]
	s_delay_alu instid0(VALU_DEP_1) | instskip(SKIP_2) | instid1(VALU_DEP_3)
	v_fma_f64 v[29:30], v[27:28], s[70:71], |v[21:22]|
	v_mul_f64 v[31:32], v[27:28], s[62:63]
	v_cvt_i32_f64_e32 v2, v[27:28]
	v_add_f64 v[33:34], v[29:30], 0
	s_delay_alu instid0(VALU_DEP_1) | instskip(SKIP_1) | instid1(VALU_DEP_2)
	v_add_f64 v[35:36], v[33:34], v[31:32]
	v_add_f64 v[29:30], v[29:30], -v[33:34]
	v_add_f64 v[33:34], v[33:34], -v[35:36]
	s_delay_alu instid0(VALU_DEP_2) | instskip(NEXT) | instid1(VALU_DEP_2)
	v_add_f64 v[29:30], v[29:30], 0
	v_add_f64 v[31:32], v[33:34], v[31:32]
	s_delay_alu instid0(VALU_DEP_1) | instskip(SKIP_1) | instid1(VALU_DEP_2)
	v_add_f64 v[29:30], v[29:30], v[31:32]
	v_mul_f64 v[31:32], v[27:28], s[64:65]
	v_add_f64 v[33:34], v[35:36], v[29:30]
	s_delay_alu instid0(VALU_DEP_1) | instskip(SKIP_1) | instid1(VALU_DEP_2)
	v_add_f64 v[37:38], v[33:34], v[31:32]
	v_add_f64 v[35:36], v[35:36], -v[33:34]
	v_add_f64 v[33:34], v[33:34], -v[37:38]
	s_delay_alu instid0(VALU_DEP_2) | instskip(NEXT) | instid1(VALU_DEP_2)
	v_add_f64 v[29:30], v[29:30], v[35:36]
	v_add_f64 v[31:32], v[33:34], v[31:32]
	s_delay_alu instid0(VALU_DEP_1) | instskip(NEXT) | instid1(VALU_DEP_1)
	v_add_f64 v[29:30], v[29:30], v[31:32]
	v_add_f64 v[31:32], v[37:38], v[29:30]
	s_delay_alu instid0(VALU_DEP_1) | instskip(SKIP_2) | instid1(VALU_DEP_3)
	v_fma_f64 v[33:34], v[31:32], s[44:45], s[42:43]
	v_add_f64 v[35:36], v[37:38], -v[31:32]
	v_mul_f64 v[37:38], v[31:32], v[31:32]
	v_fma_f64 v[33:34], v[31:32], v[33:34], s[46:47]
	s_delay_alu instid0(VALU_DEP_3) | instskip(NEXT) | instid1(VALU_DEP_3)
	v_add_f64 v[29:30], v[29:30], v[35:36]
	v_fma_f64 v[35:36], v[31:32], v[31:32], -v[37:38]
	s_delay_alu instid0(VALU_DEP_3) | instskip(NEXT) | instid1(VALU_DEP_3)
	v_fma_f64 v[33:34], v[31:32], v[33:34], s[48:49]
	v_add_f64 v[39:40], v[29:30], v[29:30]
	s_delay_alu instid0(VALU_DEP_2) | instskip(NEXT) | instid1(VALU_DEP_2)
	v_fma_f64 v[33:34], v[31:32], v[33:34], s[50:51]
	v_fma_f64 v[35:36], v[31:32], v[39:40], v[35:36]
	s_delay_alu instid0(VALU_DEP_2) | instskip(NEXT) | instid1(VALU_DEP_2)
	v_fma_f64 v[33:34], v[31:32], v[33:34], s[52:53]
	v_add_f64 v[39:40], v[37:38], v[35:36]
	s_delay_alu instid0(VALU_DEP_2) | instskip(NEXT) | instid1(VALU_DEP_2)
	v_fma_f64 v[33:34], v[31:32], v[33:34], s[54:55]
	v_add_f64 v[37:38], v[39:40], -v[37:38]
	s_delay_alu instid0(VALU_DEP_2) | instskip(NEXT) | instid1(VALU_DEP_2)
	v_fma_f64 v[33:34], v[31:32], v[33:34], s[56:57]
	v_add_f64 v[35:36], v[35:36], -v[37:38]
	s_delay_alu instid0(VALU_DEP_2) | instskip(NEXT) | instid1(VALU_DEP_1)
	v_fma_f64 v[33:34], v[31:32], v[33:34], s[58:59]
	v_fma_f64 v[33:34], v[31:32], v[33:34], s[60:61]
	s_delay_alu instid0(VALU_DEP_1) | instskip(NEXT) | instid1(VALU_DEP_1)
	v_mul_f64 v[41:42], v[39:40], v[33:34]
	v_fma_f64 v[37:38], v[39:40], v[33:34], -v[41:42]
	s_delay_alu instid0(VALU_DEP_1) | instskip(NEXT) | instid1(VALU_DEP_1)
	v_fma_f64 v[33:34], v[35:36], v[33:34], v[37:38]
	v_add_f64 v[35:36], v[41:42], v[33:34]
	s_delay_alu instid0(VALU_DEP_1) | instskip(SKIP_1) | instid1(VALU_DEP_2)
	v_add_f64 v[37:38], v[31:32], v[35:36]
	v_add_f64 v[39:40], v[35:36], -v[41:42]
	v_add_f64 v[31:32], v[37:38], -v[31:32]
	s_delay_alu instid0(VALU_DEP_2) | instskip(NEXT) | instid1(VALU_DEP_2)
	v_add_f64 v[33:34], v[33:34], -v[39:40]
	v_add_f64 v[31:32], v[35:36], -v[31:32]
	s_delay_alu instid0(VALU_DEP_2) | instskip(NEXT) | instid1(VALU_DEP_1)
	v_add_f64 v[29:30], v[29:30], v[33:34]
	v_add_f64 v[29:30], v[29:30], v[31:32]
	s_delay_alu instid0(VALU_DEP_1) | instskip(NEXT) | instid1(VALU_DEP_1)
	v_add_f64 v[31:32], v[37:38], v[29:30]
	v_add_f64 v[33:34], v[31:32], 1.0
	v_add_f64 v[35:36], v[31:32], -v[37:38]
	s_delay_alu instid0(VALU_DEP_2) | instskip(NEXT) | instid1(VALU_DEP_2)
	v_add_f64 v[37:38], v[33:34], -1.0
	v_add_f64 v[29:30], v[29:30], -v[35:36]
	s_delay_alu instid0(VALU_DEP_2) | instskip(NEXT) | instid1(VALU_DEP_1)
	v_add_f64 v[31:32], v[31:32], -v[37:38]
	v_add_f64 v[29:30], v[29:30], v[31:32]
	s_delay_alu instid0(VALU_DEP_1) | instskip(NEXT) | instid1(VALU_DEP_1)
	v_add_f64 v[27:28], v[33:34], v[29:30]
	v_ldexp_f64 v[31:32], v[27:28], v2
	v_add_f64 v[27:28], v[27:28], -v[33:34]
	s_delay_alu instid0(VALU_DEP_2) | instskip(NEXT) | instid1(VALU_DEP_1)
	v_rcp_f64_e32 v[35:36], v[31:32]
	v_add_f64 v[27:28], v[29:30], -v[27:28]
	s_delay_alu instid0(VALU_DEP_1) | instskip(SKIP_2) | instid1(VALU_DEP_1)
	v_ldexp_f64 v[27:28], v[27:28], v2
	s_waitcnt_depctr 0xfff
	v_fma_f64 v[37:38], -v[31:32], v[35:36], 1.0
	v_fma_f64 v[35:36], v[37:38], v[35:36], v[35:36]
	s_delay_alu instid0(VALU_DEP_1) | instskip(NEXT) | instid1(VALU_DEP_1)
	v_fma_f64 v[37:38], -v[31:32], v[35:36], 1.0
	v_fma_f64 v[33:34], v[37:38], v[35:36], v[35:36]
	s_delay_alu instid0(VALU_DEP_1) | instskip(NEXT) | instid1(VALU_DEP_1)
	v_mul_f64 v[29:30], v[31:32], v[33:34]
	v_fma_f64 v[35:36], v[33:34], v[31:32], -v[29:30]
	s_delay_alu instid0(VALU_DEP_1) | instskip(NEXT) | instid1(VALU_DEP_1)
	v_fma_f64 v[35:36], v[33:34], v[27:28], v[35:36]
	v_add_f64 v[37:38], v[29:30], v[35:36]
	s_delay_alu instid0(VALU_DEP_1) | instskip(SKIP_1) | instid1(VALU_DEP_2)
	v_add_f64 v[39:40], -v[37:38], 1.0
	v_add_f64 v[29:30], v[37:38], -v[29:30]
	v_add_f64 v[41:42], -v[39:40], 1.0
	s_delay_alu instid0(VALU_DEP_2) | instskip(NEXT) | instid1(VALU_DEP_2)
	v_add_f64 v[29:30], v[29:30], -v[35:36]
	v_add_f64 v[35:36], v[41:42], -v[37:38]
	s_delay_alu instid0(VALU_DEP_1) | instskip(NEXT) | instid1(VALU_DEP_1)
	v_add_f64 v[29:30], v[29:30], v[35:36]
	v_add_f64 v[35:36], v[39:40], v[29:30]
	s_delay_alu instid0(VALU_DEP_1) | instskip(SKIP_1) | instid1(VALU_DEP_2)
	v_mul_f64 v[37:38], v[33:34], v[35:36]
	v_add_f64 v[39:40], v[39:40], -v[35:36]
	v_mul_f64 v[41:42], v[31:32], v[37:38]
	s_delay_alu instid0(VALU_DEP_2) | instskip(SKIP_1) | instid1(VALU_DEP_3)
	v_add_f64 v[29:30], v[29:30], v[39:40]
	v_add_f64 v[15:16], v[33:34], v[37:38]
	v_fma_f64 v[43:44], v[37:38], v[31:32], -v[41:42]
	s_delay_alu instid0(VALU_DEP_2) | instskip(NEXT) | instid1(VALU_DEP_2)
	v_add_f64 v[17:18], v[15:16], -v[33:34]
	v_fma_f64 v[43:44], v[37:38], v[27:28], v[43:44]
	s_delay_alu instid0(VALU_DEP_2) | instskip(NEXT) | instid1(VALU_DEP_2)
	v_add_f64 v[17:18], v[37:38], -v[17:18]
	v_add_f64 v[45:46], v[41:42], v[43:44]
	s_delay_alu instid0(VALU_DEP_1) | instskip(SKIP_1) | instid1(VALU_DEP_2)
	v_add_f64 v[47:48], v[35:36], -v[45:46]
	v_add_f64 v[39:40], v[45:46], -v[41:42]
	;; [unrolled: 1-line block ×3, first 2 shown]
	s_delay_alu instid0(VALU_DEP_2) | instskip(NEXT) | instid1(VALU_DEP_2)
	v_add_f64 v[39:40], v[39:40], -v[43:44]
	v_add_f64 v[35:36], v[35:36], -v[45:46]
	s_delay_alu instid0(VALU_DEP_1) | instskip(NEXT) | instid1(VALU_DEP_1)
	v_add_f64 v[29:30], v[29:30], v[35:36]
	v_add_f64 v[29:30], v[39:40], v[29:30]
	s_delay_alu instid0(VALU_DEP_1) | instskip(NEXT) | instid1(VALU_DEP_1)
	v_add_f64 v[29:30], v[47:48], v[29:30]
	v_mul_f64 v[19:20], v[33:34], v[29:30]
	v_mul_f64 v[29:30], v[13:14], s[36:37]
	s_delay_alu instid0(VALU_DEP_2) | instskip(NEXT) | instid1(VALU_DEP_2)
	v_add_f64 v[17:18], v[17:18], v[19:20]
	v_rndne_f64_e32 v[19:20], v[29:30]
	s_delay_alu instid0(VALU_DEP_2) | instskip(NEXT) | instid1(VALU_DEP_2)
	v_add_f64 v[29:30], v[15:16], v[17:18]
	v_fma_f64 v[33:34], v[19:20], s[38:39], -v[13:14]
	v_cvt_i32_f64_e32 v2, v[19:20]
	s_delay_alu instid0(VALU_DEP_3) | instskip(SKIP_1) | instid1(VALU_DEP_4)
	v_add_f64 v[35:36], v[31:32], v[29:30]
	v_add_f64 v[15:16], v[29:30], -v[15:16]
	v_fma_f64 v[33:34], v[19:20], s[40:41], v[33:34]
	v_add_f64 v[41:42], v[31:32], -v[29:30]
	s_delay_alu instid0(VALU_DEP_4) | instskip(NEXT) | instid1(VALU_DEP_4)
	v_add_f64 v[37:38], v[35:36], -v[31:32]
	v_add_f64 v[15:16], v[17:18], -v[15:16]
	s_delay_alu instid0(VALU_DEP_4) | instskip(NEXT) | instid1(VALU_DEP_4)
	v_fma_f64 v[17:18], v[33:34], s[44:45], s[42:43]
	v_add_f64 v[31:32], v[31:32], -v[41:42]
	s_delay_alu instid0(VALU_DEP_4) | instskip(NEXT) | instid1(VALU_DEP_4)
	v_add_f64 v[37:38], v[29:30], -v[37:38]
	v_add_f64 v[39:40], v[27:28], v[15:16]
	s_delay_alu instid0(VALU_DEP_4) | instskip(NEXT) | instid1(VALU_DEP_4)
	v_fma_f64 v[17:18], v[33:34], v[17:18], s[46:47]
	v_add_f64 v[29:30], v[31:32], -v[29:30]
	s_delay_alu instid0(VALU_DEP_3) | instskip(NEXT) | instid1(VALU_DEP_3)
	v_add_f64 v[37:38], v[39:40], v[37:38]
	v_fma_f64 v[17:18], v[33:34], v[17:18], s[48:49]
	s_delay_alu instid0(VALU_DEP_3) | instskip(NEXT) | instid1(VALU_DEP_3)
	v_add_f64 v[27:28], v[27:28], v[29:30]
	v_add_f64 v[39:40], v[35:36], v[37:38]
	s_delay_alu instid0(VALU_DEP_3) | instskip(NEXT) | instid1(VALU_DEP_3)
	v_fma_f64 v[17:18], v[33:34], v[17:18], s[50:51]
	v_add_f64 v[15:16], v[27:28], -v[15:16]
	s_delay_alu instid0(VALU_DEP_3) | instskip(NEXT) | instid1(VALU_DEP_2)
	v_rcp_f64_e32 v[43:44], v[39:40]
	v_fma_f64 v[17:18], v[33:34], v[17:18], s[52:53]
	v_add_f64 v[35:36], v[39:40], -v[35:36]
	s_delay_alu instid0(VALU_DEP_2) | instskip(SKIP_4) | instid1(VALU_DEP_3)
	v_fma_f64 v[17:18], v[33:34], v[17:18], s[54:55]
	s_waitcnt_depctr 0xfff
	v_fma_f64 v[31:32], -v[39:40], v[43:44], 1.0
	v_add_f64 v[19:20], v[37:38], -v[35:36]
	v_fma_f64 v[17:18], v[33:34], v[17:18], s[56:57]
	v_fma_f64 v[29:30], v[31:32], v[43:44], v[43:44]
	v_add_f64 v[31:32], v[41:42], v[15:16]
	s_delay_alu instid0(VALU_DEP_3) | instskip(NEXT) | instid1(VALU_DEP_3)
	v_fma_f64 v[17:18], v[33:34], v[17:18], s[58:59]
	v_fma_f64 v[27:28], -v[39:40], v[29:30], 1.0
	s_delay_alu instid0(VALU_DEP_2) | instskip(NEXT) | instid1(VALU_DEP_2)
	v_fma_f64 v[17:18], v[33:34], v[17:18], s[60:61]
	v_fma_f64 v[27:28], v[27:28], v[29:30], v[29:30]
	s_delay_alu instid0(VALU_DEP_2) | instskip(NEXT) | instid1(VALU_DEP_2)
	v_fma_f64 v[17:18], v[33:34], v[17:18], 1.0
	v_mul_f64 v[29:30], v[31:32], v[27:28]
	s_delay_alu instid0(VALU_DEP_2) | instskip(NEXT) | instid1(VALU_DEP_2)
	v_fma_f64 v[17:18], v[33:34], v[17:18], 1.0
	v_mul_f64 v[43:44], v[39:40], v[29:30]
	s_delay_alu instid0(VALU_DEP_2) | instskip(NEXT) | instid1(VALU_DEP_2)
	v_ldexp_f64 v[17:18], v[17:18], v2
	v_fma_f64 v[33:34], v[29:30], v[39:40], -v[43:44]
	s_delay_alu instid0(VALU_DEP_2) | instskip(NEXT) | instid1(VALU_DEP_2)
	v_add_f64 v[17:18], v[17:18], 1.0
	v_fma_f64 v[19:20], v[29:30], v[19:20], v[33:34]
	s_delay_alu instid0(VALU_DEP_2) | instskip(NEXT) | instid1(VALU_DEP_2)
	v_div_scale_f64 v[35:36], null, v[17:18], v[17:18], 1.0
	v_add_f64 v[33:34], v[43:44], v[19:20]
	s_delay_alu instid0(VALU_DEP_2) | instskip(NEXT) | instid1(VALU_DEP_1)
	v_rcp_f64_e32 v[39:40], v[35:36]
	v_add_f64 v[37:38], v[31:32], -v[33:34]
	v_add_f64 v[43:44], v[33:34], -v[43:44]
	s_delay_alu instid0(VALU_DEP_2)
	v_add_f64 v[45:46], v[31:32], -v[37:38]
	s_waitcnt_depctr 0xfff
	v_fma_f64 v[47:48], -v[35:36], v[39:40], 1.0
	v_add_f64 v[31:32], v[31:32], -v[41:42]
	v_add_f64 v[19:20], v[19:20], -v[43:44]
	;; [unrolled: 1-line block ×3, first 2 shown]
	s_delay_alu instid0(VALU_DEP_4) | instskip(NEXT) | instid1(VALU_DEP_4)
	v_fma_f64 v[39:40], v[39:40], v[47:48], v[39:40]
	v_add_f64 v[15:16], v[15:16], -v[31:32]
	s_delay_alu instid0(VALU_DEP_3) | instskip(NEXT) | instid1(VALU_DEP_3)
	v_add_f64 v[19:20], v[33:34], -v[19:20]
	v_fma_f64 v[31:32], -v[35:36], v[39:40], 1.0
	s_delay_alu instid0(VALU_DEP_2) | instskip(SKIP_1) | instid1(VALU_DEP_3)
	v_add_f64 v[15:16], v[15:16], v[19:20]
	v_div_scale_f64 v[19:20], vcc_lo, 1.0, v[17:18], 1.0
	v_fma_f64 v[31:32], v[39:40], v[31:32], v[39:40]
	s_delay_alu instid0(VALU_DEP_3) | instskip(NEXT) | instid1(VALU_DEP_2)
	v_add_f64 v[15:16], v[37:38], v[15:16]
	v_mul_f64 v[33:34], v[19:20], v[31:32]
	s_delay_alu instid0(VALU_DEP_2) | instskip(SKIP_1) | instid1(VALU_DEP_3)
	v_mul_f64 v[15:16], v[27:28], v[15:16]
	v_mul_lo_u32 v28, s29, v9
	v_fma_f64 v[19:20], -v[35:36], v[33:34], v[19:20]
	s_delay_alu instid0(VALU_DEP_3) | instskip(NEXT) | instid1(VALU_DEP_2)
	v_add_f64 v[15:16], v[29:30], v[15:16]
	v_div_fmas_f64 v[19:20], v[19:20], v[31:32], v[33:34]
	v_cmp_gt_f64_e64 vcc_lo, 0x3e400000, |v[21:22]|
	s_delay_alu instid0(VALU_DEP_3) | instskip(NEXT) | instid1(VALU_DEP_4)
	v_cndmask_b32_e64 v2, 0x3ff00000, v16, s0
	v_cndmask_b32_e64 v27, 0, v15, s0
	v_and_b32_e32 v32, 0x7fffffff, v22
	v_div_fixup_f64 v[15:16], v[19:20], v[17:18], 1.0
	v_lshlrev_b64 v[17:18], 2, v[9:10]
	v_mad_u64_u32 v[19:20], null, s28, v9, v[3:4]
	s_delay_alu instid0(VALU_DEP_4) | instskip(SKIP_3) | instid1(VALU_DEP_1)
	v_dual_cndmask_b32 v9, v27, v21 :: v_dual_cndmask_b32 v2, v2, v32
	v_cmp_ngt_f64_e32 vcc_lo, 0xc0900000, v[13:14]
	v_mul_lo_u32 v10, s28, v10
	v_add_co_u32 v34, s0, v17, 4
	v_add_co_ci_u32_e64 v35, s0, 0, v18, s0
	v_cmp_nlt_f64_e64 s0, 0x4090cc00, v[13:14]
	v_or_b32_e32 v29, 1, v17
	v_or_b32_e32 v30, 2, v17
	v_add3_u32 v32, v28, v20, v10
	v_bfi_b32 v10, 0x7fffffff, v2, v22
	v_or_b32_e32 v31, 3, v17
	v_mul_lo_u32 v33, s4, v18
	v_mul_lo_u32 v2, v19, s25
	v_mad_u64_u32 v[13:14], null, v19, s24, 0
	v_mul_lo_u32 v22, s5, v29
	v_mad_u64_u32 v[18:19], null, s4, v29, v[3:4]
	;; [unrolled: 2-line block ×4, first 2 shown]
	v_mul_lo_u32 v40, v32, s24
	v_add3_u32 v22, v22, v19, v33
	v_mul_lo_u32 v41, v18, s25
	v_mad_u64_u32 v[31:32], null, v18, s24, 0
	v_add3_u32 v37, v37, v21, v33
	v_mul_lo_u32 v42, v20, s25
	v_mad_u64_u32 v[18:19], null, v20, s24, 0
	;; [unrolled: 3-line block ×3, first 2 shown]
	v_cndmask_b32_e32 v36, 0, v16, vcc_lo
	v_add_f64 v[16:17], v[11:12], -v[9:10]
	v_mul_lo_u32 v35, s4, v35
	v_mul_lo_u32 v39, s5, v34
	v_mad_u64_u32 v[29:30], null, s4, v34, v[3:4]
	s_and_b32 vcc_lo, s0, vcc_lo
	v_cndmask_b32_e64 v28, 0x3ff00000, v36, s0
	v_cndmask_b32_e32 v27, 0, v15, vcc_lo
	v_add3_u32 v14, v14, v2, v40
	v_mul_lo_u32 v2, v22, s24
	v_mul_lo_u32 v22, v38, s24
	v_add3_u32 v30, v39, v30, v35
	v_mul_lo_u32 v35, v29, s25
	v_mad_u64_u32 v[33:34], null, v29, s24, 0
	v_lshlrev_b64 v[13:14], 3, v[13:14]
	s_delay_alu instid0(VALU_DEP_4) | instskip(SKIP_4) | instid1(VALU_DEP_1)
	v_mul_lo_u32 v29, v30, s24
	v_add3_u32 v32, v32, v41, v2
	v_add3_u32 v21, v21, v43, v22
	v_add_co_u32 v3, s1, v3, s74
	v_add_co_u32 v13, s0, s22, v13
	v_add_co_ci_u32_e64 v14, s0, s23, v14, s0
	v_add3_u32 v34, v34, v35, v29
	v_lshlrev_b64 v[29:30], 3, v[31:32]
	v_add_co_ci_u32_e64 v4, s1, 0, v4, s1
	v_add_co_u32 v5, vcc_lo, v5, s30
	v_add_co_ci_u32_e32 v6, vcc_lo, s31, v6, vcc_lo
	s_delay_alu instid0(VALU_DEP_4) | instskip(NEXT) | instid1(VALU_DEP_1)
	v_add_co_u32 v29, s0, s22, v29
	v_add_co_ci_u32_e64 v30, s0, s23, v30, s0
	v_cmp_le_i64_e32 vcc_lo, s[6:7], v[3:4]
	v_fma_f64 v[15:16], v[27:28], v[16:17], v[9:10]
	v_mul_lo_u32 v17, v37, s24
	global_store_b64 v[7:8], v[15:16], off
	s_clause 0x1
	global_store_b64 v[13:14], v[25:26], off
	global_store_b64 v[29:30], v[27:28], off
	v_add3_u32 v19, v19, v42, v17
	s_or_b32 s33, vcc_lo, s33
	s_delay_alu instid0(VALU_DEP_1) | instskip(SKIP_2) | instid1(VALU_DEP_3)
	v_lshlrev_b64 v[17:18], 3, v[18:19]
	v_lshlrev_b64 v[19:20], 3, v[20:21]
	v_lshlrev_b64 v[21:22], 3, v[33:34]
	v_add_co_u32 v17, s0, s22, v17
	s_delay_alu instid0(VALU_DEP_1) | instskip(NEXT) | instid1(VALU_DEP_4)
	v_add_co_ci_u32_e64 v18, s0, s23, v18, s0
	v_add_co_u32 v19, s0, s22, v19
	s_delay_alu instid0(VALU_DEP_1) | instskip(SKIP_1) | instid1(VALU_DEP_1)
	v_add_co_ci_u32_e64 v20, s0, s23, v20, s0
	v_add_co_u32 v21, s0, s22, v21
	v_add_co_ci_u32_e64 v22, s0, s23, v22, s0
	v_add_co_u32 v7, s0, v7, s34
	s_delay_alu instid0(VALU_DEP_1)
	v_add_co_ci_u32_e64 v8, s0, s35, v8, s0
	s_clause 0x2
	global_store_b64 v[17:18], v[9:10], off
	global_store_b64 v[19:20], v[11:12], off
	;; [unrolled: 1-line block ×3, first 2 shown]
	s_and_not1_b32 exec_lo, exec_lo, s33
	s_cbranch_execz .LBB34_9
.LBB34_3:                               ; =>This Inner Loop Header: Depth=1
	v_or_b32_e32 v2, s5, v4
                                        ; implicit-def: $vgpr9_vgpr10
	s_mov_b32 s0, exec_lo
	s_delay_alu instid0(VALU_DEP_1)
	v_cmpx_ne_u64_e32 0, v[1:2]
	s_xor_b32 s1, exec_lo, s0
	s_cbranch_execz .LBB34_5
; %bb.4:                                ;   in Loop: Header=BB34_3 Depth=1
	s_add_u32 s72, s4, s66
	s_mov_b32 s67, s66
	s_addc_u32 s73, s5, s66
	s_delay_alu instid0(SALU_CYCLE_1) | instskip(NEXT) | instid1(SALU_CYCLE_1)
	s_xor_b64 s[72:73], s[72:73], s[66:67]
	v_cvt_f32_u32_e32 v2, s72
	v_cvt_f32_u32_e32 v9, s73
	s_sub_u32 s0, 0, s72
	s_subb_u32 s67, 0, s73
	s_delay_alu instid0(VALU_DEP_1) | instskip(NEXT) | instid1(VALU_DEP_1)
	v_fmac_f32_e32 v2, 0x4f800000, v9
	v_rcp_f32_e32 v2, v2
	s_waitcnt_depctr 0xfff
	v_mul_f32_e32 v2, 0x5f7ffffc, v2
	s_delay_alu instid0(VALU_DEP_1) | instskip(NEXT) | instid1(VALU_DEP_1)
	v_mul_f32_e32 v9, 0x2f800000, v2
	v_trunc_f32_e32 v9, v9
	s_delay_alu instid0(VALU_DEP_1) | instskip(SKIP_1) | instid1(VALU_DEP_2)
	v_fmac_f32_e32 v2, 0xcf800000, v9
	v_cvt_u32_f32_e32 v9, v9
	v_cvt_u32_f32_e32 v2, v2
	s_delay_alu instid0(VALU_DEP_2) | instskip(NEXT) | instid1(VALU_DEP_2)
	v_mul_lo_u32 v10, s0, v9
	v_mul_hi_u32 v11, s0, v2
	v_mul_lo_u32 v12, s67, v2
	s_delay_alu instid0(VALU_DEP_2) | instskip(SKIP_1) | instid1(VALU_DEP_2)
	v_add_nc_u32_e32 v10, v11, v10
	v_mul_lo_u32 v11, s0, v2
	v_add_nc_u32_e32 v10, v10, v12
	s_delay_alu instid0(VALU_DEP_2) | instskip(NEXT) | instid1(VALU_DEP_2)
	v_mul_hi_u32 v12, v2, v11
	v_mul_lo_u32 v13, v2, v10
	v_mul_hi_u32 v14, v2, v10
	v_mul_hi_u32 v15, v9, v11
	v_mul_lo_u32 v11, v9, v11
	v_mul_hi_u32 v16, v9, v10
	v_mul_lo_u32 v10, v9, v10
	v_add_co_u32 v12, vcc_lo, v12, v13
	v_add_co_ci_u32_e32 v13, vcc_lo, 0, v14, vcc_lo
	s_delay_alu instid0(VALU_DEP_2) | instskip(NEXT) | instid1(VALU_DEP_2)
	v_add_co_u32 v11, vcc_lo, v12, v11
	v_add_co_ci_u32_e32 v11, vcc_lo, v13, v15, vcc_lo
	v_add_co_ci_u32_e32 v12, vcc_lo, 0, v16, vcc_lo
	v_ashrrev_i32_e32 v15, 31, v4
	s_delay_alu instid0(VALU_DEP_3) | instskip(NEXT) | instid1(VALU_DEP_3)
	v_add_co_u32 v10, vcc_lo, v11, v10
	v_add_co_ci_u32_e32 v11, vcc_lo, 0, v12, vcc_lo
	s_delay_alu instid0(VALU_DEP_2) | instskip(NEXT) | instid1(VALU_DEP_2)
	v_add_co_u32 v2, vcc_lo, v2, v10
	v_add_co_ci_u32_e32 v9, vcc_lo, v9, v11, vcc_lo
	s_delay_alu instid0(VALU_DEP_2) | instskip(SKIP_1) | instid1(VALU_DEP_3)
	v_mul_hi_u32 v10, s0, v2
	v_mul_lo_u32 v12, s67, v2
	v_mul_lo_u32 v11, s0, v9
	s_delay_alu instid0(VALU_DEP_1) | instskip(SKIP_1) | instid1(VALU_DEP_2)
	v_add_nc_u32_e32 v10, v10, v11
	v_mul_lo_u32 v11, s0, v2
	v_add_nc_u32_e32 v10, v10, v12
	s_delay_alu instid0(VALU_DEP_2) | instskip(NEXT) | instid1(VALU_DEP_2)
	v_mul_hi_u32 v12, v2, v11
	v_mul_lo_u32 v13, v2, v10
	v_mul_hi_u32 v14, v2, v10
	v_mul_hi_u32 v16, v9, v11
	v_mul_lo_u32 v11, v9, v11
	v_mul_hi_u32 v17, v9, v10
	v_mul_lo_u32 v10, v9, v10
	v_add_co_u32 v12, vcc_lo, v12, v13
	v_add_co_ci_u32_e32 v13, vcc_lo, 0, v14, vcc_lo
	s_delay_alu instid0(VALU_DEP_2) | instskip(NEXT) | instid1(VALU_DEP_2)
	v_add_co_u32 v11, vcc_lo, v12, v11
	v_add_co_ci_u32_e32 v11, vcc_lo, v13, v16, vcc_lo
	v_add_co_ci_u32_e32 v12, vcc_lo, 0, v17, vcc_lo
	v_add_co_u32 v13, vcc_lo, v3, v15
	v_add_co_ci_u32_e32 v14, vcc_lo, v4, v15, vcc_lo
	s_delay_alu instid0(VALU_DEP_4) | instskip(NEXT) | instid1(VALU_DEP_4)
	v_add_co_u32 v10, vcc_lo, v11, v10
	v_add_co_ci_u32_e32 v11, vcc_lo, 0, v12, vcc_lo
	s_delay_alu instid0(VALU_DEP_4) | instskip(NEXT) | instid1(VALU_DEP_3)
	v_xor_b32_e32 v16, v13, v15
	v_add_co_u32 v2, vcc_lo, v2, v10
	s_delay_alu instid0(VALU_DEP_3) | instskip(SKIP_1) | instid1(VALU_DEP_3)
	v_add_co_ci_u32_e32 v17, vcc_lo, v9, v11, vcc_lo
	v_xor_b32_e32 v18, v14, v15
	v_mul_hi_u32 v19, v16, v2
	s_delay_alu instid0(VALU_DEP_3) | instskip(NEXT) | instid1(VALU_DEP_3)
	v_mad_u64_u32 v[9:10], null, v16, v17, 0
	v_mad_u64_u32 v[11:12], null, v18, v2, 0
	;; [unrolled: 1-line block ×3, first 2 shown]
	s_delay_alu instid0(VALU_DEP_3) | instskip(NEXT) | instid1(VALU_DEP_4)
	v_add_co_u32 v2, vcc_lo, v19, v9
	v_add_co_ci_u32_e32 v9, vcc_lo, 0, v10, vcc_lo
	s_delay_alu instid0(VALU_DEP_2) | instskip(NEXT) | instid1(VALU_DEP_2)
	v_add_co_u32 v2, vcc_lo, v2, v11
	v_add_co_ci_u32_e32 v2, vcc_lo, v9, v12, vcc_lo
	v_add_co_ci_u32_e32 v9, vcc_lo, 0, v14, vcc_lo
	s_delay_alu instid0(VALU_DEP_2) | instskip(NEXT) | instid1(VALU_DEP_2)
	v_add_co_u32 v2, vcc_lo, v2, v13
	v_add_co_ci_u32_e32 v11, vcc_lo, 0, v9, vcc_lo
	s_delay_alu instid0(VALU_DEP_2) | instskip(SKIP_1) | instid1(VALU_DEP_3)
	v_mul_lo_u32 v12, s73, v2
	v_mad_u64_u32 v[9:10], null, s72, v2, 0
	v_mul_lo_u32 v13, s72, v11
	s_delay_alu instid0(VALU_DEP_2) | instskip(NEXT) | instid1(VALU_DEP_2)
	v_sub_co_u32 v9, vcc_lo, v16, v9
	v_add3_u32 v10, v10, v13, v12
	s_delay_alu instid0(VALU_DEP_1) | instskip(NEXT) | instid1(VALU_DEP_1)
	v_sub_nc_u32_e32 v12, v18, v10
	v_subrev_co_ci_u32_e64 v12, s0, s73, v12, vcc_lo
	v_add_co_u32 v13, s0, v2, 2
	s_delay_alu instid0(VALU_DEP_1) | instskip(SKIP_3) | instid1(VALU_DEP_3)
	v_add_co_ci_u32_e64 v14, s0, 0, v11, s0
	v_sub_co_u32 v16, s0, v9, s72
	v_sub_co_ci_u32_e32 v10, vcc_lo, v18, v10, vcc_lo
	v_subrev_co_ci_u32_e64 v12, s0, 0, v12, s0
	v_cmp_le_u32_e32 vcc_lo, s72, v16
	s_delay_alu instid0(VALU_DEP_3) | instskip(SKIP_1) | instid1(VALU_DEP_4)
	v_cmp_eq_u32_e64 s0, s73, v10
	v_cndmask_b32_e64 v16, 0, -1, vcc_lo
	v_cmp_le_u32_e32 vcc_lo, s73, v12
	v_cndmask_b32_e64 v17, 0, -1, vcc_lo
	v_cmp_le_u32_e32 vcc_lo, s72, v9
	;; [unrolled: 2-line block ×3, first 2 shown]
	v_cndmask_b32_e64 v18, 0, -1, vcc_lo
	v_cmp_eq_u32_e32 vcc_lo, s73, v12
	s_delay_alu instid0(VALU_DEP_2) | instskip(SKIP_3) | instid1(VALU_DEP_3)
	v_cndmask_b32_e64 v9, v18, v9, s0
	v_cndmask_b32_e32 v12, v17, v16, vcc_lo
	v_add_co_u32 v16, vcc_lo, v2, 1
	v_add_co_ci_u32_e32 v17, vcc_lo, 0, v11, vcc_lo
	v_cmp_ne_u32_e32 vcc_lo, 0, v12
	s_delay_alu instid0(VALU_DEP_2) | instskip(NEXT) | instid1(VALU_DEP_4)
	v_cndmask_b32_e32 v10, v17, v14, vcc_lo
	v_cndmask_b32_e32 v12, v16, v13, vcc_lo
	v_cmp_ne_u32_e32 vcc_lo, 0, v9
	v_xor_b32_e32 v13, s66, v15
	s_delay_alu instid0(VALU_DEP_3) | instskip(NEXT) | instid1(VALU_DEP_1)
	v_dual_cndmask_b32 v2, v2, v12 :: v_dual_cndmask_b32 v9, v11, v10
	v_xor_b32_e32 v2, v2, v13
	s_delay_alu instid0(VALU_DEP_2) | instskip(NEXT) | instid1(VALU_DEP_2)
	v_xor_b32_e32 v10, v9, v13
	v_sub_co_u32 v9, vcc_lo, v2, v13
	s_delay_alu instid0(VALU_DEP_2)
	v_sub_co_ci_u32_e32 v10, vcc_lo, v10, v13, vcc_lo
.LBB34_5:                               ;   in Loop: Header=BB34_3 Depth=1
	s_and_not1_saveexec_b32 s0, s1
	s_cbranch_execz .LBB34_7
; %bb.6:                                ;   in Loop: Header=BB34_3 Depth=1
	s_sub_i32 s1, 0, s4
	s_delay_alu instid0(SALU_CYCLE_1) | instskip(NEXT) | instid1(VALU_DEP_1)
	v_mul_lo_u32 v2, s1, v0
	v_mul_hi_u32 v2, v0, v2
	s_delay_alu instid0(VALU_DEP_1) | instskip(NEXT) | instid1(VALU_DEP_1)
	v_add_nc_u32_e32 v2, v0, v2
	v_mul_hi_u32 v2, v3, v2
	s_delay_alu instid0(VALU_DEP_1) | instskip(SKIP_1) | instid1(VALU_DEP_2)
	v_mul_lo_u32 v9, v2, s4
	v_add_nc_u32_e32 v10, 1, v2
	v_sub_nc_u32_e32 v9, v3, v9
	s_delay_alu instid0(VALU_DEP_1) | instskip(SKIP_1) | instid1(VALU_DEP_2)
	v_subrev_nc_u32_e32 v11, s4, v9
	v_cmp_le_u32_e32 vcc_lo, s4, v9
	v_dual_cndmask_b32 v9, v9, v11 :: v_dual_cndmask_b32 v2, v2, v10
	s_delay_alu instid0(VALU_DEP_1) | instskip(NEXT) | instid1(VALU_DEP_2)
	v_cmp_le_u32_e32 vcc_lo, s4, v9
	v_add_nc_u32_e32 v10, 1, v2
	s_delay_alu instid0(VALU_DEP_1)
	v_dual_cndmask_b32 v9, v2, v10 :: v_dual_mov_b32 v10, v1
.LBB34_7:                               ;   in Loop: Header=BB34_3 Depth=1
	s_or_b32 exec_lo, exec_lo, s0
	s_delay_alu instid0(VALU_DEP_1) | instskip(SKIP_3) | instid1(VALU_DEP_4)
	v_lshlrev_b64 v[13:14], 1, v[9:10]
	v_mad_u64_u32 v[11:12], null, s26, v9, v[3:4]
	v_mul_lo_u32 v2, s26, v10
	v_mul_lo_u32 v15, s27, v9
	v_or_b32_e32 v17, 1, v13
	v_mul_lo_u32 v18, s4, v14
	v_add_co_u32 v21, vcc_lo, v13, 2
	v_mul_lo_u32 v19, v11, s11
	s_delay_alu instid0(VALU_DEP_4) | instskip(SKIP_3) | instid1(VALU_DEP_3)
	v_mul_lo_u32 v20, s5, v17
	v_add3_u32 v2, v15, v12, v2
	v_mad_u64_u32 v[15:16], null, s4, v17, v[3:4]
	v_mad_u64_u32 v[12:13], null, v11, s10, 0
	v_mul_lo_u32 v22, v2, s10
	v_add_co_ci_u32_e32 v14, vcc_lo, 0, v14, vcc_lo
	v_mul_lo_u32 v26, v11, s15
	v_add3_u32 v23, v20, v16, v18
	v_mul_lo_u32 v20, s5, v21
	s_delay_alu instid0(VALU_DEP_4)
	v_mul_lo_u32 v14, s4, v14
	v_mad_u64_u32 v[16:17], null, s4, v21, v[3:4]
	v_add3_u32 v13, v13, v19, v22
	v_mul_lo_u32 v21, v23, s10
	v_mul_lo_u32 v22, v15, s11
	v_mad_u64_u32 v[18:19], null, v15, s10, 0
	v_mul_lo_u32 v2, v2, s14
	v_add3_u32 v25, v20, v17, v14
	v_mul_lo_u32 v24, v16, s11
	v_lshlrev_b64 v[12:13], 3, v[12:13]
	v_mul_lo_u32 v27, v15, s15
	v_add3_u32 v19, v19, v22, v21
	v_mul_lo_u32 v14, v25, s10
	v_mad_u64_u32 v[21:22], null, v11, s14, 0
	v_mul_lo_u32 v11, v23, s14
	s_delay_alu instid0(VALU_DEP_4)
	v_lshlrev_b64 v[17:18], 3, v[18:19]
	v_mad_u64_u32 v[19:20], null, v16, s10, 0
	v_add_co_u32 v12, vcc_lo, s8, v12
	v_add3_u32 v22, v22, v26, v2
	v_mul_lo_u32 v2, v25, s14
	v_mul_lo_u32 v25, v16, s15
	v_add_co_ci_u32_e32 v13, vcc_lo, s9, v13, vcc_lo
	v_add3_u32 v20, v20, v24, v14
	v_mad_u64_u32 v[23:24], null, v15, s14, 0
	v_add_co_u32 v17, vcc_lo, s8, v17
	s_delay_alu instid0(VALU_DEP_3)
	v_lshlrev_b64 v[14:15], 3, v[19:20]
	v_mad_u64_u32 v[19:20], null, v16, s14, 0
	v_add_co_ci_u32_e32 v18, vcc_lo, s9, v18, vcc_lo
	v_add3_u32 v24, v24, v27, v11
	v_lshlrev_b64 v[21:22], 3, v[21:22]
	v_add_co_u32 v27, vcc_lo, s8, v14
	v_add3_u32 v20, v20, v25, v2
	v_add_co_ci_u32_e32 v28, vcc_lo, s9, v15, vcc_lo
	v_lshlrev_b64 v[14:15], 3, v[23:24]
	v_add_co_u32 v23, vcc_lo, s12, v21
	s_delay_alu instid0(VALU_DEP_4) | instskip(SKIP_1) | instid1(VALU_DEP_4)
	v_lshlrev_b64 v[19:20], 3, v[19:20]
	v_add_co_ci_u32_e32 v24, vcc_lo, s13, v22, vcc_lo
	v_add_co_u32 v29, vcc_lo, s12, v14
	v_add_co_ci_u32_e32 v30, vcc_lo, s13, v15, vcc_lo
	s_delay_alu instid0(VALU_DEP_4)
	v_add_co_u32 v19, vcc_lo, s12, v19
	v_add_co_ci_u32_e32 v20, vcc_lo, s13, v20, vcc_lo
	s_clause 0x2
	global_load_b64 v[25:26], v[12:13], off
	global_load_b64 v[13:14], v[17:18], off
	;; [unrolled: 1-line block ×3, first 2 shown]
	s_clause 0x2
	global_load_b64 v[27:28], v[23:24], off
	global_load_b64 v[15:16], v[29:30], off
	;; [unrolled: 1-line block ×4, first 2 shown]
	v_mov_b32_e32 v17, 0
	v_mov_b32_e32 v18, 0
	s_and_not1_b32 vcc_lo, exec_lo, s75
	s_delay_alu instid0(VALU_DEP_1)
	v_dual_mov_b32 v30, v18 :: v_dual_mov_b32 v29, v17
	v_dual_mov_b32 v34, v18 :: v_dual_mov_b32 v33, v17
	;; [unrolled: 1-line block ×5, first 2 shown]
	s_cbranch_vccnz .LBB34_2
; %bb.8:                                ;   in Loop: Header=BB34_3 Depth=1
	v_mad_u64_u32 v[17:18], null, s76, v9, v[3:4]
	v_mul_lo_u32 v2, s76, v10
	v_mul_lo_u32 v19, s77, v9
	v_sub_co_u32 v20, vcc_lo, 1, v9
	v_sub_co_ci_u32_e32 v29, vcc_lo, 0, v10, vcc_lo
	v_mul_lo_u32 v31, v17, s17
	s_delay_alu instid0(VALU_DEP_3)
	v_mul_lo_u32 v33, s5, v20
	v_mul_lo_u32 v40, v17, s21
	v_add3_u32 v2, v19, v18, v2
	v_mad_u64_u32 v[18:19], null, v17, s16, 0
	v_mul_lo_u32 v32, s4, v29
	v_mad_u64_u32 v[29:30], null, s4, v20, v[3:4]
	s_delay_alu instid0(VALU_DEP_4) | instskip(SKIP_1) | instid1(VALU_DEP_3)
	v_mul_lo_u32 v20, v2, s16
	v_mul_lo_u32 v2, v2, s20
	v_add3_u32 v37, v33, v30, v32
	s_delay_alu instid0(VALU_DEP_4) | instskip(NEXT) | instid1(VALU_DEP_4)
	v_mul_lo_u32 v35, v29, s17
	v_add3_u32 v19, v19, v31, v20
	v_sub_co_u32 v20, vcc_lo, 2, v9
	v_sub_co_ci_u32_e32 v32, vcc_lo, 0, v10, vcc_lo
	v_mul_lo_u32 v34, v37, s16
	s_delay_alu instid0(VALU_DEP_3) | instskip(SKIP_1) | instid1(VALU_DEP_4)
	v_mul_lo_u32 v38, s5, v20
	v_mad_u64_u32 v[30:31], null, v29, s16, 0
	v_mul_lo_u32 v36, s4, v32
	v_mad_u64_u32 v[32:33], null, s4, v20, v[3:4]
	v_mul_lo_u32 v41, v29, s21
	v_lshlrev_b64 v[18:19], 3, v[18:19]
	v_add3_u32 v31, v31, v35, v34
	s_delay_alu instid0(VALU_DEP_4) | instskip(SKIP_3) | instid1(VALU_DEP_4)
	v_add3_u32 v20, v38, v33, v36
	v_mul_lo_u32 v39, v32, s17
	v_mad_u64_u32 v[33:34], null, v32, s16, 0
	v_mad_u64_u32 v[35:36], null, v17, s20, 0
	v_mul_lo_u32 v38, v20, s16
	v_mul_lo_u32 v17, v37, s20
	v_lshlrev_b64 v[30:31], 3, v[30:31]
	v_add_co_u32 v18, vcc_lo, s2, v18
	v_add_co_ci_u32_e32 v19, vcc_lo, s3, v19, vcc_lo
	v_add3_u32 v36, v36, v40, v2
	v_add3_u32 v34, v34, v39, v38
	v_mad_u64_u32 v[37:38], null, v29, s20, 0
	v_mul_lo_u32 v2, v20, s20
	v_mul_lo_u32 v20, v32, s21
	v_mad_u64_u32 v[39:40], null, v32, s20, 0
	v_lshlrev_b64 v[33:34], 3, v[33:34]
	v_add_co_u32 v30, vcc_lo, s2, v30
	v_add3_u32 v38, v38, v41, v17
	v_lshlrev_b64 v[35:36], 3, v[35:36]
	v_add_co_ci_u32_e32 v31, vcc_lo, s3, v31, vcc_lo
	v_add3_u32 v40, v40, v20, v2
	v_add_co_u32 v32, vcc_lo, s2, v33
	v_lshlrev_b64 v[37:38], 3, v[37:38]
	v_add_co_ci_u32_e32 v33, vcc_lo, s3, v34, vcc_lo
	v_add_co_u32 v41, vcc_lo, s18, v35
	v_lshlrev_b64 v[34:35], 3, v[39:40]
	v_add_co_ci_u32_e32 v42, vcc_lo, s19, v36, vcc_lo
	v_add_co_u32 v37, vcc_lo, s18, v37
	v_add_co_ci_u32_e32 v38, vcc_lo, s19, v38, vcc_lo
	s_delay_alu instid0(VALU_DEP_4)
	v_add_co_u32 v39, vcc_lo, s18, v34
	v_add_co_ci_u32_e32 v40, vcc_lo, s19, v35, vcc_lo
	s_clause 0x2
	global_load_b64 v[35:36], v[18:19], off
	global_load_b64 v[17:18], v[30:31], off
	;; [unrolled: 1-line block ×3, first 2 shown]
	s_clause 0x2
	global_load_b64 v[33:34], v[41:42], off
	global_load_b64 v[19:20], v[37:38], off
	;; [unrolled: 1-line block ×3, first 2 shown]
	s_branch .LBB34_2
.LBB34_9:
	s_nop 0
	s_sendmsg sendmsg(MSG_DEALLOC_VGPRS)
	s_endpgm
	.section	.rodata,"a",@progbits
	.p2align	6, 0x0
	.amdhsa_kernel _ZN2at6native12_GLOBAL__N_16kernel16gru_cell_forwardIddlLi1EEEvNS_4cuda6detail10TensorInfoIT_T1_EES9_S9_S9_S9_S9_S9_S8_S8_
		.amdhsa_group_segment_fixed_size 0
		.amdhsa_private_segment_fixed_size 0
		.amdhsa_kernarg_size 3184
		.amdhsa_user_sgpr_count 15
		.amdhsa_user_sgpr_dispatch_ptr 0
		.amdhsa_user_sgpr_queue_ptr 0
		.amdhsa_user_sgpr_kernarg_segment_ptr 1
		.amdhsa_user_sgpr_dispatch_id 0
		.amdhsa_user_sgpr_private_segment_size 0
		.amdhsa_wavefront_size32 1
		.amdhsa_uses_dynamic_stack 0
		.amdhsa_enable_private_segment 0
		.amdhsa_system_sgpr_workgroup_id_x 1
		.amdhsa_system_sgpr_workgroup_id_y 0
		.amdhsa_system_sgpr_workgroup_id_z 0
		.amdhsa_system_sgpr_workgroup_info 0
		.amdhsa_system_vgpr_workitem_id 0
		.amdhsa_next_free_vgpr 49
		.amdhsa_next_free_sgpr 78
		.amdhsa_reserve_vcc 1
		.amdhsa_float_round_mode_32 0
		.amdhsa_float_round_mode_16_64 0
		.amdhsa_float_denorm_mode_32 3
		.amdhsa_float_denorm_mode_16_64 3
		.amdhsa_dx10_clamp 1
		.amdhsa_ieee_mode 1
		.amdhsa_fp16_overflow 0
		.amdhsa_workgroup_processor_mode 1
		.amdhsa_memory_ordered 1
		.amdhsa_forward_progress 0
		.amdhsa_shared_vgpr_count 0
		.amdhsa_exception_fp_ieee_invalid_op 0
		.amdhsa_exception_fp_denorm_src 0
		.amdhsa_exception_fp_ieee_div_zero 0
		.amdhsa_exception_fp_ieee_overflow 0
		.amdhsa_exception_fp_ieee_underflow 0
		.amdhsa_exception_fp_ieee_inexact 0
		.amdhsa_exception_int_div_zero 0
	.end_amdhsa_kernel
	.section	.text._ZN2at6native12_GLOBAL__N_16kernel16gru_cell_forwardIddlLi1EEEvNS_4cuda6detail10TensorInfoIT_T1_EES9_S9_S9_S9_S9_S9_S8_S8_,"axG",@progbits,_ZN2at6native12_GLOBAL__N_16kernel16gru_cell_forwardIddlLi1EEEvNS_4cuda6detail10TensorInfoIT_T1_EES9_S9_S9_S9_S9_S9_S8_S8_,comdat
.Lfunc_end34:
	.size	_ZN2at6native12_GLOBAL__N_16kernel16gru_cell_forwardIddlLi1EEEvNS_4cuda6detail10TensorInfoIT_T1_EES9_S9_S9_S9_S9_S9_S8_S8_, .Lfunc_end34-_ZN2at6native12_GLOBAL__N_16kernel16gru_cell_forwardIddlLi1EEEvNS_4cuda6detail10TensorInfoIT_T1_EES9_S9_S9_S9_S9_S9_S8_S8_
                                        ; -- End function
	.section	.AMDGPU.csdata,"",@progbits
; Kernel info:
; codeLenInByte = 5496
; NumSgprs: 80
; NumVgprs: 49
; ScratchSize: 0
; MemoryBound: 0
; FloatMode: 240
; IeeeMode: 1
; LDSByteSize: 0 bytes/workgroup (compile time only)
; SGPRBlocks: 9
; VGPRBlocks: 6
; NumSGPRsForWavesPerEU: 80
; NumVGPRsForWavesPerEU: 49
; Occupancy: 16
; WaveLimiterHint : 1
; COMPUTE_PGM_RSRC2:SCRATCH_EN: 0
; COMPUTE_PGM_RSRC2:USER_SGPR: 15
; COMPUTE_PGM_RSRC2:TRAP_HANDLER: 0
; COMPUTE_PGM_RSRC2:TGID_X_EN: 1
; COMPUTE_PGM_RSRC2:TGID_Y_EN: 0
; COMPUTE_PGM_RSRC2:TGID_Z_EN: 0
; COMPUTE_PGM_RSRC2:TIDIG_COMP_CNT: 0
	.section	.text._ZN2at6native12_GLOBAL__N_16kernel16gru_cell_forwardIddlLi2EEEvNS_4cuda6detail10TensorInfoIT_T1_EES9_S9_S9_S9_S9_S9_S8_S8_,"axG",@progbits,_ZN2at6native12_GLOBAL__N_16kernel16gru_cell_forwardIddlLi2EEEvNS_4cuda6detail10TensorInfoIT_T1_EES9_S9_S9_S9_S9_S9_S8_S8_,comdat
	.globl	_ZN2at6native12_GLOBAL__N_16kernel16gru_cell_forwardIddlLi2EEEvNS_4cuda6detail10TensorInfoIT_T1_EES9_S9_S9_S9_S9_S9_S8_S8_ ; -- Begin function _ZN2at6native12_GLOBAL__N_16kernel16gru_cell_forwardIddlLi2EEEvNS_4cuda6detail10TensorInfoIT_T1_EES9_S9_S9_S9_S9_S9_S8_S8_
	.p2align	8
	.type	_ZN2at6native12_GLOBAL__N_16kernel16gru_cell_forwardIddlLi2EEEvNS_4cuda6detail10TensorInfoIT_T1_EES9_S9_S9_S9_S9_S9_S8_S8_,@function
_ZN2at6native12_GLOBAL__N_16kernel16gru_cell_forwardIddlLi2EEEvNS_4cuda6detail10TensorInfoIT_T1_EES9_S9_S9_S9_S9_S9_S8_S8_: ; @_ZN2at6native12_GLOBAL__N_16kernel16gru_cell_forwardIddlLi2EEEvNS_4cuda6detail10TensorInfoIT_T1_EES9_S9_S9_S9_S9_S9_S8_S8_
; %bb.0:
	s_clause 0x1
	s_load_b32 s2, s[0:1], 0xb7c
	s_load_b128 s[4:7], s[0:1], 0xb60
	v_mov_b32_e32 v1, 0
	s_add_u32 s8, s0, 0xb70
	s_addc_u32 s9, s1, 0
	s_waitcnt lgkmcnt(0)
	s_and_b32 s33, s2, 0xffff
	s_mov_b32 s2, exec_lo
	v_mad_u64_u32 v[3:4], null, s15, s33, v[0:1]
	v_mov_b32_e32 v4, v1
	s_delay_alu instid0(VALU_DEP_1)
	v_cmpx_gt_i64_e64 s[6:7], v[3:4]
	s_cbranch_execz .LBB35_61
; %bb.1:
	v_cvt_f32_u32_e32 v0, s4
	s_load_b64 s[2:3], s[0:1], 0x340
	s_load_b32 s56, s[8:9], 0x0
	s_clause 0x11
	s_load_b64 s[28:29], s[0:1], 0x0
	s_load_b64 s[30:31], s[0:1], 0x10
	s_load_b128 s[8:11], s[0:1], 0xd0
	s_load_b64 s[34:35], s[0:1], 0x1a0
	s_load_b64 s[36:37], s[0:1], 0x680
	;; [unrolled: 1-line block ×4, first 2 shown]
	s_load_b128 s[12:15], s[0:1], 0x270
	s_load_b64 s[42:43], s[0:1], 0x830
	s_load_b64 s[44:45], s[0:1], 0x410
	s_load_b64 s[46:47], s[0:1], 0x4e0
	s_load_b64 s[48:49], s[0:1], 0x5b0
	s_load_b128 s[16:19], s[0:1], 0x750
	s_load_b64 s[50:51], s[0:1], 0x820
	s_load_b128 s[20:23], s[0:1], 0x8f0
	s_load_b64 s[52:53], s[0:1], 0x9c0
	s_load_b64 s[54:55], s[0:1], 0x9d0
	s_load_b128 s[24:27], s[0:1], 0xa90
	s_waitcnt lgkmcnt(0)
	s_cmp_lg_u64 s[2:3], 0
	s_mul_i32 s33, s56, s33
	s_cselect_b32 s96, -1, 0
	v_rcp_iflag_f32_e32 v0, v0
	s_lshl_b64 s[56:57], s[4:5], 1
	s_lshl_b64 s[58:59], s[4:5], 2
	s_sub_u32 s98, 0, s4
	s_subb_u32 s99, 0, s5
	s_sub_u32 s100, 0, s38
	s_subb_u32 s101, 0, s39
	s_sub_u32 s102, 0, s42
	s_mov_b32 s60, 0x652b82fe
	s_mov_b32 s62, 0xfefa39ef
	s_waitcnt_depctr 0xfff
	v_mul_f32_e32 v0, 0x4f7ffffe, v0
	s_mov_b32 s64, 0x3b39803f
	s_mov_b32 s66, 0xfca7ab0c
	;; [unrolled: 1-line block ×4, first 2 shown]
	v_cvt_u32_f32_e32 v0, v0
	s_mov_b32 s72, 0x7c89e6b0
	s_mov_b32 s74, 0x14761f6e
	;; [unrolled: 1-line block ×25, first 2 shown]
	s_subb_u32 s103, 0, s43
	s_mov_b32 s1, 0x3ff71547
	s_mov_b32 s90, 0xfefa3000
	s_branch .LBB35_3
.LBB35_2:                               ;   in Loop: Header=BB35_3 Depth=1
	s_or_b32 exec_lo, exec_lo, s0
	s_delay_alu instid0(VALU_DEP_1) | instskip(NEXT) | instid1(VALU_DEP_2)
	v_mul_lo_u32 v2, v10, s54
	v_mul_lo_u32 v13, v9, s55
	v_mad_u64_u32 v[11:12], null, v9, s54, 0
	v_mul_lo_u32 v14, v10, s24
	s_delay_alu instid0(VALU_DEP_2) | instskip(NEXT) | instid1(VALU_DEP_3)
	v_add3_u32 v2, v12, v13, v2
	v_sub_co_u32 v5, vcc_lo, v5, v11
	v_mul_lo_u32 v11, v9, s25
	s_delay_alu instid0(VALU_DEP_3) | instskip(NEXT) | instid1(VALU_DEP_3)
	v_sub_co_ci_u32_e32 v2, vcc_lo, v6, v2, vcc_lo
	v_add_co_u32 v12, vcc_lo, v3, v5
	v_mad_u64_u32 v[5:6], null, v9, s24, 0
	s_delay_alu instid0(VALU_DEP_3) | instskip(NEXT) | instid1(VALU_DEP_3)
	v_add_co_ci_u32_e32 v2, vcc_lo, v4, v2, vcc_lo
	v_mul_lo_u32 v13, v12, s27
	v_mad_u64_u32 v[9:10], null, v12, s26, 0
	s_delay_alu instid0(VALU_DEP_3) | instskip(SKIP_3) | instid1(VALU_DEP_3)
	v_mul_lo_u32 v2, v2, s26
	v_add3_u32 v6, v6, v11, v14
	v_add_co_u32 v3, vcc_lo, v3, s33
	v_add_co_ci_u32_e32 v4, vcc_lo, 0, v4, vcc_lo
	v_lshlrev_b64 v[5:6], 3, v[5:6]
	v_add3_u32 v10, v10, v13, v2
	s_delay_alu instid0(VALU_DEP_2) | instskip(NEXT) | instid1(VALU_DEP_2)
	v_add_co_u32 v2, vcc_lo, s52, v5
	v_lshlrev_b64 v[9:10], 3, v[9:10]
	s_delay_alu instid0(VALU_DEP_4) | instskip(SKIP_1) | instid1(VALU_DEP_3)
	v_add_co_ci_u32_e32 v6, vcc_lo, s53, v6, vcc_lo
	v_cmp_le_i64_e32 vcc_lo, s[6:7], v[3:4]
	v_add_co_u32 v5, s0, v2, v9
	s_delay_alu instid0(VALU_DEP_1)
	v_add_co_ci_u32_e64 v6, s0, v6, v10, s0
	s_or_b32 s97, vcc_lo, s97
	global_store_b64 v[5:6], v[7:8], off
	s_and_not1_b32 exec_lo, exec_lo, s97
	s_cbranch_execz .LBB35_61
.LBB35_3:                               ; =>This Inner Loop Header: Depth=1
	v_or_b32_e32 v2, s5, v4
	v_ashrrev_i32_e32 v23, 31, v4
                                        ; implicit-def: $vgpr5_vgpr6
	s_mov_b32 s0, exec_lo
	s_delay_alu instid0(VALU_DEP_2)
	v_cmpx_ne_u64_e32 0, v[1:2]
	s_xor_b32 s91, exec_lo, s0
	s_cbranch_execz .LBB35_5
; %bb.4:                                ;   in Loop: Header=BB35_3 Depth=1
	s_ashr_i32 s92, s5, 31
	s_delay_alu instid0(SALU_CYCLE_1) | instskip(SKIP_2) | instid1(SALU_CYCLE_1)
	s_add_u32 s94, s4, s92
	s_mov_b32 s93, s92
	s_addc_u32 s95, s5, s92
	s_xor_b64 s[94:95], s[94:95], s[92:93]
	s_delay_alu instid0(SALU_CYCLE_1) | instskip(SKIP_3) | instid1(VALU_DEP_1)
	v_cvt_f32_u32_e32 v2, s94
	v_cvt_f32_u32_e32 v5, s95
	s_sub_u32 s0, 0, s94
	s_subb_u32 s93, 0, s95
	v_fmac_f32_e32 v2, 0x4f800000, v5
	s_delay_alu instid0(VALU_DEP_1) | instskip(SKIP_2) | instid1(VALU_DEP_1)
	v_rcp_f32_e32 v2, v2
	s_waitcnt_depctr 0xfff
	v_mul_f32_e32 v2, 0x5f7ffffc, v2
	v_mul_f32_e32 v5, 0x2f800000, v2
	s_delay_alu instid0(VALU_DEP_1) | instskip(NEXT) | instid1(VALU_DEP_1)
	v_trunc_f32_e32 v5, v5
	v_fmac_f32_e32 v2, 0xcf800000, v5
	v_cvt_u32_f32_e32 v5, v5
	s_delay_alu instid0(VALU_DEP_2) | instskip(NEXT) | instid1(VALU_DEP_2)
	v_cvt_u32_f32_e32 v2, v2
	v_mul_lo_u32 v6, s0, v5
	s_delay_alu instid0(VALU_DEP_2) | instskip(SKIP_1) | instid1(VALU_DEP_2)
	v_mul_hi_u32 v7, s0, v2
	v_mul_lo_u32 v8, s93, v2
	v_add_nc_u32_e32 v6, v7, v6
	v_mul_lo_u32 v7, s0, v2
	s_delay_alu instid0(VALU_DEP_2) | instskip(NEXT) | instid1(VALU_DEP_2)
	v_add_nc_u32_e32 v6, v6, v8
	v_mul_hi_u32 v8, v2, v7
	s_delay_alu instid0(VALU_DEP_2)
	v_mul_lo_u32 v9, v2, v6
	v_mul_hi_u32 v10, v2, v6
	v_mul_hi_u32 v11, v5, v7
	v_mul_lo_u32 v7, v5, v7
	v_mul_hi_u32 v12, v5, v6
	v_mul_lo_u32 v6, v5, v6
	v_add_co_u32 v8, vcc_lo, v8, v9
	v_add_co_ci_u32_e32 v9, vcc_lo, 0, v10, vcc_lo
	s_delay_alu instid0(VALU_DEP_2) | instskip(NEXT) | instid1(VALU_DEP_2)
	v_add_co_u32 v7, vcc_lo, v8, v7
	v_add_co_ci_u32_e32 v7, vcc_lo, v9, v11, vcc_lo
	v_add_co_ci_u32_e32 v8, vcc_lo, 0, v12, vcc_lo
	s_delay_alu instid0(VALU_DEP_2) | instskip(NEXT) | instid1(VALU_DEP_2)
	v_add_co_u32 v6, vcc_lo, v7, v6
	v_add_co_ci_u32_e32 v7, vcc_lo, 0, v8, vcc_lo
	s_delay_alu instid0(VALU_DEP_2) | instskip(NEXT) | instid1(VALU_DEP_2)
	v_add_co_u32 v2, vcc_lo, v2, v6
	v_add_co_ci_u32_e32 v5, vcc_lo, v5, v7, vcc_lo
	s_delay_alu instid0(VALU_DEP_2) | instskip(SKIP_1) | instid1(VALU_DEP_3)
	v_mul_hi_u32 v6, s0, v2
	v_mul_lo_u32 v8, s93, v2
	v_mul_lo_u32 v7, s0, v5
	s_delay_alu instid0(VALU_DEP_1) | instskip(SKIP_1) | instid1(VALU_DEP_2)
	v_add_nc_u32_e32 v6, v6, v7
	v_mul_lo_u32 v7, s0, v2
	v_add_nc_u32_e32 v6, v6, v8
	s_delay_alu instid0(VALU_DEP_2) | instskip(NEXT) | instid1(VALU_DEP_2)
	v_mul_hi_u32 v8, v2, v7
	v_mul_lo_u32 v9, v2, v6
	v_mul_hi_u32 v10, v2, v6
	v_mul_hi_u32 v11, v5, v7
	v_mul_lo_u32 v7, v5, v7
	v_mul_hi_u32 v12, v5, v6
	v_mul_lo_u32 v6, v5, v6
	v_add_co_u32 v8, vcc_lo, v8, v9
	v_add_co_ci_u32_e32 v9, vcc_lo, 0, v10, vcc_lo
	s_delay_alu instid0(VALU_DEP_2) | instskip(NEXT) | instid1(VALU_DEP_2)
	v_add_co_u32 v7, vcc_lo, v8, v7
	v_add_co_ci_u32_e32 v7, vcc_lo, v9, v11, vcc_lo
	v_add_co_ci_u32_e32 v8, vcc_lo, 0, v12, vcc_lo
	v_add_co_u32 v9, vcc_lo, v3, v23
	v_add_co_ci_u32_e32 v10, vcc_lo, v4, v23, vcc_lo
	s_delay_alu instid0(VALU_DEP_4) | instskip(NEXT) | instid1(VALU_DEP_4)
	v_add_co_u32 v6, vcc_lo, v7, v6
	v_add_co_ci_u32_e32 v7, vcc_lo, 0, v8, vcc_lo
	s_delay_alu instid0(VALU_DEP_4) | instskip(NEXT) | instid1(VALU_DEP_3)
	v_xor_b32_e32 v11, v9, v23
	v_add_co_u32 v2, vcc_lo, v2, v6
	s_delay_alu instid0(VALU_DEP_3) | instskip(SKIP_1) | instid1(VALU_DEP_3)
	v_add_co_ci_u32_e32 v12, vcc_lo, v5, v7, vcc_lo
	v_xor_b32_e32 v13, v10, v23
	v_mul_hi_u32 v14, v11, v2
	s_delay_alu instid0(VALU_DEP_3) | instskip(NEXT) | instid1(VALU_DEP_3)
	v_mad_u64_u32 v[5:6], null, v11, v12, 0
	v_mad_u64_u32 v[7:8], null, v13, v2, 0
	;; [unrolled: 1-line block ×3, first 2 shown]
	s_delay_alu instid0(VALU_DEP_3) | instskip(NEXT) | instid1(VALU_DEP_4)
	v_add_co_u32 v2, vcc_lo, v14, v5
	v_add_co_ci_u32_e32 v5, vcc_lo, 0, v6, vcc_lo
	s_delay_alu instid0(VALU_DEP_2) | instskip(NEXT) | instid1(VALU_DEP_2)
	v_add_co_u32 v2, vcc_lo, v2, v7
	v_add_co_ci_u32_e32 v2, vcc_lo, v5, v8, vcc_lo
	v_add_co_ci_u32_e32 v5, vcc_lo, 0, v10, vcc_lo
	s_delay_alu instid0(VALU_DEP_2) | instskip(NEXT) | instid1(VALU_DEP_2)
	v_add_co_u32 v2, vcc_lo, v2, v9
	v_add_co_ci_u32_e32 v7, vcc_lo, 0, v5, vcc_lo
	s_delay_alu instid0(VALU_DEP_2) | instskip(SKIP_1) | instid1(VALU_DEP_3)
	v_mul_lo_u32 v8, s95, v2
	v_mad_u64_u32 v[5:6], null, s94, v2, 0
	v_mul_lo_u32 v9, s94, v7
	s_delay_alu instid0(VALU_DEP_2) | instskip(NEXT) | instid1(VALU_DEP_2)
	v_sub_co_u32 v5, vcc_lo, v11, v5
	v_add3_u32 v6, v6, v9, v8
	s_delay_alu instid0(VALU_DEP_1) | instskip(NEXT) | instid1(VALU_DEP_1)
	v_sub_nc_u32_e32 v8, v13, v6
	v_subrev_co_ci_u32_e64 v8, s0, s95, v8, vcc_lo
	v_add_co_u32 v9, s0, v2, 2
	s_delay_alu instid0(VALU_DEP_1) | instskip(SKIP_3) | instid1(VALU_DEP_3)
	v_add_co_ci_u32_e64 v10, s0, 0, v7, s0
	v_sub_co_u32 v11, s0, v5, s94
	v_sub_co_ci_u32_e32 v6, vcc_lo, v13, v6, vcc_lo
	v_subrev_co_ci_u32_e64 v8, s0, 0, v8, s0
	v_cmp_le_u32_e32 vcc_lo, s94, v11
	s_delay_alu instid0(VALU_DEP_3) | instskip(SKIP_1) | instid1(VALU_DEP_4)
	v_cmp_eq_u32_e64 s0, s95, v6
	v_cndmask_b32_e64 v11, 0, -1, vcc_lo
	v_cmp_le_u32_e32 vcc_lo, s95, v8
	v_cndmask_b32_e64 v12, 0, -1, vcc_lo
	v_cmp_le_u32_e32 vcc_lo, s94, v5
	;; [unrolled: 2-line block ×3, first 2 shown]
	v_cndmask_b32_e64 v13, 0, -1, vcc_lo
	v_cmp_eq_u32_e32 vcc_lo, s95, v8
	s_delay_alu instid0(VALU_DEP_2) | instskip(SKIP_3) | instid1(VALU_DEP_3)
	v_cndmask_b32_e64 v5, v13, v5, s0
	v_cndmask_b32_e32 v8, v12, v11, vcc_lo
	v_add_co_u32 v11, vcc_lo, v2, 1
	v_add_co_ci_u32_e32 v12, vcc_lo, 0, v7, vcc_lo
	v_cmp_ne_u32_e32 vcc_lo, 0, v8
	s_delay_alu instid0(VALU_DEP_2) | instskip(NEXT) | instid1(VALU_DEP_4)
	v_cndmask_b32_e32 v6, v12, v10, vcc_lo
	v_cndmask_b32_e32 v8, v11, v9, vcc_lo
	v_cmp_ne_u32_e32 vcc_lo, 0, v5
	v_xor_b32_e32 v9, s92, v23
	s_delay_alu instid0(VALU_DEP_3) | instskip(NEXT) | instid1(VALU_DEP_1)
	v_dual_cndmask_b32 v2, v2, v8 :: v_dual_cndmask_b32 v5, v7, v6
	v_xor_b32_e32 v2, v2, v9
	s_delay_alu instid0(VALU_DEP_2) | instskip(NEXT) | instid1(VALU_DEP_2)
	v_xor_b32_e32 v6, v5, v9
	v_sub_co_u32 v5, vcc_lo, v2, v9
	s_delay_alu instid0(VALU_DEP_2)
	v_sub_co_ci_u32_e32 v6, vcc_lo, v6, v9, vcc_lo
.LBB35_5:                               ;   in Loop: Header=BB35_3 Depth=1
	s_and_not1_saveexec_b32 s0, s91
	s_cbranch_execz .LBB35_7
; %bb.6:                                ;   in Loop: Header=BB35_3 Depth=1
	s_sub_i32 s91, 0, s4
	s_delay_alu instid0(SALU_CYCLE_1) | instskip(NEXT) | instid1(VALU_DEP_1)
	v_mul_lo_u32 v2, s91, v0
	v_mul_hi_u32 v2, v0, v2
	s_delay_alu instid0(VALU_DEP_1) | instskip(NEXT) | instid1(VALU_DEP_1)
	v_add_nc_u32_e32 v2, v0, v2
	v_mul_hi_u32 v2, v3, v2
	s_delay_alu instid0(VALU_DEP_1) | instskip(SKIP_1) | instid1(VALU_DEP_2)
	v_mul_lo_u32 v5, v2, s4
	v_add_nc_u32_e32 v6, 1, v2
	v_sub_nc_u32_e32 v5, v3, v5
	s_delay_alu instid0(VALU_DEP_1) | instskip(SKIP_1) | instid1(VALU_DEP_2)
	v_subrev_nc_u32_e32 v7, s4, v5
	v_cmp_le_u32_e32 vcc_lo, s4, v5
	v_dual_cndmask_b32 v5, v5, v7 :: v_dual_cndmask_b32 v2, v2, v6
	s_delay_alu instid0(VALU_DEP_1) | instskip(NEXT) | instid1(VALU_DEP_2)
	v_cmp_le_u32_e32 vcc_lo, s4, v5
	v_add_nc_u32_e32 v6, 1, v2
	s_delay_alu instid0(VALU_DEP_1)
	v_dual_cndmask_b32 v5, v2, v6 :: v_dual_mov_b32 v6, v1
.LBB35_7:                               ;   in Loop: Header=BB35_3 Depth=1
	s_or_b32 exec_lo, exec_lo, s0
	s_delay_alu instid0(VALU_DEP_1) | instskip(NEXT) | instid1(VALU_DEP_2)
	v_mul_lo_u32 v2, s57, v5
	v_mul_lo_u32 v7, s56, v6
	v_mad_u64_u32 v[11:12], null, s56, v5, 0
	s_mov_b32 s0, exec_lo
	s_delay_alu instid0(VALU_DEP_1) | instskip(NEXT) | instid1(VALU_DEP_2)
	v_add3_u32 v12, v12, v7, v2
	v_add_co_u32 v25, vcc_lo, v3, v11
                                        ; implicit-def: $vgpr7_vgpr8
	s_delay_alu instid0(VALU_DEP_2) | instskip(NEXT) | instid1(VALU_DEP_1)
	v_add_co_ci_u32_e32 v28, vcc_lo, v4, v12, vcc_lo
	v_or_b32_e32 v2, s31, v28
	v_ashrrev_i32_e32 v21, 31, v28
	s_delay_alu instid0(VALU_DEP_2)
	v_cmpx_ne_u64_e32 0, v[1:2]
	s_xor_b32 s91, exec_lo, s0
	s_cbranch_execz .LBB35_9
; %bb.8:                                ;   in Loop: Header=BB35_3 Depth=1
	s_ashr_i32 s92, s31, 31
	s_delay_alu instid0(SALU_CYCLE_1) | instskip(SKIP_2) | instid1(SALU_CYCLE_1)
	s_add_u32 s94, s30, s92
	s_mov_b32 s93, s92
	s_addc_u32 s95, s31, s92
	s_xor_b64 s[94:95], s[94:95], s[92:93]
	s_delay_alu instid0(SALU_CYCLE_1) | instskip(SKIP_3) | instid1(VALU_DEP_1)
	v_cvt_f32_u32_e32 v2, s94
	v_cvt_f32_u32_e32 v7, s95
	s_sub_u32 s0, 0, s94
	s_subb_u32 s93, 0, s95
	v_fmac_f32_e32 v2, 0x4f800000, v7
	s_delay_alu instid0(VALU_DEP_1) | instskip(SKIP_2) | instid1(VALU_DEP_1)
	v_rcp_f32_e32 v2, v2
	s_waitcnt_depctr 0xfff
	v_mul_f32_e32 v2, 0x5f7ffffc, v2
	v_mul_f32_e32 v7, 0x2f800000, v2
	s_delay_alu instid0(VALU_DEP_1) | instskip(NEXT) | instid1(VALU_DEP_1)
	v_trunc_f32_e32 v7, v7
	v_fmac_f32_e32 v2, 0xcf800000, v7
	v_cvt_u32_f32_e32 v7, v7
	s_delay_alu instid0(VALU_DEP_2) | instskip(NEXT) | instid1(VALU_DEP_2)
	v_cvt_u32_f32_e32 v2, v2
	v_mul_lo_u32 v8, s0, v7
	s_delay_alu instid0(VALU_DEP_2) | instskip(SKIP_1) | instid1(VALU_DEP_2)
	v_mul_hi_u32 v9, s0, v2
	v_mul_lo_u32 v10, s93, v2
	v_add_nc_u32_e32 v8, v9, v8
	v_mul_lo_u32 v9, s0, v2
	s_delay_alu instid0(VALU_DEP_2) | instskip(NEXT) | instid1(VALU_DEP_2)
	v_add_nc_u32_e32 v8, v8, v10
	v_mul_hi_u32 v10, v2, v9
	s_delay_alu instid0(VALU_DEP_2)
	v_mul_lo_u32 v13, v2, v8
	v_mul_hi_u32 v14, v2, v8
	v_mul_hi_u32 v15, v7, v9
	v_mul_lo_u32 v9, v7, v9
	v_mul_hi_u32 v16, v7, v8
	v_mul_lo_u32 v8, v7, v8
	v_add_co_u32 v10, vcc_lo, v10, v13
	v_add_co_ci_u32_e32 v13, vcc_lo, 0, v14, vcc_lo
	s_delay_alu instid0(VALU_DEP_2) | instskip(NEXT) | instid1(VALU_DEP_2)
	v_add_co_u32 v9, vcc_lo, v10, v9
	v_add_co_ci_u32_e32 v9, vcc_lo, v13, v15, vcc_lo
	v_add_co_ci_u32_e32 v10, vcc_lo, 0, v16, vcc_lo
	s_delay_alu instid0(VALU_DEP_2) | instskip(NEXT) | instid1(VALU_DEP_2)
	v_add_co_u32 v8, vcc_lo, v9, v8
	v_add_co_ci_u32_e32 v9, vcc_lo, 0, v10, vcc_lo
	s_delay_alu instid0(VALU_DEP_2) | instskip(NEXT) | instid1(VALU_DEP_2)
	v_add_co_u32 v2, vcc_lo, v2, v8
	v_add_co_ci_u32_e32 v7, vcc_lo, v7, v9, vcc_lo
	s_delay_alu instid0(VALU_DEP_2) | instskip(SKIP_1) | instid1(VALU_DEP_3)
	v_mul_hi_u32 v8, s0, v2
	v_mul_lo_u32 v10, s93, v2
	v_mul_lo_u32 v9, s0, v7
	s_delay_alu instid0(VALU_DEP_1) | instskip(SKIP_1) | instid1(VALU_DEP_2)
	v_add_nc_u32_e32 v8, v8, v9
	v_mul_lo_u32 v9, s0, v2
	v_add_nc_u32_e32 v8, v8, v10
	s_delay_alu instid0(VALU_DEP_2) | instskip(NEXT) | instid1(VALU_DEP_2)
	v_mul_hi_u32 v10, v2, v9
	v_mul_lo_u32 v13, v2, v8
	v_mul_hi_u32 v14, v2, v8
	v_mul_hi_u32 v15, v7, v9
	v_mul_lo_u32 v9, v7, v9
	v_mul_hi_u32 v16, v7, v8
	v_mul_lo_u32 v8, v7, v8
	v_add_co_u32 v10, vcc_lo, v10, v13
	v_add_co_ci_u32_e32 v13, vcc_lo, 0, v14, vcc_lo
	s_delay_alu instid0(VALU_DEP_2) | instskip(NEXT) | instid1(VALU_DEP_2)
	v_add_co_u32 v9, vcc_lo, v10, v9
	v_add_co_ci_u32_e32 v9, vcc_lo, v13, v15, vcc_lo
	v_add_co_ci_u32_e32 v10, vcc_lo, 0, v16, vcc_lo
	v_add_co_u32 v13, vcc_lo, v25, v21
	v_add_co_ci_u32_e32 v14, vcc_lo, v28, v21, vcc_lo
	s_delay_alu instid0(VALU_DEP_4) | instskip(NEXT) | instid1(VALU_DEP_4)
	v_add_co_u32 v8, vcc_lo, v9, v8
	v_add_co_ci_u32_e32 v9, vcc_lo, 0, v10, vcc_lo
	s_delay_alu instid0(VALU_DEP_4) | instskip(NEXT) | instid1(VALU_DEP_3)
	v_xor_b32_e32 v15, v13, v21
	v_add_co_u32 v2, vcc_lo, v2, v8
	s_delay_alu instid0(VALU_DEP_3) | instskip(SKIP_1) | instid1(VALU_DEP_3)
	v_add_co_ci_u32_e32 v16, vcc_lo, v7, v9, vcc_lo
	v_xor_b32_e32 v17, v14, v21
	v_mul_hi_u32 v18, v15, v2
	s_delay_alu instid0(VALU_DEP_3) | instskip(NEXT) | instid1(VALU_DEP_3)
	v_mad_u64_u32 v[7:8], null, v15, v16, 0
	v_mad_u64_u32 v[9:10], null, v17, v2, 0
	;; [unrolled: 1-line block ×3, first 2 shown]
	s_delay_alu instid0(VALU_DEP_3) | instskip(NEXT) | instid1(VALU_DEP_4)
	v_add_co_u32 v2, vcc_lo, v18, v7
	v_add_co_ci_u32_e32 v7, vcc_lo, 0, v8, vcc_lo
	s_delay_alu instid0(VALU_DEP_2) | instskip(NEXT) | instid1(VALU_DEP_2)
	v_add_co_u32 v2, vcc_lo, v2, v9
	v_add_co_ci_u32_e32 v2, vcc_lo, v7, v10, vcc_lo
	v_add_co_ci_u32_e32 v7, vcc_lo, 0, v14, vcc_lo
	s_delay_alu instid0(VALU_DEP_2) | instskip(NEXT) | instid1(VALU_DEP_2)
	v_add_co_u32 v2, vcc_lo, v2, v13
	v_add_co_ci_u32_e32 v9, vcc_lo, 0, v7, vcc_lo
	s_delay_alu instid0(VALU_DEP_2) | instskip(SKIP_1) | instid1(VALU_DEP_3)
	v_mul_lo_u32 v10, s95, v2
	v_mad_u64_u32 v[7:8], null, s94, v2, 0
	v_mul_lo_u32 v13, s94, v9
	s_delay_alu instid0(VALU_DEP_2) | instskip(NEXT) | instid1(VALU_DEP_2)
	v_sub_co_u32 v7, vcc_lo, v15, v7
	v_add3_u32 v8, v8, v13, v10
	s_delay_alu instid0(VALU_DEP_1) | instskip(NEXT) | instid1(VALU_DEP_1)
	v_sub_nc_u32_e32 v10, v17, v8
	v_subrev_co_ci_u32_e64 v10, s0, s95, v10, vcc_lo
	v_add_co_u32 v13, s0, v2, 2
	s_delay_alu instid0(VALU_DEP_1) | instskip(SKIP_3) | instid1(VALU_DEP_3)
	v_add_co_ci_u32_e64 v14, s0, 0, v9, s0
	v_sub_co_u32 v15, s0, v7, s94
	v_sub_co_ci_u32_e32 v8, vcc_lo, v17, v8, vcc_lo
	v_subrev_co_ci_u32_e64 v10, s0, 0, v10, s0
	v_cmp_le_u32_e32 vcc_lo, s94, v15
	s_delay_alu instid0(VALU_DEP_3) | instskip(SKIP_1) | instid1(VALU_DEP_4)
	v_cmp_eq_u32_e64 s0, s95, v8
	v_cndmask_b32_e64 v15, 0, -1, vcc_lo
	v_cmp_le_u32_e32 vcc_lo, s95, v10
	v_cndmask_b32_e64 v16, 0, -1, vcc_lo
	v_cmp_le_u32_e32 vcc_lo, s94, v7
	;; [unrolled: 2-line block ×3, first 2 shown]
	v_cndmask_b32_e64 v17, 0, -1, vcc_lo
	v_cmp_eq_u32_e32 vcc_lo, s95, v10
	s_delay_alu instid0(VALU_DEP_2) | instskip(SKIP_3) | instid1(VALU_DEP_3)
	v_cndmask_b32_e64 v7, v17, v7, s0
	v_cndmask_b32_e32 v10, v16, v15, vcc_lo
	v_add_co_u32 v15, vcc_lo, v2, 1
	v_add_co_ci_u32_e32 v16, vcc_lo, 0, v9, vcc_lo
	v_cmp_ne_u32_e32 vcc_lo, 0, v10
	s_delay_alu instid0(VALU_DEP_2) | instskip(NEXT) | instid1(VALU_DEP_4)
	v_cndmask_b32_e32 v8, v16, v14, vcc_lo
	v_cndmask_b32_e32 v10, v15, v13, vcc_lo
	v_cmp_ne_u32_e32 vcc_lo, 0, v7
	v_xor_b32_e32 v13, s92, v21
	s_delay_alu instid0(VALU_DEP_3) | instskip(NEXT) | instid1(VALU_DEP_1)
	v_dual_cndmask_b32 v2, v2, v10 :: v_dual_cndmask_b32 v7, v9, v8
	v_xor_b32_e32 v2, v2, v13
	s_delay_alu instid0(VALU_DEP_2) | instskip(NEXT) | instid1(VALU_DEP_2)
	v_xor_b32_e32 v8, v7, v13
	v_sub_co_u32 v7, vcc_lo, v2, v13
	s_delay_alu instid0(VALU_DEP_2)
	v_sub_co_ci_u32_e32 v8, vcc_lo, v8, v13, vcc_lo
.LBB35_9:                               ;   in Loop: Header=BB35_3 Depth=1
	s_or_saveexec_b32 s0, s91
	v_cvt_f32_u32_e32 v15, s30
	s_xor_b32 exec_lo, exec_lo, s0
	s_cbranch_execz .LBB35_11
; %bb.10:                               ;   in Loop: Header=BB35_3 Depth=1
	s_delay_alu instid0(VALU_DEP_1) | instskip(SKIP_3) | instid1(VALU_DEP_1)
	v_rcp_iflag_f32_e32 v2, v15
	s_sub_i32 s91, 0, s30
	s_waitcnt_depctr 0xfff
	v_mul_f32_e32 v2, 0x4f7ffffe, v2
	v_cvt_u32_f32_e32 v2, v2
	s_delay_alu instid0(VALU_DEP_1) | instskip(NEXT) | instid1(VALU_DEP_1)
	v_mul_lo_u32 v7, s91, v2
	v_mul_hi_u32 v7, v2, v7
	s_delay_alu instid0(VALU_DEP_1) | instskip(NEXT) | instid1(VALU_DEP_1)
	v_add_nc_u32_e32 v2, v2, v7
	v_mul_hi_u32 v2, v25, v2
	s_delay_alu instid0(VALU_DEP_1) | instskip(SKIP_1) | instid1(VALU_DEP_2)
	v_mul_lo_u32 v7, v2, s30
	v_add_nc_u32_e32 v8, 1, v2
	v_sub_nc_u32_e32 v7, v25, v7
	s_delay_alu instid0(VALU_DEP_1) | instskip(SKIP_1) | instid1(VALU_DEP_2)
	v_subrev_nc_u32_e32 v9, s30, v7
	v_cmp_le_u32_e32 vcc_lo, s30, v7
	v_dual_cndmask_b32 v7, v7, v9 :: v_dual_cndmask_b32 v2, v2, v8
	s_delay_alu instid0(VALU_DEP_1) | instskip(NEXT) | instid1(VALU_DEP_2)
	v_cmp_le_u32_e32 vcc_lo, s30, v7
	v_add_nc_u32_e32 v8, 1, v2
	s_delay_alu instid0(VALU_DEP_1)
	v_dual_cndmask_b32 v7, v2, v8 :: v_dual_mov_b32 v8, v1
.LBB35_11:                              ;   in Loop: Header=BB35_3 Depth=1
	s_or_b32 exec_lo, exec_lo, s0
	s_delay_alu instid0(VALU_DEP_1) | instskip(NEXT) | instid1(VALU_DEP_2)
	v_mul_lo_u32 v2, v8, s30
	v_mul_lo_u32 v13, v7, s31
	v_mad_u64_u32 v[9:10], null, v7, s30, 0
	v_mul_lo_u32 v16, v7, s9
	s_mov_b32 s0, exec_lo
	s_delay_alu instid0(VALU_DEP_2) | instskip(SKIP_1) | instid1(VALU_DEP_4)
	v_add3_u32 v2, v10, v13, v2
	v_mul_lo_u32 v10, v8, s8
	v_sub_co_u32 v8, vcc_lo, v11, v9
	s_delay_alu instid0(VALU_DEP_3) | instskip(NEXT) | instid1(VALU_DEP_2)
	v_sub_co_ci_u32_e32 v2, vcc_lo, v12, v2, vcc_lo
	v_add_co_u32 v17, vcc_lo, v3, v8
	v_mad_u64_u32 v[8:9], null, v7, s8, 0
	s_delay_alu instid0(VALU_DEP_3) | instskip(NEXT) | instid1(VALU_DEP_3)
	v_add_co_ci_u32_e32 v2, vcc_lo, v4, v2, vcc_lo
	v_mul_lo_u32 v7, v17, s11
	v_mad_u64_u32 v[13:14], null, v17, s10, 0
	s_delay_alu instid0(VALU_DEP_3) | instskip(SKIP_1) | instid1(VALU_DEP_2)
	v_mul_lo_u32 v2, v2, s10
	v_add3_u32 v9, v9, v16, v10
	v_add3_u32 v14, v14, v7, v2
	s_delay_alu instid0(VALU_DEP_2) | instskip(NEXT) | instid1(VALU_DEP_2)
	v_lshlrev_b64 v[7:8], 3, v[8:9]
	v_lshlrev_b64 v[9:10], 3, v[13:14]
	;; [unrolled: 1-line block ×3, first 2 shown]
	s_delay_alu instid0(VALU_DEP_3) | instskip(NEXT) | instid1(VALU_DEP_4)
	v_add_co_u32 v2, vcc_lo, s28, v7
	v_add_co_ci_u32_e32 v8, vcc_lo, s29, v8, vcc_lo
	s_delay_alu instid0(VALU_DEP_2) | instskip(NEXT) | instid1(VALU_DEP_2)
	v_add_co_u32 v7, vcc_lo, v2, v9
	v_add_co_ci_u32_e32 v8, vcc_lo, v8, v10, vcc_lo
	v_alignbit_b32 v2, v6, v5, 31
	v_mul_lo_u32 v9, s5, v13
	v_mad_u64_u32 v[17:18], null, s4, v13, s[4:5]
	global_load_b64 v[7:8], v[7:8], off
	v_mul_lo_u32 v2, s4, v2
	v_add_co_u32 v26, vcc_lo, v3, v17
	s_delay_alu instid0(VALU_DEP_2) | instskip(NEXT) | instid1(VALU_DEP_1)
	v_add3_u32 v18, v9, v18, v2
                                        ; implicit-def: $vgpr9_vgpr10
	v_add_co_ci_u32_e32 v29, vcc_lo, v4, v18, vcc_lo
	s_delay_alu instid0(VALU_DEP_1) | instskip(SKIP_1) | instid1(VALU_DEP_2)
	v_or_b32_e32 v2, s31, v29
	v_ashrrev_i32_e32 v22, 31, v29
	v_cmpx_ne_u64_e32 0, v[1:2]
	s_xor_b32 s91, exec_lo, s0
	s_cbranch_execz .LBB35_13
; %bb.12:                               ;   in Loop: Header=BB35_3 Depth=1
	s_ashr_i32 s92, s31, 31
	s_delay_alu instid0(SALU_CYCLE_1) | instskip(SKIP_2) | instid1(SALU_CYCLE_1)
	s_add_u32 s94, s30, s92
	s_mov_b32 s93, s92
	s_addc_u32 s95, s31, s92
	s_xor_b64 s[94:95], s[94:95], s[92:93]
	s_delay_alu instid0(SALU_CYCLE_1) | instskip(SKIP_3) | instid1(VALU_DEP_1)
	v_cvt_f32_u32_e32 v2, s94
	v_cvt_f32_u32_e32 v9, s95
	s_sub_u32 s0, 0, s94
	s_subb_u32 s93, 0, s95
	v_fmac_f32_e32 v2, 0x4f800000, v9
	s_delay_alu instid0(VALU_DEP_1) | instskip(SKIP_2) | instid1(VALU_DEP_1)
	v_rcp_f32_e32 v2, v2
	s_waitcnt_depctr 0xfff
	v_mul_f32_e32 v2, 0x5f7ffffc, v2
	v_mul_f32_e32 v9, 0x2f800000, v2
	s_delay_alu instid0(VALU_DEP_1) | instskip(NEXT) | instid1(VALU_DEP_1)
	v_trunc_f32_e32 v9, v9
	v_fmac_f32_e32 v2, 0xcf800000, v9
	v_cvt_u32_f32_e32 v9, v9
	s_delay_alu instid0(VALU_DEP_2) | instskip(NEXT) | instid1(VALU_DEP_2)
	v_cvt_u32_f32_e32 v2, v2
	v_mul_lo_u32 v10, s0, v9
	s_delay_alu instid0(VALU_DEP_2) | instskip(SKIP_1) | instid1(VALU_DEP_2)
	v_mul_hi_u32 v16, s0, v2
	v_mul_lo_u32 v19, s93, v2
	v_add_nc_u32_e32 v10, v16, v10
	v_mul_lo_u32 v16, s0, v2
	s_delay_alu instid0(VALU_DEP_2) | instskip(NEXT) | instid1(VALU_DEP_2)
	v_add_nc_u32_e32 v10, v10, v19
	v_mul_hi_u32 v19, v2, v16
	s_delay_alu instid0(VALU_DEP_2)
	v_mul_lo_u32 v20, v2, v10
	v_mul_hi_u32 v24, v2, v10
	v_mul_hi_u32 v27, v9, v16
	v_mul_lo_u32 v16, v9, v16
	v_mul_hi_u32 v30, v9, v10
	v_mul_lo_u32 v10, v9, v10
	v_add_co_u32 v19, vcc_lo, v19, v20
	v_add_co_ci_u32_e32 v20, vcc_lo, 0, v24, vcc_lo
	s_delay_alu instid0(VALU_DEP_2) | instskip(NEXT) | instid1(VALU_DEP_2)
	v_add_co_u32 v16, vcc_lo, v19, v16
	v_add_co_ci_u32_e32 v16, vcc_lo, v20, v27, vcc_lo
	v_add_co_ci_u32_e32 v19, vcc_lo, 0, v30, vcc_lo
	s_delay_alu instid0(VALU_DEP_2) | instskip(NEXT) | instid1(VALU_DEP_2)
	v_add_co_u32 v10, vcc_lo, v16, v10
	v_add_co_ci_u32_e32 v16, vcc_lo, 0, v19, vcc_lo
	s_delay_alu instid0(VALU_DEP_2) | instskip(NEXT) | instid1(VALU_DEP_2)
	v_add_co_u32 v2, vcc_lo, v2, v10
	v_add_co_ci_u32_e32 v9, vcc_lo, v9, v16, vcc_lo
	s_delay_alu instid0(VALU_DEP_2) | instskip(SKIP_1) | instid1(VALU_DEP_3)
	v_mul_hi_u32 v10, s0, v2
	v_mul_lo_u32 v19, s93, v2
	v_mul_lo_u32 v16, s0, v9
	s_delay_alu instid0(VALU_DEP_1) | instskip(SKIP_1) | instid1(VALU_DEP_2)
	v_add_nc_u32_e32 v10, v10, v16
	v_mul_lo_u32 v16, s0, v2
	v_add_nc_u32_e32 v10, v10, v19
	s_delay_alu instid0(VALU_DEP_2) | instskip(NEXT) | instid1(VALU_DEP_2)
	v_mul_hi_u32 v19, v2, v16
	v_mul_lo_u32 v20, v2, v10
	v_mul_hi_u32 v24, v2, v10
	v_mul_hi_u32 v27, v9, v16
	v_mul_lo_u32 v16, v9, v16
	v_mul_hi_u32 v30, v9, v10
	v_mul_lo_u32 v10, v9, v10
	v_add_co_u32 v19, vcc_lo, v19, v20
	v_add_co_ci_u32_e32 v20, vcc_lo, 0, v24, vcc_lo
	s_delay_alu instid0(VALU_DEP_2) | instskip(NEXT) | instid1(VALU_DEP_2)
	v_add_co_u32 v16, vcc_lo, v19, v16
	v_add_co_ci_u32_e32 v16, vcc_lo, v20, v27, vcc_lo
	v_add_co_ci_u32_e32 v19, vcc_lo, 0, v30, vcc_lo
	v_add_co_u32 v20, vcc_lo, v26, v22
	v_add_co_ci_u32_e32 v24, vcc_lo, v29, v22, vcc_lo
	s_delay_alu instid0(VALU_DEP_4) | instskip(NEXT) | instid1(VALU_DEP_4)
	v_add_co_u32 v10, vcc_lo, v16, v10
	v_add_co_ci_u32_e32 v16, vcc_lo, 0, v19, vcc_lo
	s_delay_alu instid0(VALU_DEP_4) | instskip(NEXT) | instid1(VALU_DEP_3)
	v_xor_b32_e32 v27, v20, v22
	v_add_co_u32 v2, vcc_lo, v2, v10
	s_delay_alu instid0(VALU_DEP_3) | instskip(SKIP_1) | instid1(VALU_DEP_3)
	v_add_co_ci_u32_e32 v16, vcc_lo, v9, v16, vcc_lo
	v_xor_b32_e32 v24, v24, v22
	v_mul_hi_u32 v32, v27, v2
	s_delay_alu instid0(VALU_DEP_3) | instskip(NEXT) | instid1(VALU_DEP_3)
	v_mad_u64_u32 v[9:10], null, v27, v16, 0
	v_mad_u64_u32 v[19:20], null, v24, v2, 0
	;; [unrolled: 1-line block ×3, first 2 shown]
	s_delay_alu instid0(VALU_DEP_3) | instskip(NEXT) | instid1(VALU_DEP_4)
	v_add_co_u32 v2, vcc_lo, v32, v9
	v_add_co_ci_u32_e32 v9, vcc_lo, 0, v10, vcc_lo
	s_delay_alu instid0(VALU_DEP_2) | instskip(NEXT) | instid1(VALU_DEP_2)
	v_add_co_u32 v2, vcc_lo, v2, v19
	v_add_co_ci_u32_e32 v2, vcc_lo, v9, v20, vcc_lo
	v_add_co_ci_u32_e32 v9, vcc_lo, 0, v31, vcc_lo
	s_delay_alu instid0(VALU_DEP_2) | instskip(NEXT) | instid1(VALU_DEP_2)
	v_add_co_u32 v2, vcc_lo, v2, v30
	v_add_co_ci_u32_e32 v16, vcc_lo, 0, v9, vcc_lo
	s_delay_alu instid0(VALU_DEP_2) | instskip(SKIP_1) | instid1(VALU_DEP_3)
	v_mul_lo_u32 v19, s95, v2
	v_mad_u64_u32 v[9:10], null, s94, v2, 0
	v_mul_lo_u32 v20, s94, v16
	s_delay_alu instid0(VALU_DEP_2) | instskip(NEXT) | instid1(VALU_DEP_2)
	v_sub_co_u32 v9, vcc_lo, v27, v9
	v_add3_u32 v10, v10, v20, v19
	s_delay_alu instid0(VALU_DEP_1) | instskip(NEXT) | instid1(VALU_DEP_1)
	v_sub_nc_u32_e32 v19, v24, v10
	v_subrev_co_ci_u32_e64 v19, s0, s95, v19, vcc_lo
	v_add_co_u32 v20, s0, v2, 2
	s_delay_alu instid0(VALU_DEP_1) | instskip(SKIP_3) | instid1(VALU_DEP_3)
	v_add_co_ci_u32_e64 v27, s0, 0, v16, s0
	v_sub_co_u32 v30, s0, v9, s94
	v_sub_co_ci_u32_e32 v10, vcc_lo, v24, v10, vcc_lo
	v_subrev_co_ci_u32_e64 v19, s0, 0, v19, s0
	v_cmp_le_u32_e32 vcc_lo, s94, v30
	s_delay_alu instid0(VALU_DEP_3) | instskip(SKIP_1) | instid1(VALU_DEP_4)
	v_cmp_eq_u32_e64 s0, s95, v10
	v_cndmask_b32_e64 v24, 0, -1, vcc_lo
	v_cmp_le_u32_e32 vcc_lo, s95, v19
	v_cndmask_b32_e64 v30, 0, -1, vcc_lo
	v_cmp_le_u32_e32 vcc_lo, s94, v9
	;; [unrolled: 2-line block ×3, first 2 shown]
	v_cndmask_b32_e64 v31, 0, -1, vcc_lo
	v_cmp_eq_u32_e32 vcc_lo, s95, v19
	s_delay_alu instid0(VALU_DEP_2) | instskip(SKIP_3) | instid1(VALU_DEP_3)
	v_cndmask_b32_e64 v9, v31, v9, s0
	v_cndmask_b32_e32 v19, v30, v24, vcc_lo
	v_add_co_u32 v24, vcc_lo, v2, 1
	v_add_co_ci_u32_e32 v30, vcc_lo, 0, v16, vcc_lo
	v_cmp_ne_u32_e32 vcc_lo, 0, v19
	s_delay_alu instid0(VALU_DEP_2) | instskip(SKIP_2) | instid1(VALU_DEP_3)
	v_dual_cndmask_b32 v10, v30, v27 :: v_dual_cndmask_b32 v19, v24, v20
	v_cmp_ne_u32_e32 vcc_lo, 0, v9
	v_xor_b32_e32 v20, s92, v22
	v_dual_cndmask_b32 v9, v16, v10 :: v_dual_cndmask_b32 v2, v2, v19
	s_delay_alu instid0(VALU_DEP_1) | instskip(NEXT) | instid1(VALU_DEP_2)
	v_xor_b32_e32 v10, v9, v20
	v_xor_b32_e32 v2, v2, v20
	s_delay_alu instid0(VALU_DEP_1) | instskip(NEXT) | instid1(VALU_DEP_3)
	v_sub_co_u32 v9, vcc_lo, v2, v20
	v_sub_co_ci_u32_e32 v10, vcc_lo, v10, v20, vcc_lo
.LBB35_13:                              ;   in Loop: Header=BB35_3 Depth=1
	s_and_not1_saveexec_b32 s0, s91
	s_cbranch_execz .LBB35_15
; %bb.14:                               ;   in Loop: Header=BB35_3 Depth=1
	v_rcp_iflag_f32_e32 v2, v15
	s_sub_i32 s91, 0, s30
	s_waitcnt_depctr 0xfff
	v_mul_f32_e32 v2, 0x4f7ffffe, v2
	s_delay_alu instid0(VALU_DEP_1) | instskip(NEXT) | instid1(VALU_DEP_1)
	v_cvt_u32_f32_e32 v2, v2
	v_mul_lo_u32 v9, s91, v2
	s_delay_alu instid0(VALU_DEP_1) | instskip(NEXT) | instid1(VALU_DEP_1)
	v_mul_hi_u32 v9, v2, v9
	v_add_nc_u32_e32 v2, v2, v9
	s_delay_alu instid0(VALU_DEP_1) | instskip(NEXT) | instid1(VALU_DEP_1)
	v_mul_hi_u32 v2, v26, v2
	v_mul_lo_u32 v9, v2, s30
	v_add_nc_u32_e32 v10, 1, v2
	s_delay_alu instid0(VALU_DEP_2) | instskip(NEXT) | instid1(VALU_DEP_1)
	v_sub_nc_u32_e32 v9, v26, v9
	v_subrev_nc_u32_e32 v16, s30, v9
	v_cmp_le_u32_e32 vcc_lo, s30, v9
	s_delay_alu instid0(VALU_DEP_2) | instskip(NEXT) | instid1(VALU_DEP_1)
	v_dual_cndmask_b32 v9, v9, v16 :: v_dual_cndmask_b32 v2, v2, v10
	v_cmp_le_u32_e32 vcc_lo, s30, v9
	s_delay_alu instid0(VALU_DEP_2) | instskip(NEXT) | instid1(VALU_DEP_1)
	v_add_nc_u32_e32 v10, 1, v2
	v_dual_cndmask_b32 v9, v2, v10 :: v_dual_mov_b32 v10, v1
.LBB35_15:                              ;   in Loop: Header=BB35_3 Depth=1
	s_or_b32 exec_lo, exec_lo, s0
	s_delay_alu instid0(VALU_DEP_1) | instskip(NEXT) | instid1(VALU_DEP_2)
	v_mul_lo_u32 v2, v10, s30
	v_mul_lo_u32 v16, v9, s31
	v_mad_u64_u32 v[19:20], null, v9, s30, 0
	v_mul_lo_u32 v24, v9, s9
	s_mov_b32 s0, exec_lo
	s_delay_alu instid0(VALU_DEP_2) | instskip(SKIP_1) | instid1(VALU_DEP_4)
	v_add3_u32 v2, v20, v16, v2
	v_mul_lo_u32 v16, v10, s8
	v_sub_co_u32 v10, vcc_lo, v17, v19
	v_mad_u64_u32 v[19:20], null, v9, s8, 0
	s_delay_alu instid0(VALU_DEP_4) | instskip(NEXT) | instid1(VALU_DEP_3)
	v_sub_co_ci_u32_e32 v2, vcc_lo, v18, v2, vcc_lo
	v_add_co_u32 v27, vcc_lo, v3, v10
	s_delay_alu instid0(VALU_DEP_2) | instskip(NEXT) | instid1(VALU_DEP_2)
	v_add_co_ci_u32_e32 v2, vcc_lo, v4, v2, vcc_lo
	v_mul_lo_u32 v30, v27, s11
	v_mad_u64_u32 v[9:10], null, v27, s10, 0
	s_delay_alu instid0(VALU_DEP_3) | instskip(SKIP_1) | instid1(VALU_DEP_1)
	v_mul_lo_u32 v2, v2, s10
	v_add3_u32 v20, v20, v24, v16
	v_lshlrev_b64 v[19:20], 3, v[19:20]
	s_delay_alu instid0(VALU_DEP_3) | instskip(NEXT) | instid1(VALU_DEP_2)
	v_add3_u32 v10, v10, v30, v2
	v_add_co_u32 v2, vcc_lo, s28, v19
	s_delay_alu instid0(VALU_DEP_2) | instskip(NEXT) | instid1(VALU_DEP_4)
	v_lshlrev_b64 v[9:10], 3, v[9:10]
	v_add_co_ci_u32_e32 v16, vcc_lo, s29, v20, vcc_lo
	s_delay_alu instid0(VALU_DEP_2) | instskip(NEXT) | instid1(VALU_DEP_2)
	v_add_co_u32 v9, vcc_lo, v2, v9
	v_add_co_ci_u32_e32 v10, vcc_lo, v16, v10, vcc_lo
	v_add_co_u32 v2, vcc_lo, v13, 2
	v_add_co_ci_u32_e32 v13, vcc_lo, 0, v14, vcc_lo
	global_load_b64 v[9:10], v[9:10], off
	v_mul_lo_u32 v14, s5, v2
	v_mad_u64_u32 v[19:20], null, s4, v2, 0
	v_mul_lo_u32 v13, s4, v13
	s_delay_alu instid0(VALU_DEP_2) | instskip(NEXT) | instid1(VALU_DEP_2)
	v_add_co_u32 v27, vcc_lo, v3, v19
	v_add3_u32 v20, v20, v13, v14
                                        ; implicit-def: $vgpr13_vgpr14
	s_delay_alu instid0(VALU_DEP_1) | instskip(NEXT) | instid1(VALU_DEP_1)
	v_add_co_ci_u32_e32 v30, vcc_lo, v4, v20, vcc_lo
	v_or_b32_e32 v2, s31, v30
	v_ashrrev_i32_e32 v24, 31, v30
	s_delay_alu instid0(VALU_DEP_2)
	v_cmpx_ne_u64_e32 0, v[1:2]
	s_xor_b32 s91, exec_lo, s0
	s_cbranch_execz .LBB35_17
; %bb.16:                               ;   in Loop: Header=BB35_3 Depth=1
	s_ashr_i32 s92, s31, 31
	s_delay_alu instid0(SALU_CYCLE_1) | instskip(SKIP_2) | instid1(SALU_CYCLE_1)
	s_add_u32 s94, s30, s92
	s_mov_b32 s93, s92
	s_addc_u32 s95, s31, s92
	s_xor_b64 s[94:95], s[94:95], s[92:93]
	s_delay_alu instid0(SALU_CYCLE_1) | instskip(SKIP_3) | instid1(VALU_DEP_1)
	v_cvt_f32_u32_e32 v2, s94
	v_cvt_f32_u32_e32 v13, s95
	s_sub_u32 s0, 0, s94
	s_subb_u32 s93, 0, s95
	v_fmac_f32_e32 v2, 0x4f800000, v13
	s_delay_alu instid0(VALU_DEP_1) | instskip(SKIP_2) | instid1(VALU_DEP_1)
	v_rcp_f32_e32 v2, v2
	s_waitcnt_depctr 0xfff
	v_mul_f32_e32 v2, 0x5f7ffffc, v2
	v_mul_f32_e32 v13, 0x2f800000, v2
	s_delay_alu instid0(VALU_DEP_1) | instskip(NEXT) | instid1(VALU_DEP_1)
	v_trunc_f32_e32 v13, v13
	v_fmac_f32_e32 v2, 0xcf800000, v13
	v_cvt_u32_f32_e32 v13, v13
	s_delay_alu instid0(VALU_DEP_2) | instskip(NEXT) | instid1(VALU_DEP_2)
	v_cvt_u32_f32_e32 v2, v2
	v_mul_lo_u32 v14, s0, v13
	s_delay_alu instid0(VALU_DEP_2) | instskip(SKIP_1) | instid1(VALU_DEP_2)
	v_mul_hi_u32 v15, s0, v2
	v_mul_lo_u32 v16, s93, v2
	v_add_nc_u32_e32 v14, v15, v14
	v_mul_lo_u32 v15, s0, v2
	s_delay_alu instid0(VALU_DEP_2) | instskip(NEXT) | instid1(VALU_DEP_2)
	v_add_nc_u32_e32 v14, v14, v16
	v_mul_hi_u32 v16, v2, v15
	s_delay_alu instid0(VALU_DEP_2)
	v_mul_lo_u32 v31, v2, v14
	v_mul_hi_u32 v32, v2, v14
	v_mul_hi_u32 v33, v13, v15
	v_mul_lo_u32 v15, v13, v15
	v_mul_hi_u32 v34, v13, v14
	v_mul_lo_u32 v14, v13, v14
	v_add_co_u32 v16, vcc_lo, v16, v31
	v_add_co_ci_u32_e32 v31, vcc_lo, 0, v32, vcc_lo
	s_delay_alu instid0(VALU_DEP_2) | instskip(NEXT) | instid1(VALU_DEP_2)
	v_add_co_u32 v15, vcc_lo, v16, v15
	v_add_co_ci_u32_e32 v15, vcc_lo, v31, v33, vcc_lo
	v_add_co_ci_u32_e32 v16, vcc_lo, 0, v34, vcc_lo
	s_delay_alu instid0(VALU_DEP_2) | instskip(NEXT) | instid1(VALU_DEP_2)
	v_add_co_u32 v14, vcc_lo, v15, v14
	v_add_co_ci_u32_e32 v15, vcc_lo, 0, v16, vcc_lo
	s_delay_alu instid0(VALU_DEP_2) | instskip(NEXT) | instid1(VALU_DEP_2)
	v_add_co_u32 v2, vcc_lo, v2, v14
	v_add_co_ci_u32_e32 v13, vcc_lo, v13, v15, vcc_lo
	s_delay_alu instid0(VALU_DEP_2) | instskip(SKIP_1) | instid1(VALU_DEP_3)
	v_mul_hi_u32 v14, s0, v2
	v_mul_lo_u32 v16, s93, v2
	v_mul_lo_u32 v15, s0, v13
	s_delay_alu instid0(VALU_DEP_1) | instskip(SKIP_1) | instid1(VALU_DEP_2)
	v_add_nc_u32_e32 v14, v14, v15
	v_mul_lo_u32 v15, s0, v2
	v_add_nc_u32_e32 v14, v14, v16
	s_delay_alu instid0(VALU_DEP_2) | instskip(NEXT) | instid1(VALU_DEP_2)
	v_mul_hi_u32 v16, v2, v15
	v_mul_lo_u32 v31, v2, v14
	v_mul_hi_u32 v32, v2, v14
	v_mul_hi_u32 v33, v13, v15
	v_mul_lo_u32 v15, v13, v15
	v_mul_hi_u32 v34, v13, v14
	v_mul_lo_u32 v14, v13, v14
	v_add_co_u32 v16, vcc_lo, v16, v31
	v_add_co_ci_u32_e32 v31, vcc_lo, 0, v32, vcc_lo
	s_delay_alu instid0(VALU_DEP_2) | instskip(NEXT) | instid1(VALU_DEP_2)
	v_add_co_u32 v15, vcc_lo, v16, v15
	v_add_co_ci_u32_e32 v15, vcc_lo, v31, v33, vcc_lo
	v_add_co_ci_u32_e32 v16, vcc_lo, 0, v34, vcc_lo
	v_add_co_u32 v31, vcc_lo, v27, v24
	v_add_co_ci_u32_e32 v32, vcc_lo, v30, v24, vcc_lo
	s_delay_alu instid0(VALU_DEP_4) | instskip(NEXT) | instid1(VALU_DEP_4)
	v_add_co_u32 v14, vcc_lo, v15, v14
	v_add_co_ci_u32_e32 v15, vcc_lo, 0, v16, vcc_lo
	s_delay_alu instid0(VALU_DEP_4) | instskip(NEXT) | instid1(VALU_DEP_3)
	v_xor_b32_e32 v33, v31, v24
	v_add_co_u32 v2, vcc_lo, v2, v14
	s_delay_alu instid0(VALU_DEP_3) | instskip(SKIP_1) | instid1(VALU_DEP_3)
	v_add_co_ci_u32_e32 v34, vcc_lo, v13, v15, vcc_lo
	v_xor_b32_e32 v35, v32, v24
	v_mul_hi_u32 v36, v33, v2
	s_delay_alu instid0(VALU_DEP_3) | instskip(NEXT) | instid1(VALU_DEP_3)
	v_mad_u64_u32 v[13:14], null, v33, v34, 0
	v_mad_u64_u32 v[15:16], null, v35, v2, 0
	;; [unrolled: 1-line block ×3, first 2 shown]
	s_delay_alu instid0(VALU_DEP_3) | instskip(NEXT) | instid1(VALU_DEP_4)
	v_add_co_u32 v2, vcc_lo, v36, v13
	v_add_co_ci_u32_e32 v13, vcc_lo, 0, v14, vcc_lo
	s_delay_alu instid0(VALU_DEP_2) | instskip(NEXT) | instid1(VALU_DEP_2)
	v_add_co_u32 v2, vcc_lo, v2, v15
	v_add_co_ci_u32_e32 v2, vcc_lo, v13, v16, vcc_lo
	v_add_co_ci_u32_e32 v13, vcc_lo, 0, v32, vcc_lo
	s_delay_alu instid0(VALU_DEP_2) | instskip(NEXT) | instid1(VALU_DEP_2)
	v_add_co_u32 v2, vcc_lo, v2, v31
	v_add_co_ci_u32_e32 v15, vcc_lo, 0, v13, vcc_lo
	s_delay_alu instid0(VALU_DEP_2) | instskip(SKIP_1) | instid1(VALU_DEP_3)
	v_mul_lo_u32 v16, s95, v2
	v_mad_u64_u32 v[13:14], null, s94, v2, 0
	v_mul_lo_u32 v31, s94, v15
	s_delay_alu instid0(VALU_DEP_2) | instskip(NEXT) | instid1(VALU_DEP_2)
	v_sub_co_u32 v13, vcc_lo, v33, v13
	v_add3_u32 v14, v14, v31, v16
	s_delay_alu instid0(VALU_DEP_1) | instskip(NEXT) | instid1(VALU_DEP_1)
	v_sub_nc_u32_e32 v16, v35, v14
	v_subrev_co_ci_u32_e64 v16, s0, s95, v16, vcc_lo
	v_add_co_u32 v31, s0, v2, 2
	s_delay_alu instid0(VALU_DEP_1) | instskip(SKIP_3) | instid1(VALU_DEP_3)
	v_add_co_ci_u32_e64 v32, s0, 0, v15, s0
	v_sub_co_u32 v33, s0, v13, s94
	v_sub_co_ci_u32_e32 v14, vcc_lo, v35, v14, vcc_lo
	v_subrev_co_ci_u32_e64 v16, s0, 0, v16, s0
	v_cmp_le_u32_e32 vcc_lo, s94, v33
	s_delay_alu instid0(VALU_DEP_3) | instskip(SKIP_1) | instid1(VALU_DEP_4)
	v_cmp_eq_u32_e64 s0, s95, v14
	v_cndmask_b32_e64 v33, 0, -1, vcc_lo
	v_cmp_le_u32_e32 vcc_lo, s95, v16
	v_cndmask_b32_e64 v34, 0, -1, vcc_lo
	v_cmp_le_u32_e32 vcc_lo, s94, v13
	;; [unrolled: 2-line block ×3, first 2 shown]
	v_cndmask_b32_e64 v35, 0, -1, vcc_lo
	v_cmp_eq_u32_e32 vcc_lo, s95, v16
	s_delay_alu instid0(VALU_DEP_2) | instskip(SKIP_3) | instid1(VALU_DEP_3)
	v_cndmask_b32_e64 v13, v35, v13, s0
	v_cndmask_b32_e32 v16, v34, v33, vcc_lo
	v_add_co_u32 v33, vcc_lo, v2, 1
	v_add_co_ci_u32_e32 v34, vcc_lo, 0, v15, vcc_lo
	v_cmp_ne_u32_e32 vcc_lo, 0, v16
	s_delay_alu instid0(VALU_DEP_2) | instskip(NEXT) | instid1(VALU_DEP_4)
	v_cndmask_b32_e32 v14, v34, v32, vcc_lo
	v_cndmask_b32_e32 v16, v33, v31, vcc_lo
	v_cmp_ne_u32_e32 vcc_lo, 0, v13
	v_xor_b32_e32 v31, s92, v24
	s_delay_alu instid0(VALU_DEP_3) | instskip(NEXT) | instid1(VALU_DEP_1)
	v_dual_cndmask_b32 v2, v2, v16 :: v_dual_cndmask_b32 v13, v15, v14
                                        ; implicit-def: $vgpr15
	v_xor_b32_e32 v2, v2, v31
	s_delay_alu instid0(VALU_DEP_2) | instskip(NEXT) | instid1(VALU_DEP_2)
	v_xor_b32_e32 v14, v13, v31
	v_sub_co_u32 v13, vcc_lo, v2, v31
	s_delay_alu instid0(VALU_DEP_2)
	v_sub_co_ci_u32_e32 v14, vcc_lo, v14, v31, vcc_lo
.LBB35_17:                              ;   in Loop: Header=BB35_3 Depth=1
	s_and_not1_saveexec_b32 s0, s91
	s_cbranch_execz .LBB35_19
; %bb.18:                               ;   in Loop: Header=BB35_3 Depth=1
	v_rcp_iflag_f32_e32 v2, v15
	s_sub_i32 s91, 0, s30
	s_waitcnt_depctr 0xfff
	v_mul_f32_e32 v2, 0x4f7ffffe, v2
	s_delay_alu instid0(VALU_DEP_1) | instskip(NEXT) | instid1(VALU_DEP_1)
	v_cvt_u32_f32_e32 v2, v2
	v_mul_lo_u32 v13, s91, v2
	s_delay_alu instid0(VALU_DEP_1) | instskip(NEXT) | instid1(VALU_DEP_1)
	v_mul_hi_u32 v13, v2, v13
	v_add_nc_u32_e32 v2, v2, v13
	s_delay_alu instid0(VALU_DEP_1) | instskip(NEXT) | instid1(VALU_DEP_1)
	v_mul_hi_u32 v2, v27, v2
	v_mul_lo_u32 v13, v2, s30
	v_add_nc_u32_e32 v14, 1, v2
	s_delay_alu instid0(VALU_DEP_2) | instskip(NEXT) | instid1(VALU_DEP_1)
	v_sub_nc_u32_e32 v13, v27, v13
	v_subrev_nc_u32_e32 v15, s30, v13
	v_cmp_le_u32_e32 vcc_lo, s30, v13
	s_delay_alu instid0(VALU_DEP_2) | instskip(NEXT) | instid1(VALU_DEP_1)
	v_dual_cndmask_b32 v13, v13, v15 :: v_dual_cndmask_b32 v2, v2, v14
	v_cmp_le_u32_e32 vcc_lo, s30, v13
	s_delay_alu instid0(VALU_DEP_2) | instskip(NEXT) | instid1(VALU_DEP_1)
	v_add_nc_u32_e32 v14, 1, v2
	v_dual_cndmask_b32 v13, v2, v14 :: v_dual_mov_b32 v14, v1
.LBB35_19:                              ;   in Loop: Header=BB35_3 Depth=1
	s_or_b32 exec_lo, exec_lo, s0
	s_delay_alu instid0(VALU_DEP_1) | instskip(NEXT) | instid1(VALU_DEP_2)
	v_mul_lo_u32 v2, v14, s30
	v_mul_lo_u32 v31, v13, s31
	v_mad_u64_u32 v[15:16], null, v13, s30, 0
	v_mul_lo_u32 v33, v13, s9
	s_mov_b32 s0, exec_lo
	s_delay_alu instid0(VALU_DEP_2) | instskip(SKIP_1) | instid1(VALU_DEP_4)
	v_add3_u32 v2, v16, v31, v2
	v_mul_lo_u32 v16, v14, s8
	v_sub_co_u32 v14, vcc_lo, v19, v15
	s_delay_alu instid0(VALU_DEP_3) | instskip(NEXT) | instid1(VALU_DEP_2)
	v_sub_co_ci_u32_e32 v2, vcc_lo, v20, v2, vcc_lo
	v_add_co_u32 v34, vcc_lo, v3, v14
	v_mad_u64_u32 v[14:15], null, v13, s8, 0
	s_delay_alu instid0(VALU_DEP_3) | instskip(NEXT) | instid1(VALU_DEP_3)
	v_add_co_ci_u32_e32 v2, vcc_lo, v4, v2, vcc_lo
	v_mul_lo_u32 v13, v34, s11
	v_mad_u64_u32 v[31:32], null, v34, s10, 0
	s_delay_alu instid0(VALU_DEP_3) | instskip(SKIP_1) | instid1(VALU_DEP_2)
	v_mul_lo_u32 v2, v2, s10
	v_add3_u32 v15, v15, v33, v16
	v_add3_u32 v32, v32, v13, v2
	s_delay_alu instid0(VALU_DEP_2) | instskip(NEXT) | instid1(VALU_DEP_2)
	v_lshlrev_b64 v[13:14], 3, v[14:15]
	v_lshlrev_b64 v[15:16], 3, v[31:32]
	s_delay_alu instid0(VALU_DEP_2) | instskip(NEXT) | instid1(VALU_DEP_3)
	v_add_co_u32 v2, vcc_lo, s28, v13
	v_add_co_ci_u32_e32 v14, vcc_lo, s29, v14, vcc_lo
	s_delay_alu instid0(VALU_DEP_2) | instskip(NEXT) | instid1(VALU_DEP_2)
	v_add_co_u32 v13, vcc_lo, v2, v15
	v_add_co_ci_u32_e32 v14, vcc_lo, v14, v16, vcc_lo
	v_or_b32_e32 v2, s41, v28
                                        ; implicit-def: $vgpr15_vgpr16
	global_load_b64 v[13:14], v[13:14], off
	v_cmpx_ne_u64_e32 0, v[1:2]
	s_xor_b32 s91, exec_lo, s0
	s_cbranch_execz .LBB35_21
; %bb.20:                               ;   in Loop: Header=BB35_3 Depth=1
	s_ashr_i32 s92, s41, 31
	s_delay_alu instid0(SALU_CYCLE_1) | instskip(SKIP_2) | instid1(SALU_CYCLE_1)
	s_add_u32 s94, s40, s92
	s_mov_b32 s93, s92
	s_addc_u32 s95, s41, s92
	s_xor_b64 s[94:95], s[94:95], s[92:93]
	s_delay_alu instid0(SALU_CYCLE_1) | instskip(SKIP_3) | instid1(VALU_DEP_1)
	v_cvt_f32_u32_e32 v2, s94
	v_cvt_f32_u32_e32 v15, s95
	s_sub_u32 s0, 0, s94
	s_subb_u32 s93, 0, s95
	v_fmac_f32_e32 v2, 0x4f800000, v15
	s_delay_alu instid0(VALU_DEP_1) | instskip(SKIP_2) | instid1(VALU_DEP_1)
	v_rcp_f32_e32 v2, v2
	s_waitcnt_depctr 0xfff
	v_mul_f32_e32 v2, 0x5f7ffffc, v2
	v_mul_f32_e32 v15, 0x2f800000, v2
	s_delay_alu instid0(VALU_DEP_1) | instskip(NEXT) | instid1(VALU_DEP_1)
	v_trunc_f32_e32 v15, v15
	v_fmac_f32_e32 v2, 0xcf800000, v15
	v_cvt_u32_f32_e32 v15, v15
	s_delay_alu instid0(VALU_DEP_2) | instskip(NEXT) | instid1(VALU_DEP_2)
	v_cvt_u32_f32_e32 v2, v2
	v_mul_lo_u32 v16, s0, v15
	s_delay_alu instid0(VALU_DEP_2) | instskip(SKIP_1) | instid1(VALU_DEP_2)
	v_mul_hi_u32 v31, s0, v2
	v_mul_lo_u32 v32, s93, v2
	v_add_nc_u32_e32 v16, v31, v16
	v_mul_lo_u32 v31, s0, v2
	s_delay_alu instid0(VALU_DEP_2) | instskip(NEXT) | instid1(VALU_DEP_2)
	v_add_nc_u32_e32 v16, v16, v32
	v_mul_hi_u32 v32, v2, v31
	s_delay_alu instid0(VALU_DEP_2)
	v_mul_lo_u32 v33, v2, v16
	v_mul_hi_u32 v34, v2, v16
	v_mul_hi_u32 v35, v15, v31
	v_mul_lo_u32 v31, v15, v31
	v_mul_hi_u32 v36, v15, v16
	v_mul_lo_u32 v16, v15, v16
	v_add_co_u32 v32, vcc_lo, v32, v33
	v_add_co_ci_u32_e32 v33, vcc_lo, 0, v34, vcc_lo
	s_delay_alu instid0(VALU_DEP_2) | instskip(NEXT) | instid1(VALU_DEP_2)
	v_add_co_u32 v31, vcc_lo, v32, v31
	v_add_co_ci_u32_e32 v31, vcc_lo, v33, v35, vcc_lo
	v_add_co_ci_u32_e32 v32, vcc_lo, 0, v36, vcc_lo
	s_delay_alu instid0(VALU_DEP_2) | instskip(NEXT) | instid1(VALU_DEP_2)
	v_add_co_u32 v16, vcc_lo, v31, v16
	v_add_co_ci_u32_e32 v31, vcc_lo, 0, v32, vcc_lo
	s_delay_alu instid0(VALU_DEP_2) | instskip(NEXT) | instid1(VALU_DEP_2)
	v_add_co_u32 v2, vcc_lo, v2, v16
	v_add_co_ci_u32_e32 v15, vcc_lo, v15, v31, vcc_lo
	s_delay_alu instid0(VALU_DEP_2) | instskip(SKIP_1) | instid1(VALU_DEP_3)
	v_mul_hi_u32 v16, s0, v2
	v_mul_lo_u32 v32, s93, v2
	v_mul_lo_u32 v31, s0, v15
	s_delay_alu instid0(VALU_DEP_1) | instskip(SKIP_1) | instid1(VALU_DEP_2)
	v_add_nc_u32_e32 v16, v16, v31
	v_mul_lo_u32 v31, s0, v2
	v_add_nc_u32_e32 v16, v16, v32
	s_delay_alu instid0(VALU_DEP_2) | instskip(NEXT) | instid1(VALU_DEP_2)
	v_mul_hi_u32 v32, v2, v31
	v_mul_lo_u32 v33, v2, v16
	v_mul_hi_u32 v34, v2, v16
	v_mul_hi_u32 v35, v15, v31
	v_mul_lo_u32 v31, v15, v31
	v_mul_hi_u32 v36, v15, v16
	v_mul_lo_u32 v16, v15, v16
	v_add_co_u32 v32, vcc_lo, v32, v33
	v_add_co_ci_u32_e32 v33, vcc_lo, 0, v34, vcc_lo
	s_delay_alu instid0(VALU_DEP_2) | instskip(NEXT) | instid1(VALU_DEP_2)
	v_add_co_u32 v31, vcc_lo, v32, v31
	v_add_co_ci_u32_e32 v31, vcc_lo, v33, v35, vcc_lo
	v_add_co_ci_u32_e32 v32, vcc_lo, 0, v36, vcc_lo
	v_add_co_u32 v25, vcc_lo, v25, v21
	v_add_co_ci_u32_e32 v28, vcc_lo, v28, v21, vcc_lo
	s_delay_alu instid0(VALU_DEP_4) | instskip(NEXT) | instid1(VALU_DEP_4)
	v_add_co_u32 v16, vcc_lo, v31, v16
	v_add_co_ci_u32_e32 v31, vcc_lo, 0, v32, vcc_lo
	s_delay_alu instid0(VALU_DEP_4) | instskip(NEXT) | instid1(VALU_DEP_3)
	v_xor_b32_e32 v25, v25, v21
	v_add_co_u32 v2, vcc_lo, v2, v16
	s_delay_alu instid0(VALU_DEP_3) | instskip(SKIP_1) | instid1(VALU_DEP_3)
	v_add_co_ci_u32_e32 v35, vcc_lo, v15, v31, vcc_lo
	v_xor_b32_e32 v28, v28, v21
	v_mul_hi_u32 v36, v25, v2
	v_xor_b32_e32 v21, s92, v21
	s_delay_alu instid0(VALU_DEP_4) | instskip(NEXT) | instid1(VALU_DEP_4)
	v_mad_u64_u32 v[15:16], null, v25, v35, 0
	v_mad_u64_u32 v[31:32], null, v28, v2, 0
	;; [unrolled: 1-line block ×3, first 2 shown]
	s_delay_alu instid0(VALU_DEP_3) | instskip(NEXT) | instid1(VALU_DEP_4)
	v_add_co_u32 v2, vcc_lo, v36, v15
	v_add_co_ci_u32_e32 v15, vcc_lo, 0, v16, vcc_lo
	s_delay_alu instid0(VALU_DEP_2) | instskip(NEXT) | instid1(VALU_DEP_2)
	v_add_co_u32 v2, vcc_lo, v2, v31
	v_add_co_ci_u32_e32 v2, vcc_lo, v15, v32, vcc_lo
	v_add_co_ci_u32_e32 v15, vcc_lo, 0, v34, vcc_lo
	s_delay_alu instid0(VALU_DEP_2) | instskip(NEXT) | instid1(VALU_DEP_2)
	v_add_co_u32 v2, vcc_lo, v2, v33
	v_add_co_ci_u32_e32 v31, vcc_lo, 0, v15, vcc_lo
	s_delay_alu instid0(VALU_DEP_2) | instskip(SKIP_1) | instid1(VALU_DEP_3)
	v_mul_lo_u32 v32, s95, v2
	v_mad_u64_u32 v[15:16], null, s94, v2, 0
	v_mul_lo_u32 v33, s94, v31
	s_delay_alu instid0(VALU_DEP_2) | instskip(NEXT) | instid1(VALU_DEP_2)
	v_sub_co_u32 v15, vcc_lo, v25, v15
	v_add3_u32 v16, v16, v33, v32
	s_delay_alu instid0(VALU_DEP_1) | instskip(NEXT) | instid1(VALU_DEP_1)
	v_sub_nc_u32_e32 v32, v28, v16
	v_subrev_co_ci_u32_e64 v25, s0, s95, v32, vcc_lo
	v_add_co_u32 v32, s0, v2, 2
	s_delay_alu instid0(VALU_DEP_1) | instskip(SKIP_3) | instid1(VALU_DEP_3)
	v_add_co_ci_u32_e64 v33, s0, 0, v31, s0
	v_sub_co_u32 v34, s0, v15, s94
	v_sub_co_ci_u32_e32 v16, vcc_lo, v28, v16, vcc_lo
	v_subrev_co_ci_u32_e64 v25, s0, 0, v25, s0
	v_cmp_le_u32_e32 vcc_lo, s94, v34
	s_delay_alu instid0(VALU_DEP_3) | instskip(SKIP_1) | instid1(VALU_DEP_4)
	v_cmp_eq_u32_e64 s0, s95, v16
	v_cndmask_b32_e64 v28, 0, -1, vcc_lo
	v_cmp_le_u32_e32 vcc_lo, s95, v25
	v_cndmask_b32_e64 v34, 0, -1, vcc_lo
	v_cmp_le_u32_e32 vcc_lo, s94, v15
	v_cndmask_b32_e64 v15, 0, -1, vcc_lo
	v_cmp_le_u32_e32 vcc_lo, s95, v16
	v_cndmask_b32_e64 v35, 0, -1, vcc_lo
	v_cmp_eq_u32_e32 vcc_lo, s95, v25
	s_delay_alu instid0(VALU_DEP_2) | instskip(SKIP_3) | instid1(VALU_DEP_3)
	v_cndmask_b32_e64 v15, v35, v15, s0
	v_cndmask_b32_e32 v25, v34, v28, vcc_lo
	v_add_co_u32 v28, vcc_lo, v2, 1
	v_add_co_ci_u32_e32 v34, vcc_lo, 0, v31, vcc_lo
	v_cmp_ne_u32_e32 vcc_lo, 0, v25
	s_delay_alu instid0(VALU_DEP_2) | instskip(SKIP_1) | instid1(VALU_DEP_2)
	v_dual_cndmask_b32 v16, v34, v33 :: v_dual_cndmask_b32 v25, v28, v32
	v_cmp_ne_u32_e32 vcc_lo, 0, v15
	v_dual_cndmask_b32 v15, v31, v16 :: v_dual_cndmask_b32 v2, v2, v25
                                        ; implicit-def: $vgpr25
	s_delay_alu instid0(VALU_DEP_1) | instskip(NEXT) | instid1(VALU_DEP_2)
	v_xor_b32_e32 v16, v15, v21
	v_xor_b32_e32 v2, v2, v21
	s_delay_alu instid0(VALU_DEP_1) | instskip(NEXT) | instid1(VALU_DEP_3)
	v_sub_co_u32 v15, vcc_lo, v2, v21
	v_sub_co_ci_u32_e32 v16, vcc_lo, v16, v21, vcc_lo
.LBB35_21:                              ;   in Loop: Header=BB35_3 Depth=1
	s_or_saveexec_b32 s0, s91
	v_cvt_f32_u32_e32 v21, s40
	s_xor_b32 exec_lo, exec_lo, s0
	s_cbranch_execz .LBB35_23
; %bb.22:                               ;   in Loop: Header=BB35_3 Depth=1
	s_delay_alu instid0(VALU_DEP_1) | instskip(SKIP_3) | instid1(VALU_DEP_1)
	v_rcp_iflag_f32_e32 v2, v21
	s_sub_i32 s91, 0, s40
	s_waitcnt_depctr 0xfff
	v_mul_f32_e32 v2, 0x4f7ffffe, v2
	v_cvt_u32_f32_e32 v2, v2
	s_delay_alu instid0(VALU_DEP_1) | instskip(NEXT) | instid1(VALU_DEP_1)
	v_mul_lo_u32 v15, s91, v2
	v_mul_hi_u32 v15, v2, v15
	s_delay_alu instid0(VALU_DEP_1) | instskip(NEXT) | instid1(VALU_DEP_1)
	v_add_nc_u32_e32 v2, v2, v15
	v_mul_hi_u32 v2, v25, v2
	s_delay_alu instid0(VALU_DEP_1) | instskip(SKIP_1) | instid1(VALU_DEP_2)
	v_mul_lo_u32 v15, v2, s40
	v_add_nc_u32_e32 v16, 1, v2
	v_sub_nc_u32_e32 v15, v25, v15
	s_delay_alu instid0(VALU_DEP_1) | instskip(SKIP_1) | instid1(VALU_DEP_2)
	v_subrev_nc_u32_e32 v25, s40, v15
	v_cmp_le_u32_e32 vcc_lo, s40, v15
	v_dual_cndmask_b32 v15, v15, v25 :: v_dual_cndmask_b32 v2, v2, v16
	s_delay_alu instid0(VALU_DEP_1) | instskip(NEXT) | instid1(VALU_DEP_2)
	v_cmp_le_u32_e32 vcc_lo, s40, v15
	v_add_nc_u32_e32 v16, 1, v2
	s_delay_alu instid0(VALU_DEP_1)
	v_dual_cndmask_b32 v15, v2, v16 :: v_dual_mov_b32 v16, v1
.LBB35_23:                              ;   in Loop: Header=BB35_3 Depth=1
	s_or_b32 exec_lo, exec_lo, s0
	s_delay_alu instid0(VALU_DEP_1) | instskip(NEXT) | instid1(VALU_DEP_2)
	v_mul_lo_u32 v2, v16, s40
	v_mul_lo_u32 v25, v15, s41
	v_mad_u64_u32 v[31:32], null, v15, s40, 0
	v_mul_lo_u32 v28, v15, s13
	s_mov_b32 s0, exec_lo
	s_delay_alu instid0(VALU_DEP_2) | instskip(NEXT) | instid1(VALU_DEP_3)
	v_add3_u32 v2, v32, v25, v2
	v_sub_co_u32 v11, vcc_lo, v11, v31
	v_mul_lo_u32 v25, v16, s12
	s_delay_alu instid0(VALU_DEP_3) | instskip(NEXT) | instid1(VALU_DEP_3)
	v_sub_co_ci_u32_e32 v2, vcc_lo, v12, v2, vcc_lo
	v_add_co_u32 v31, vcc_lo, v3, v11
	v_mad_u64_u32 v[11:12], null, v15, s12, 0
	s_delay_alu instid0(VALU_DEP_3) | instskip(NEXT) | instid1(VALU_DEP_3)
	v_add_co_ci_u32_e32 v2, vcc_lo, v4, v2, vcc_lo
	v_mul_lo_u32 v32, v31, s15
	v_mad_u64_u32 v[15:16], null, v31, s14, 0
	s_delay_alu instid0(VALU_DEP_3) | instskip(SKIP_1) | instid1(VALU_DEP_1)
	v_mul_lo_u32 v2, v2, s14
	v_add3_u32 v12, v12, v28, v25
	v_lshlrev_b64 v[11:12], 3, v[11:12]
	s_delay_alu instid0(VALU_DEP_3) | instskip(NEXT) | instid1(VALU_DEP_2)
	v_add3_u32 v16, v16, v32, v2
	v_add_co_u32 v2, vcc_lo, s34, v11
	s_delay_alu instid0(VALU_DEP_2) | instskip(NEXT) | instid1(VALU_DEP_4)
	v_lshlrev_b64 v[15:16], 3, v[15:16]
	v_add_co_ci_u32_e32 v12, vcc_lo, s35, v12, vcc_lo
	s_delay_alu instid0(VALU_DEP_2) | instskip(NEXT) | instid1(VALU_DEP_2)
	v_add_co_u32 v11, vcc_lo, v2, v15
	v_add_co_ci_u32_e32 v12, vcc_lo, v12, v16, vcc_lo
	v_or_b32_e32 v2, s41, v29
	global_load_b64 v[15:16], v[11:12], off
                                        ; implicit-def: $vgpr11_vgpr12
	v_cmpx_ne_u64_e32 0, v[1:2]
	s_xor_b32 s91, exec_lo, s0
	s_cbranch_execz .LBB35_25
; %bb.24:                               ;   in Loop: Header=BB35_3 Depth=1
	s_ashr_i32 s92, s41, 31
	s_delay_alu instid0(SALU_CYCLE_1) | instskip(SKIP_2) | instid1(SALU_CYCLE_1)
	s_add_u32 s94, s40, s92
	s_mov_b32 s93, s92
	s_addc_u32 s95, s41, s92
	s_xor_b64 s[94:95], s[94:95], s[92:93]
	s_delay_alu instid0(SALU_CYCLE_1) | instskip(SKIP_3) | instid1(VALU_DEP_1)
	v_cvt_f32_u32_e32 v2, s94
	v_cvt_f32_u32_e32 v11, s95
	s_sub_u32 s0, 0, s94
	s_subb_u32 s93, 0, s95
	v_fmac_f32_e32 v2, 0x4f800000, v11
	s_delay_alu instid0(VALU_DEP_1) | instskip(SKIP_2) | instid1(VALU_DEP_1)
	v_rcp_f32_e32 v2, v2
	s_waitcnt_depctr 0xfff
	v_mul_f32_e32 v2, 0x5f7ffffc, v2
	v_mul_f32_e32 v11, 0x2f800000, v2
	s_delay_alu instid0(VALU_DEP_1) | instskip(NEXT) | instid1(VALU_DEP_1)
	v_trunc_f32_e32 v11, v11
	v_fmac_f32_e32 v2, 0xcf800000, v11
	v_cvt_u32_f32_e32 v11, v11
	s_delay_alu instid0(VALU_DEP_2) | instskip(NEXT) | instid1(VALU_DEP_2)
	v_cvt_u32_f32_e32 v2, v2
	v_mul_lo_u32 v12, s0, v11
	s_delay_alu instid0(VALU_DEP_2) | instskip(SKIP_1) | instid1(VALU_DEP_2)
	v_mul_hi_u32 v25, s0, v2
	v_mul_lo_u32 v28, s93, v2
	v_add_nc_u32_e32 v12, v25, v12
	v_mul_lo_u32 v25, s0, v2
	s_delay_alu instid0(VALU_DEP_2) | instskip(NEXT) | instid1(VALU_DEP_2)
	v_add_nc_u32_e32 v12, v12, v28
	v_mul_hi_u32 v28, v2, v25
	s_delay_alu instid0(VALU_DEP_2)
	v_mul_lo_u32 v31, v2, v12
	v_mul_hi_u32 v32, v2, v12
	v_mul_hi_u32 v33, v11, v25
	v_mul_lo_u32 v25, v11, v25
	v_mul_hi_u32 v34, v11, v12
	v_mul_lo_u32 v12, v11, v12
	v_add_co_u32 v28, vcc_lo, v28, v31
	v_add_co_ci_u32_e32 v31, vcc_lo, 0, v32, vcc_lo
	s_delay_alu instid0(VALU_DEP_2) | instskip(NEXT) | instid1(VALU_DEP_2)
	v_add_co_u32 v25, vcc_lo, v28, v25
	v_add_co_ci_u32_e32 v25, vcc_lo, v31, v33, vcc_lo
	v_add_co_ci_u32_e32 v28, vcc_lo, 0, v34, vcc_lo
	s_delay_alu instid0(VALU_DEP_2) | instskip(NEXT) | instid1(VALU_DEP_2)
	v_add_co_u32 v12, vcc_lo, v25, v12
	v_add_co_ci_u32_e32 v25, vcc_lo, 0, v28, vcc_lo
	s_delay_alu instid0(VALU_DEP_2) | instskip(NEXT) | instid1(VALU_DEP_2)
	v_add_co_u32 v2, vcc_lo, v2, v12
	v_add_co_ci_u32_e32 v11, vcc_lo, v11, v25, vcc_lo
	s_delay_alu instid0(VALU_DEP_2) | instskip(SKIP_1) | instid1(VALU_DEP_3)
	v_mul_hi_u32 v12, s0, v2
	v_mul_lo_u32 v28, s93, v2
	v_mul_lo_u32 v25, s0, v11
	s_delay_alu instid0(VALU_DEP_1) | instskip(SKIP_1) | instid1(VALU_DEP_2)
	v_add_nc_u32_e32 v12, v12, v25
	v_mul_lo_u32 v25, s0, v2
	v_add_nc_u32_e32 v12, v12, v28
	s_delay_alu instid0(VALU_DEP_2) | instskip(NEXT) | instid1(VALU_DEP_2)
	v_mul_hi_u32 v28, v2, v25
	v_mul_lo_u32 v31, v2, v12
	v_mul_hi_u32 v32, v2, v12
	v_mul_hi_u32 v33, v11, v25
	v_mul_lo_u32 v25, v11, v25
	v_mul_hi_u32 v34, v11, v12
	v_mul_lo_u32 v12, v11, v12
	v_add_co_u32 v28, vcc_lo, v28, v31
	v_add_co_ci_u32_e32 v31, vcc_lo, 0, v32, vcc_lo
	s_delay_alu instid0(VALU_DEP_2) | instskip(NEXT) | instid1(VALU_DEP_2)
	v_add_co_u32 v25, vcc_lo, v28, v25
	v_add_co_ci_u32_e32 v25, vcc_lo, v31, v33, vcc_lo
	v_add_co_ci_u32_e32 v28, vcc_lo, 0, v34, vcc_lo
	v_add_co_u32 v26, vcc_lo, v26, v22
	v_add_co_ci_u32_e32 v29, vcc_lo, v29, v22, vcc_lo
	s_delay_alu instid0(VALU_DEP_4) | instskip(NEXT) | instid1(VALU_DEP_4)
	v_add_co_u32 v12, vcc_lo, v25, v12
	v_add_co_ci_u32_e32 v25, vcc_lo, 0, v28, vcc_lo
	s_delay_alu instid0(VALU_DEP_4) | instskip(NEXT) | instid1(VALU_DEP_3)
	v_xor_b32_e32 v31, v26, v22
	v_add_co_u32 v2, vcc_lo, v2, v12
	s_delay_alu instid0(VALU_DEP_3) | instskip(SKIP_1) | instid1(VALU_DEP_3)
	v_add_co_ci_u32_e32 v32, vcc_lo, v11, v25, vcc_lo
	v_xor_b32_e32 v33, v29, v22
	v_mul_hi_u32 v34, v31, v2
	v_xor_b32_e32 v22, s92, v22
	s_delay_alu instid0(VALU_DEP_4) | instskip(NEXT) | instid1(VALU_DEP_4)
	v_mad_u64_u32 v[11:12], null, v31, v32, 0
	v_mad_u64_u32 v[25:26], null, v33, v2, 0
	;; [unrolled: 1-line block ×3, first 2 shown]
	s_delay_alu instid0(VALU_DEP_3) | instskip(NEXT) | instid1(VALU_DEP_4)
	v_add_co_u32 v2, vcc_lo, v34, v11
	v_add_co_ci_u32_e32 v11, vcc_lo, 0, v12, vcc_lo
	s_delay_alu instid0(VALU_DEP_2) | instskip(NEXT) | instid1(VALU_DEP_2)
	v_add_co_u32 v2, vcc_lo, v2, v25
	v_add_co_ci_u32_e32 v2, vcc_lo, v11, v26, vcc_lo
	v_add_co_ci_u32_e32 v11, vcc_lo, 0, v29, vcc_lo
	s_delay_alu instid0(VALU_DEP_2) | instskip(NEXT) | instid1(VALU_DEP_2)
	v_add_co_u32 v2, vcc_lo, v2, v28
	v_add_co_ci_u32_e32 v25, vcc_lo, 0, v11, vcc_lo
	s_delay_alu instid0(VALU_DEP_2) | instskip(SKIP_1) | instid1(VALU_DEP_3)
	v_mul_lo_u32 v26, s95, v2
	v_mad_u64_u32 v[11:12], null, s94, v2, 0
	v_mul_lo_u32 v28, s94, v25
	s_delay_alu instid0(VALU_DEP_2) | instskip(NEXT) | instid1(VALU_DEP_2)
	v_sub_co_u32 v11, vcc_lo, v31, v11
	v_add3_u32 v12, v12, v28, v26
	s_delay_alu instid0(VALU_DEP_1) | instskip(NEXT) | instid1(VALU_DEP_1)
	v_sub_nc_u32_e32 v26, v33, v12
	v_subrev_co_ci_u32_e64 v26, s0, s95, v26, vcc_lo
	v_add_co_u32 v28, s0, v2, 2
	s_delay_alu instid0(VALU_DEP_1) | instskip(SKIP_3) | instid1(VALU_DEP_3)
	v_add_co_ci_u32_e64 v29, s0, 0, v25, s0
	v_sub_co_u32 v31, s0, v11, s94
	v_sub_co_ci_u32_e32 v12, vcc_lo, v33, v12, vcc_lo
	v_subrev_co_ci_u32_e64 v26, s0, 0, v26, s0
	v_cmp_le_u32_e32 vcc_lo, s94, v31
	s_delay_alu instid0(VALU_DEP_3) | instskip(SKIP_1) | instid1(VALU_DEP_4)
	v_cmp_eq_u32_e64 s0, s95, v12
	v_cndmask_b32_e64 v31, 0, -1, vcc_lo
	v_cmp_le_u32_e32 vcc_lo, s95, v26
	v_cndmask_b32_e64 v32, 0, -1, vcc_lo
	v_cmp_le_u32_e32 vcc_lo, s94, v11
	;; [unrolled: 2-line block ×3, first 2 shown]
	v_cndmask_b32_e64 v33, 0, -1, vcc_lo
	v_cmp_eq_u32_e32 vcc_lo, s95, v26
	s_delay_alu instid0(VALU_DEP_2) | instskip(SKIP_3) | instid1(VALU_DEP_3)
	v_cndmask_b32_e64 v11, v33, v11, s0
	v_cndmask_b32_e32 v26, v32, v31, vcc_lo
	v_add_co_u32 v31, vcc_lo, v2, 1
	v_add_co_ci_u32_e32 v32, vcc_lo, 0, v25, vcc_lo
	v_cmp_ne_u32_e32 vcc_lo, 0, v26
	s_delay_alu instid0(VALU_DEP_2) | instskip(NEXT) | instid1(VALU_DEP_4)
	v_cndmask_b32_e32 v12, v32, v29, vcc_lo
	v_cndmask_b32_e32 v26, v31, v28, vcc_lo
	v_cmp_ne_u32_e32 vcc_lo, 0, v11
	s_delay_alu instid0(VALU_DEP_2) | instskip(NEXT) | instid1(VALU_DEP_1)
	v_dual_cndmask_b32 v2, v2, v26 :: v_dual_cndmask_b32 v11, v25, v12
                                        ; implicit-def: $vgpr26
	v_xor_b32_e32 v2, v2, v22
	s_delay_alu instid0(VALU_DEP_2) | instskip(NEXT) | instid1(VALU_DEP_2)
	v_xor_b32_e32 v12, v11, v22
	v_sub_co_u32 v11, vcc_lo, v2, v22
	s_delay_alu instid0(VALU_DEP_2)
	v_sub_co_ci_u32_e32 v12, vcc_lo, v12, v22, vcc_lo
.LBB35_25:                              ;   in Loop: Header=BB35_3 Depth=1
	s_and_not1_saveexec_b32 s0, s91
	s_cbranch_execz .LBB35_27
; %bb.26:                               ;   in Loop: Header=BB35_3 Depth=1
	v_rcp_iflag_f32_e32 v2, v21
	s_sub_i32 s91, 0, s40
	s_waitcnt_depctr 0xfff
	v_mul_f32_e32 v2, 0x4f7ffffe, v2
	s_delay_alu instid0(VALU_DEP_1) | instskip(NEXT) | instid1(VALU_DEP_1)
	v_cvt_u32_f32_e32 v2, v2
	v_mul_lo_u32 v11, s91, v2
	s_delay_alu instid0(VALU_DEP_1) | instskip(NEXT) | instid1(VALU_DEP_1)
	v_mul_hi_u32 v11, v2, v11
	v_add_nc_u32_e32 v2, v2, v11
	s_delay_alu instid0(VALU_DEP_1) | instskip(NEXT) | instid1(VALU_DEP_1)
	v_mul_hi_u32 v2, v26, v2
	v_mul_lo_u32 v11, v2, s40
	v_add_nc_u32_e32 v12, 1, v2
	s_delay_alu instid0(VALU_DEP_2) | instskip(NEXT) | instid1(VALU_DEP_1)
	v_sub_nc_u32_e32 v11, v26, v11
	v_subrev_nc_u32_e32 v22, s40, v11
	v_cmp_le_u32_e32 vcc_lo, s40, v11
	s_delay_alu instid0(VALU_DEP_2) | instskip(NEXT) | instid1(VALU_DEP_1)
	v_dual_cndmask_b32 v11, v11, v22 :: v_dual_cndmask_b32 v2, v2, v12
	v_cmp_le_u32_e32 vcc_lo, s40, v11
	s_delay_alu instid0(VALU_DEP_2) | instskip(NEXT) | instid1(VALU_DEP_1)
	v_add_nc_u32_e32 v12, 1, v2
	v_dual_cndmask_b32 v11, v2, v12 :: v_dual_mov_b32 v12, v1
.LBB35_27:                              ;   in Loop: Header=BB35_3 Depth=1
	s_or_b32 exec_lo, exec_lo, s0
	s_delay_alu instid0(VALU_DEP_1) | instskip(NEXT) | instid1(VALU_DEP_2)
	v_mul_lo_u32 v2, v12, s40
	v_mul_lo_u32 v22, v11, s41
	v_mad_u64_u32 v[25:26], null, v11, s40, 0
	s_mov_b32 s0, exec_lo
	s_delay_alu instid0(VALU_DEP_1) | instskip(SKIP_1) | instid1(VALU_DEP_3)
	v_add3_u32 v2, v26, v22, v2
	v_mul_lo_u32 v22, v12, s12
	v_sub_co_u32 v12, vcc_lo, v17, v25
	v_mul_lo_u32 v25, v11, s13
	s_delay_alu instid0(VALU_DEP_4) | instskip(NEXT) | instid1(VALU_DEP_3)
	v_sub_co_ci_u32_e32 v2, vcc_lo, v18, v2, vcc_lo
	v_add_co_u32 v26, vcc_lo, v3, v12
	v_mad_u64_u32 v[17:18], null, v11, s12, 0
	s_delay_alu instid0(VALU_DEP_3) | instskip(NEXT) | instid1(VALU_DEP_3)
	v_add_co_ci_u32_e32 v2, vcc_lo, v4, v2, vcc_lo
	v_mul_lo_u32 v28, v26, s15
	v_mad_u64_u32 v[11:12], null, v26, s14, 0
	s_delay_alu instid0(VALU_DEP_3) | instskip(SKIP_1) | instid1(VALU_DEP_1)
	v_mul_lo_u32 v2, v2, s14
	v_add3_u32 v18, v18, v25, v22
	v_lshlrev_b64 v[17:18], 3, v[17:18]
	s_delay_alu instid0(VALU_DEP_3) | instskip(NEXT) | instid1(VALU_DEP_2)
	v_add3_u32 v12, v12, v28, v2
	v_add_co_u32 v2, vcc_lo, s34, v17
	s_delay_alu instid0(VALU_DEP_2) | instskip(NEXT) | instid1(VALU_DEP_4)
	v_lshlrev_b64 v[11:12], 3, v[11:12]
	v_add_co_ci_u32_e32 v17, vcc_lo, s35, v18, vcc_lo
	s_delay_alu instid0(VALU_DEP_2) | instskip(NEXT) | instid1(VALU_DEP_2)
	v_add_co_u32 v11, vcc_lo, v2, v11
	v_add_co_ci_u32_e32 v12, vcc_lo, v17, v12, vcc_lo
	v_or_b32_e32 v2, s41, v30
	global_load_b64 v[17:18], v[11:12], off
                                        ; implicit-def: $vgpr11_vgpr12
	v_cmpx_ne_u64_e32 0, v[1:2]
	s_xor_b32 s91, exec_lo, s0
	s_cbranch_execz .LBB35_29
; %bb.28:                               ;   in Loop: Header=BB35_3 Depth=1
	s_ashr_i32 s92, s41, 31
	s_delay_alu instid0(SALU_CYCLE_1) | instskip(SKIP_2) | instid1(SALU_CYCLE_1)
	s_add_u32 s94, s40, s92
	s_mov_b32 s93, s92
	s_addc_u32 s95, s41, s92
	s_xor_b64 s[94:95], s[94:95], s[92:93]
	s_delay_alu instid0(SALU_CYCLE_1) | instskip(SKIP_3) | instid1(VALU_DEP_1)
	v_cvt_f32_u32_e32 v2, s94
	v_cvt_f32_u32_e32 v11, s95
	s_sub_u32 s0, 0, s94
	s_subb_u32 s93, 0, s95
	v_fmac_f32_e32 v2, 0x4f800000, v11
	s_delay_alu instid0(VALU_DEP_1) | instskip(SKIP_2) | instid1(VALU_DEP_1)
	v_rcp_f32_e32 v2, v2
	s_waitcnt_depctr 0xfff
	v_mul_f32_e32 v2, 0x5f7ffffc, v2
	v_mul_f32_e32 v11, 0x2f800000, v2
	s_delay_alu instid0(VALU_DEP_1) | instskip(NEXT) | instid1(VALU_DEP_1)
	v_trunc_f32_e32 v11, v11
	v_fmac_f32_e32 v2, 0xcf800000, v11
	v_cvt_u32_f32_e32 v11, v11
	s_delay_alu instid0(VALU_DEP_2) | instskip(NEXT) | instid1(VALU_DEP_2)
	v_cvt_u32_f32_e32 v2, v2
	v_mul_lo_u32 v12, s0, v11
	s_delay_alu instid0(VALU_DEP_2) | instskip(SKIP_1) | instid1(VALU_DEP_2)
	v_mul_hi_u32 v21, s0, v2
	v_mul_lo_u32 v22, s93, v2
	v_add_nc_u32_e32 v12, v21, v12
	v_mul_lo_u32 v21, s0, v2
	s_delay_alu instid0(VALU_DEP_2) | instskip(NEXT) | instid1(VALU_DEP_2)
	v_add_nc_u32_e32 v12, v12, v22
	v_mul_hi_u32 v22, v2, v21
	s_delay_alu instid0(VALU_DEP_2)
	v_mul_lo_u32 v25, v2, v12
	v_mul_hi_u32 v26, v2, v12
	v_mul_hi_u32 v28, v11, v21
	v_mul_lo_u32 v21, v11, v21
	v_mul_hi_u32 v29, v11, v12
	v_mul_lo_u32 v12, v11, v12
	v_add_co_u32 v22, vcc_lo, v22, v25
	v_add_co_ci_u32_e32 v25, vcc_lo, 0, v26, vcc_lo
	s_delay_alu instid0(VALU_DEP_2) | instskip(NEXT) | instid1(VALU_DEP_2)
	v_add_co_u32 v21, vcc_lo, v22, v21
	v_add_co_ci_u32_e32 v21, vcc_lo, v25, v28, vcc_lo
	v_add_co_ci_u32_e32 v22, vcc_lo, 0, v29, vcc_lo
	s_delay_alu instid0(VALU_DEP_2) | instskip(NEXT) | instid1(VALU_DEP_2)
	v_add_co_u32 v12, vcc_lo, v21, v12
	v_add_co_ci_u32_e32 v21, vcc_lo, 0, v22, vcc_lo
	s_delay_alu instid0(VALU_DEP_2) | instskip(NEXT) | instid1(VALU_DEP_2)
	v_add_co_u32 v2, vcc_lo, v2, v12
	v_add_co_ci_u32_e32 v11, vcc_lo, v11, v21, vcc_lo
	s_delay_alu instid0(VALU_DEP_2) | instskip(SKIP_1) | instid1(VALU_DEP_3)
	v_mul_hi_u32 v12, s0, v2
	v_mul_lo_u32 v22, s93, v2
	v_mul_lo_u32 v21, s0, v11
	s_delay_alu instid0(VALU_DEP_1) | instskip(SKIP_1) | instid1(VALU_DEP_2)
	v_add_nc_u32_e32 v12, v12, v21
	v_mul_lo_u32 v21, s0, v2
	v_add_nc_u32_e32 v12, v12, v22
	s_delay_alu instid0(VALU_DEP_2) | instskip(NEXT) | instid1(VALU_DEP_2)
	v_mul_hi_u32 v22, v2, v21
	v_mul_lo_u32 v25, v2, v12
	v_mul_hi_u32 v26, v2, v12
	v_mul_hi_u32 v28, v11, v21
	v_mul_lo_u32 v21, v11, v21
	v_mul_hi_u32 v29, v11, v12
	v_mul_lo_u32 v12, v11, v12
	v_add_co_u32 v22, vcc_lo, v22, v25
	v_add_co_ci_u32_e32 v25, vcc_lo, 0, v26, vcc_lo
	s_delay_alu instid0(VALU_DEP_2) | instskip(NEXT) | instid1(VALU_DEP_2)
	v_add_co_u32 v21, vcc_lo, v22, v21
	v_add_co_ci_u32_e32 v21, vcc_lo, v25, v28, vcc_lo
	v_add_co_ci_u32_e32 v22, vcc_lo, 0, v29, vcc_lo
	v_add_co_u32 v25, vcc_lo, v27, v24
	v_add_co_ci_u32_e32 v26, vcc_lo, v30, v24, vcc_lo
	s_delay_alu instid0(VALU_DEP_4) | instskip(NEXT) | instid1(VALU_DEP_4)
	v_add_co_u32 v12, vcc_lo, v21, v12
	v_add_co_ci_u32_e32 v21, vcc_lo, 0, v22, vcc_lo
	s_delay_alu instid0(VALU_DEP_4) | instskip(NEXT) | instid1(VALU_DEP_3)
	v_xor_b32_e32 v27, v25, v24
	v_add_co_u32 v2, vcc_lo, v2, v12
	s_delay_alu instid0(VALU_DEP_3) | instskip(SKIP_1) | instid1(VALU_DEP_3)
	v_add_co_ci_u32_e32 v28, vcc_lo, v11, v21, vcc_lo
	v_xor_b32_e32 v29, v26, v24
	v_mul_hi_u32 v30, v27, v2
	v_xor_b32_e32 v24, s92, v24
	s_delay_alu instid0(VALU_DEP_4) | instskip(NEXT) | instid1(VALU_DEP_4)
	v_mad_u64_u32 v[11:12], null, v27, v28, 0
	v_mad_u64_u32 v[21:22], null, v29, v2, 0
	;; [unrolled: 1-line block ×3, first 2 shown]
	s_delay_alu instid0(VALU_DEP_3) | instskip(NEXT) | instid1(VALU_DEP_4)
	v_add_co_u32 v2, vcc_lo, v30, v11
	v_add_co_ci_u32_e32 v11, vcc_lo, 0, v12, vcc_lo
	s_delay_alu instid0(VALU_DEP_2) | instskip(NEXT) | instid1(VALU_DEP_2)
	v_add_co_u32 v2, vcc_lo, v2, v21
	v_add_co_ci_u32_e32 v2, vcc_lo, v11, v22, vcc_lo
	v_add_co_ci_u32_e32 v11, vcc_lo, 0, v26, vcc_lo
	s_delay_alu instid0(VALU_DEP_2) | instskip(NEXT) | instid1(VALU_DEP_2)
	v_add_co_u32 v2, vcc_lo, v2, v25
	v_add_co_ci_u32_e32 v21, vcc_lo, 0, v11, vcc_lo
	s_delay_alu instid0(VALU_DEP_2) | instskip(SKIP_1) | instid1(VALU_DEP_3)
	v_mul_lo_u32 v22, s95, v2
	v_mad_u64_u32 v[11:12], null, s94, v2, 0
	v_mul_lo_u32 v25, s94, v21
	s_delay_alu instid0(VALU_DEP_2) | instskip(NEXT) | instid1(VALU_DEP_2)
	v_sub_co_u32 v11, vcc_lo, v27, v11
	v_add3_u32 v12, v12, v25, v22
	s_delay_alu instid0(VALU_DEP_1) | instskip(NEXT) | instid1(VALU_DEP_1)
	v_sub_nc_u32_e32 v22, v29, v12
	v_subrev_co_ci_u32_e64 v22, s0, s95, v22, vcc_lo
	v_add_co_u32 v25, s0, v2, 2
	s_delay_alu instid0(VALU_DEP_1) | instskip(SKIP_3) | instid1(VALU_DEP_3)
	v_add_co_ci_u32_e64 v26, s0, 0, v21, s0
	v_sub_co_u32 v27, s0, v11, s94
	v_sub_co_ci_u32_e32 v12, vcc_lo, v29, v12, vcc_lo
	v_subrev_co_ci_u32_e64 v22, s0, 0, v22, s0
	v_cmp_le_u32_e32 vcc_lo, s94, v27
	s_delay_alu instid0(VALU_DEP_3) | instskip(SKIP_1) | instid1(VALU_DEP_4)
	v_cmp_eq_u32_e64 s0, s95, v12
	v_cndmask_b32_e64 v27, 0, -1, vcc_lo
	v_cmp_le_u32_e32 vcc_lo, s95, v22
	v_cndmask_b32_e64 v28, 0, -1, vcc_lo
	v_cmp_le_u32_e32 vcc_lo, s94, v11
	;; [unrolled: 2-line block ×3, first 2 shown]
	v_cndmask_b32_e64 v29, 0, -1, vcc_lo
	v_cmp_eq_u32_e32 vcc_lo, s95, v22
	s_delay_alu instid0(VALU_DEP_2) | instskip(SKIP_3) | instid1(VALU_DEP_3)
	v_cndmask_b32_e64 v11, v29, v11, s0
	v_cndmask_b32_e32 v22, v28, v27, vcc_lo
	v_add_co_u32 v27, vcc_lo, v2, 1
	v_add_co_ci_u32_e32 v28, vcc_lo, 0, v21, vcc_lo
	v_cmp_ne_u32_e32 vcc_lo, 0, v22
	s_delay_alu instid0(VALU_DEP_2) | instskip(NEXT) | instid1(VALU_DEP_4)
	v_cndmask_b32_e32 v12, v28, v26, vcc_lo
	v_cndmask_b32_e32 v22, v27, v25, vcc_lo
	v_cmp_ne_u32_e32 vcc_lo, 0, v11
                                        ; implicit-def: $vgpr27
	s_delay_alu instid0(VALU_DEP_2) | instskip(NEXT) | instid1(VALU_DEP_1)
	v_dual_cndmask_b32 v2, v2, v22 :: v_dual_cndmask_b32 v11, v21, v12
                                        ; implicit-def: $vgpr21
	v_xor_b32_e32 v2, v2, v24
	s_delay_alu instid0(VALU_DEP_2) | instskip(NEXT) | instid1(VALU_DEP_2)
	v_xor_b32_e32 v12, v11, v24
	v_sub_co_u32 v11, vcc_lo, v2, v24
	s_delay_alu instid0(VALU_DEP_2)
	v_sub_co_ci_u32_e32 v12, vcc_lo, v12, v24, vcc_lo
.LBB35_29:                              ;   in Loop: Header=BB35_3 Depth=1
	s_and_not1_saveexec_b32 s0, s91
	s_cbranch_execz .LBB35_31
; %bb.30:                               ;   in Loop: Header=BB35_3 Depth=1
	v_rcp_iflag_f32_e32 v2, v21
	s_sub_i32 s91, 0, s40
	s_waitcnt_depctr 0xfff
	v_mul_f32_e32 v2, 0x4f7ffffe, v2
	s_delay_alu instid0(VALU_DEP_1) | instskip(NEXT) | instid1(VALU_DEP_1)
	v_cvt_u32_f32_e32 v2, v2
	v_mul_lo_u32 v11, s91, v2
	s_delay_alu instid0(VALU_DEP_1) | instskip(NEXT) | instid1(VALU_DEP_1)
	v_mul_hi_u32 v11, v2, v11
	v_add_nc_u32_e32 v2, v2, v11
	s_delay_alu instid0(VALU_DEP_1) | instskip(NEXT) | instid1(VALU_DEP_1)
	v_mul_hi_u32 v2, v27, v2
	v_mul_lo_u32 v11, v2, s40
	v_add_nc_u32_e32 v12, 1, v2
	s_delay_alu instid0(VALU_DEP_2) | instskip(NEXT) | instid1(VALU_DEP_1)
	v_sub_nc_u32_e32 v11, v27, v11
	v_subrev_nc_u32_e32 v21, s40, v11
	v_cmp_le_u32_e32 vcc_lo, s40, v11
	s_delay_alu instid0(VALU_DEP_2) | instskip(NEXT) | instid1(VALU_DEP_1)
	v_dual_cndmask_b32 v11, v11, v21 :: v_dual_cndmask_b32 v2, v2, v12
	v_cmp_le_u32_e32 vcc_lo, s40, v11
	s_delay_alu instid0(VALU_DEP_2) | instskip(NEXT) | instid1(VALU_DEP_1)
	v_add_nc_u32_e32 v12, 1, v2
	v_dual_cndmask_b32 v11, v2, v12 :: v_dual_mov_b32 v12, v1
.LBB35_31:                              ;   in Loop: Header=BB35_3 Depth=1
	s_or_b32 exec_lo, exec_lo, s0
	s_delay_alu instid0(VALU_DEP_1) | instskip(NEXT) | instid1(VALU_DEP_2)
	v_mul_lo_u32 v2, v12, s40
	v_mul_lo_u32 v24, v11, s41
	v_mad_u64_u32 v[21:22], null, v11, s40, 0
	s_mov_b32 s0, exec_lo
	s_delay_alu instid0(VALU_DEP_1) | instskip(SKIP_1) | instid1(VALU_DEP_3)
	v_add3_u32 v2, v22, v24, v2
	v_mul_lo_u32 v22, v12, s12
	v_sub_co_u32 v12, vcc_lo, v19, v21
	v_mul_lo_u32 v21, v11, s13
	s_delay_alu instid0(VALU_DEP_4) | instskip(NEXT) | instid1(VALU_DEP_3)
	v_sub_co_ci_u32_e32 v2, vcc_lo, v20, v2, vcc_lo
	v_add_co_u32 v24, vcc_lo, v3, v12
	v_mad_u64_u32 v[19:20], null, v11, s12, 0
	s_delay_alu instid0(VALU_DEP_3) | instskip(NEXT) | instid1(VALU_DEP_3)
	v_add_co_ci_u32_e32 v2, vcc_lo, v4, v2, vcc_lo
	v_mul_lo_u32 v25, v24, s15
	v_mad_u64_u32 v[11:12], null, v24, s14, 0
	s_delay_alu instid0(VALU_DEP_3) | instskip(SKIP_1) | instid1(VALU_DEP_1)
	v_mul_lo_u32 v2, v2, s14
	v_add3_u32 v20, v20, v21, v22
	v_lshlrev_b64 v[19:20], 3, v[19:20]
	s_delay_alu instid0(VALU_DEP_3) | instskip(NEXT) | instid1(VALU_DEP_2)
	v_add3_u32 v12, v12, v25, v2
	v_add_co_u32 v2, vcc_lo, s34, v19
	s_delay_alu instid0(VALU_DEP_2) | instskip(NEXT) | instid1(VALU_DEP_4)
	v_lshlrev_b64 v[11:12], 3, v[11:12]
	v_add_co_ci_u32_e32 v19, vcc_lo, s35, v20, vcc_lo
	s_delay_alu instid0(VALU_DEP_2) | instskip(NEXT) | instid1(VALU_DEP_2)
	v_add_co_u32 v11, vcc_lo, v2, v11
	v_add_co_ci_u32_e32 v12, vcc_lo, v19, v12, vcc_lo
	v_or_b32_e32 v2, s39, v4
	global_load_b64 v[19:20], v[11:12], off
                                        ; implicit-def: $vgpr11_vgpr12
	v_cmpx_ne_u64_e32 0, v[1:2]
	s_xor_b32 s91, exec_lo, s0
	s_cbranch_execz .LBB35_33
; %bb.32:                               ;   in Loop: Header=BB35_3 Depth=1
	s_ashr_i32 s92, s39, 31
	s_delay_alu instid0(SALU_CYCLE_1) | instskip(SKIP_2) | instid1(SALU_CYCLE_1)
	s_add_u32 s94, s38, s92
	s_mov_b32 s93, s92
	s_addc_u32 s95, s39, s92
	s_xor_b64 s[94:95], s[94:95], s[92:93]
	s_delay_alu instid0(SALU_CYCLE_1) | instskip(SKIP_3) | instid1(VALU_DEP_1)
	v_cvt_f32_u32_e32 v2, s94
	v_cvt_f32_u32_e32 v11, s95
	s_sub_u32 s0, 0, s94
	s_subb_u32 s93, 0, s95
	v_fmac_f32_e32 v2, 0x4f800000, v11
	s_delay_alu instid0(VALU_DEP_1) | instskip(SKIP_2) | instid1(VALU_DEP_1)
	v_rcp_f32_e32 v2, v2
	s_waitcnt_depctr 0xfff
	v_mul_f32_e32 v2, 0x5f7ffffc, v2
	v_mul_f32_e32 v11, 0x2f800000, v2
	s_delay_alu instid0(VALU_DEP_1) | instskip(NEXT) | instid1(VALU_DEP_1)
	v_trunc_f32_e32 v11, v11
	v_fmac_f32_e32 v2, 0xcf800000, v11
	v_cvt_u32_f32_e32 v11, v11
	s_delay_alu instid0(VALU_DEP_2) | instskip(NEXT) | instid1(VALU_DEP_2)
	v_cvt_u32_f32_e32 v2, v2
	v_mul_lo_u32 v12, s0, v11
	s_delay_alu instid0(VALU_DEP_2) | instskip(SKIP_1) | instid1(VALU_DEP_2)
	v_mul_hi_u32 v21, s0, v2
	v_mul_lo_u32 v22, s93, v2
	v_add_nc_u32_e32 v12, v21, v12
	v_mul_lo_u32 v21, s0, v2
	s_delay_alu instid0(VALU_DEP_2) | instskip(NEXT) | instid1(VALU_DEP_2)
	v_add_nc_u32_e32 v12, v12, v22
	v_mul_hi_u32 v22, v2, v21
	s_delay_alu instid0(VALU_DEP_2)
	v_mul_lo_u32 v24, v2, v12
	v_mul_hi_u32 v25, v2, v12
	v_mul_hi_u32 v26, v11, v21
	v_mul_lo_u32 v21, v11, v21
	v_mul_hi_u32 v27, v11, v12
	v_mul_lo_u32 v12, v11, v12
	v_add_co_u32 v22, vcc_lo, v22, v24
	v_add_co_ci_u32_e32 v24, vcc_lo, 0, v25, vcc_lo
	s_delay_alu instid0(VALU_DEP_2) | instskip(NEXT) | instid1(VALU_DEP_2)
	v_add_co_u32 v21, vcc_lo, v22, v21
	v_add_co_ci_u32_e32 v21, vcc_lo, v24, v26, vcc_lo
	v_add_co_ci_u32_e32 v22, vcc_lo, 0, v27, vcc_lo
	s_delay_alu instid0(VALU_DEP_2) | instskip(NEXT) | instid1(VALU_DEP_2)
	v_add_co_u32 v12, vcc_lo, v21, v12
	v_add_co_ci_u32_e32 v21, vcc_lo, 0, v22, vcc_lo
	s_delay_alu instid0(VALU_DEP_2) | instskip(NEXT) | instid1(VALU_DEP_2)
	v_add_co_u32 v2, vcc_lo, v2, v12
	v_add_co_ci_u32_e32 v11, vcc_lo, v11, v21, vcc_lo
	s_delay_alu instid0(VALU_DEP_2) | instskip(SKIP_1) | instid1(VALU_DEP_3)
	v_mul_hi_u32 v12, s0, v2
	v_mul_lo_u32 v22, s93, v2
	v_mul_lo_u32 v21, s0, v11
	s_delay_alu instid0(VALU_DEP_1) | instskip(SKIP_1) | instid1(VALU_DEP_2)
	v_add_nc_u32_e32 v12, v12, v21
	v_mul_lo_u32 v21, s0, v2
	v_add_nc_u32_e32 v12, v12, v22
	s_delay_alu instid0(VALU_DEP_2) | instskip(NEXT) | instid1(VALU_DEP_2)
	v_mul_hi_u32 v22, v2, v21
	v_mul_lo_u32 v24, v2, v12
	v_mul_hi_u32 v25, v2, v12
	v_mul_hi_u32 v26, v11, v21
	v_mul_lo_u32 v21, v11, v21
	v_mul_hi_u32 v27, v11, v12
	v_mul_lo_u32 v12, v11, v12
	v_add_co_u32 v22, vcc_lo, v22, v24
	v_add_co_ci_u32_e32 v24, vcc_lo, 0, v25, vcc_lo
	s_delay_alu instid0(VALU_DEP_2) | instskip(NEXT) | instid1(VALU_DEP_2)
	v_add_co_u32 v21, vcc_lo, v22, v21
	v_add_co_ci_u32_e32 v21, vcc_lo, v24, v26, vcc_lo
	v_add_co_ci_u32_e32 v22, vcc_lo, 0, v27, vcc_lo
	v_add_co_u32 v24, vcc_lo, v3, v23
	v_add_co_ci_u32_e32 v25, vcc_lo, v4, v23, vcc_lo
	s_delay_alu instid0(VALU_DEP_4) | instskip(NEXT) | instid1(VALU_DEP_4)
	v_add_co_u32 v12, vcc_lo, v21, v12
	v_add_co_ci_u32_e32 v21, vcc_lo, 0, v22, vcc_lo
	s_delay_alu instid0(VALU_DEP_4) | instskip(NEXT) | instid1(VALU_DEP_3)
	v_xor_b32_e32 v26, v24, v23
	v_add_co_u32 v2, vcc_lo, v2, v12
	s_delay_alu instid0(VALU_DEP_3) | instskip(SKIP_1) | instid1(VALU_DEP_3)
	v_add_co_ci_u32_e32 v27, vcc_lo, v11, v21, vcc_lo
	v_xor_b32_e32 v28, v25, v23
	v_mul_hi_u32 v29, v26, v2
	s_delay_alu instid0(VALU_DEP_3) | instskip(NEXT) | instid1(VALU_DEP_3)
	v_mad_u64_u32 v[11:12], null, v26, v27, 0
	v_mad_u64_u32 v[21:22], null, v28, v2, 0
	;; [unrolled: 1-line block ×3, first 2 shown]
	s_delay_alu instid0(VALU_DEP_3) | instskip(NEXT) | instid1(VALU_DEP_4)
	v_add_co_u32 v2, vcc_lo, v29, v11
	v_add_co_ci_u32_e32 v11, vcc_lo, 0, v12, vcc_lo
	s_delay_alu instid0(VALU_DEP_2) | instskip(NEXT) | instid1(VALU_DEP_2)
	v_add_co_u32 v2, vcc_lo, v2, v21
	v_add_co_ci_u32_e32 v2, vcc_lo, v11, v22, vcc_lo
	v_add_co_ci_u32_e32 v11, vcc_lo, 0, v25, vcc_lo
	s_delay_alu instid0(VALU_DEP_2) | instskip(NEXT) | instid1(VALU_DEP_2)
	v_add_co_u32 v2, vcc_lo, v2, v24
	v_add_co_ci_u32_e32 v21, vcc_lo, 0, v11, vcc_lo
	s_delay_alu instid0(VALU_DEP_2) | instskip(SKIP_1) | instid1(VALU_DEP_3)
	v_mul_lo_u32 v22, s95, v2
	v_mad_u64_u32 v[11:12], null, s94, v2, 0
	v_mul_lo_u32 v24, s94, v21
	s_delay_alu instid0(VALU_DEP_2) | instskip(NEXT) | instid1(VALU_DEP_2)
	v_sub_co_u32 v11, vcc_lo, v26, v11
	v_add3_u32 v12, v12, v24, v22
	s_delay_alu instid0(VALU_DEP_1) | instskip(NEXT) | instid1(VALU_DEP_1)
	v_sub_nc_u32_e32 v22, v28, v12
	v_subrev_co_ci_u32_e64 v22, s0, s95, v22, vcc_lo
	v_add_co_u32 v24, s0, v2, 2
	s_delay_alu instid0(VALU_DEP_1) | instskip(SKIP_3) | instid1(VALU_DEP_3)
	v_add_co_ci_u32_e64 v25, s0, 0, v21, s0
	v_sub_co_u32 v26, s0, v11, s94
	v_sub_co_ci_u32_e32 v12, vcc_lo, v28, v12, vcc_lo
	v_subrev_co_ci_u32_e64 v22, s0, 0, v22, s0
	v_cmp_le_u32_e32 vcc_lo, s94, v26
	s_delay_alu instid0(VALU_DEP_3) | instskip(SKIP_1) | instid1(VALU_DEP_4)
	v_cmp_eq_u32_e64 s0, s95, v12
	v_cndmask_b32_e64 v26, 0, -1, vcc_lo
	v_cmp_le_u32_e32 vcc_lo, s95, v22
	v_cndmask_b32_e64 v27, 0, -1, vcc_lo
	v_cmp_le_u32_e32 vcc_lo, s94, v11
	v_cndmask_b32_e64 v11, 0, -1, vcc_lo
	v_cmp_le_u32_e32 vcc_lo, s95, v12
	v_cndmask_b32_e64 v28, 0, -1, vcc_lo
	v_cmp_eq_u32_e32 vcc_lo, s95, v22
	s_delay_alu instid0(VALU_DEP_2) | instskip(SKIP_3) | instid1(VALU_DEP_3)
	v_cndmask_b32_e64 v11, v28, v11, s0
	v_cndmask_b32_e32 v22, v27, v26, vcc_lo
	v_add_co_u32 v26, vcc_lo, v2, 1
	v_add_co_ci_u32_e32 v27, vcc_lo, 0, v21, vcc_lo
	v_cmp_ne_u32_e32 vcc_lo, 0, v22
	s_delay_alu instid0(VALU_DEP_2) | instskip(NEXT) | instid1(VALU_DEP_4)
	v_cndmask_b32_e32 v12, v27, v25, vcc_lo
	v_cndmask_b32_e32 v22, v26, v24, vcc_lo
	v_cmp_ne_u32_e32 vcc_lo, 0, v11
	v_xor_b32_e32 v24, s92, v23
	s_delay_alu instid0(VALU_DEP_3) | instskip(NEXT) | instid1(VALU_DEP_1)
	v_dual_cndmask_b32 v2, v2, v22 :: v_dual_cndmask_b32 v11, v21, v12
	v_xor_b32_e32 v2, v2, v24
	s_delay_alu instid0(VALU_DEP_2) | instskip(NEXT) | instid1(VALU_DEP_2)
	v_xor_b32_e32 v12, v11, v24
	v_sub_co_u32 v11, vcc_lo, v2, v24
	s_delay_alu instid0(VALU_DEP_2)
	v_sub_co_ci_u32_e32 v12, vcc_lo, v12, v24, vcc_lo
.LBB35_33:                              ;   in Loop: Header=BB35_3 Depth=1
	s_and_not1_saveexec_b32 s0, s91
	s_cbranch_execz .LBB35_35
; %bb.34:                               ;   in Loop: Header=BB35_3 Depth=1
	v_cvt_f32_u32_e32 v2, s38
	s_sub_i32 s91, 0, s38
	s_delay_alu instid0(VALU_DEP_1) | instskip(SKIP_2) | instid1(VALU_DEP_1)
	v_rcp_iflag_f32_e32 v2, v2
	s_waitcnt_depctr 0xfff
	v_mul_f32_e32 v2, 0x4f7ffffe, v2
	v_cvt_u32_f32_e32 v2, v2
	s_delay_alu instid0(VALU_DEP_1) | instskip(NEXT) | instid1(VALU_DEP_1)
	v_mul_lo_u32 v11, s91, v2
	v_mul_hi_u32 v11, v2, v11
	s_delay_alu instid0(VALU_DEP_1) | instskip(NEXT) | instid1(VALU_DEP_1)
	v_add_nc_u32_e32 v2, v2, v11
	v_mul_hi_u32 v2, v3, v2
	s_delay_alu instid0(VALU_DEP_1) | instskip(SKIP_1) | instid1(VALU_DEP_2)
	v_mul_lo_u32 v11, v2, s38
	v_add_nc_u32_e32 v12, 1, v2
	v_sub_nc_u32_e32 v11, v3, v11
	s_delay_alu instid0(VALU_DEP_1) | instskip(SKIP_1) | instid1(VALU_DEP_2)
	v_subrev_nc_u32_e32 v21, s38, v11
	v_cmp_le_u32_e32 vcc_lo, s38, v11
	v_dual_cndmask_b32 v11, v11, v21 :: v_dual_cndmask_b32 v2, v2, v12
	s_delay_alu instid0(VALU_DEP_1) | instskip(NEXT) | instid1(VALU_DEP_2)
	v_cmp_le_u32_e32 vcc_lo, s38, v11
	v_add_nc_u32_e32 v12, 1, v2
	s_delay_alu instid0(VALU_DEP_1)
	v_dual_cndmask_b32 v11, v2, v12 :: v_dual_mov_b32 v12, v1
.LBB35_35:                              ;   in Loop: Header=BB35_3 Depth=1
	s_or_b32 exec_lo, exec_lo, s0
	s_delay_alu instid0(VALU_DEP_1) | instskip(NEXT) | instid1(VALU_DEP_2)
	v_mad_u64_u32 v[21:22], null, s100, v11, v[3:4]
	v_mul_lo_u32 v2, s100, v12
	v_mul_lo_u32 v24, s101, v11
	;; [unrolled: 1-line block ×4, first 2 shown]
	s_mov_b32 s0, exec_lo
	s_delay_alu instid0(VALU_DEP_3) | instskip(SKIP_3) | instid1(VALU_DEP_4)
	v_add3_u32 v2, v24, v22, v2
	v_mad_u64_u32 v[24:25], null, v11, s16, 0
	v_mul_lo_u32 v22, v21, s19
	v_mad_u64_u32 v[11:12], null, v21, s18, 0
	v_mul_lo_u32 v2, v2, s18
	s_delay_alu instid0(VALU_DEP_4) | instskip(NEXT) | instid1(VALU_DEP_2)
	v_add3_u32 v25, v25, v27, v26
	v_add3_u32 v12, v12, v22, v2
	s_delay_alu instid0(VALU_DEP_2) | instskip(NEXT) | instid1(VALU_DEP_2)
	v_lshlrev_b64 v[21:22], 3, v[24:25]
	v_lshlrev_b64 v[11:12], 3, v[11:12]
	s_delay_alu instid0(VALU_DEP_2) | instskip(NEXT) | instid1(VALU_DEP_3)
	v_add_co_u32 v2, vcc_lo, s36, v21
	v_add_co_ci_u32_e32 v21, vcc_lo, s37, v22, vcc_lo
	s_delay_alu instid0(VALU_DEP_2) | instskip(NEXT) | instid1(VALU_DEP_2)
	v_add_co_u32 v11, vcc_lo, v2, v11
	v_add_co_ci_u32_e32 v12, vcc_lo, v21, v12, vcc_lo
	v_or_b32_e32 v2, s43, v4
                                        ; implicit-def: $vgpr21_vgpr22
	global_load_b64 v[11:12], v[11:12], off
	v_cmpx_ne_u64_e32 0, v[1:2]
	s_xor_b32 s91, exec_lo, s0
	s_cbranch_execz .LBB35_37
; %bb.36:                               ;   in Loop: Header=BB35_3 Depth=1
	s_ashr_i32 s92, s43, 31
	s_delay_alu instid0(SALU_CYCLE_1) | instskip(SKIP_2) | instid1(SALU_CYCLE_1)
	s_add_u32 s94, s42, s92
	s_mov_b32 s93, s92
	s_addc_u32 s95, s43, s92
	s_xor_b64 s[94:95], s[94:95], s[92:93]
	s_delay_alu instid0(SALU_CYCLE_1) | instskip(SKIP_3) | instid1(VALU_DEP_1)
	v_cvt_f32_u32_e32 v2, s94
	v_cvt_f32_u32_e32 v21, s95
	s_sub_u32 s0, 0, s94
	s_subb_u32 s93, 0, s95
	v_fmac_f32_e32 v2, 0x4f800000, v21
	s_delay_alu instid0(VALU_DEP_1) | instskip(SKIP_2) | instid1(VALU_DEP_1)
	v_rcp_f32_e32 v2, v2
	s_waitcnt_depctr 0xfff
	v_mul_f32_e32 v2, 0x5f7ffffc, v2
	v_mul_f32_e32 v21, 0x2f800000, v2
	s_delay_alu instid0(VALU_DEP_1) | instskip(NEXT) | instid1(VALU_DEP_1)
	v_trunc_f32_e32 v21, v21
	v_fmac_f32_e32 v2, 0xcf800000, v21
	v_cvt_u32_f32_e32 v21, v21
	s_delay_alu instid0(VALU_DEP_2) | instskip(NEXT) | instid1(VALU_DEP_2)
	v_cvt_u32_f32_e32 v2, v2
	v_mul_lo_u32 v22, s0, v21
	s_delay_alu instid0(VALU_DEP_2) | instskip(SKIP_1) | instid1(VALU_DEP_2)
	v_mul_hi_u32 v24, s0, v2
	v_mul_lo_u32 v25, s93, v2
	v_add_nc_u32_e32 v22, v24, v22
	v_mul_lo_u32 v24, s0, v2
	s_delay_alu instid0(VALU_DEP_2) | instskip(NEXT) | instid1(VALU_DEP_2)
	v_add_nc_u32_e32 v22, v22, v25
	v_mul_hi_u32 v25, v2, v24
	s_delay_alu instid0(VALU_DEP_2)
	v_mul_lo_u32 v26, v2, v22
	v_mul_hi_u32 v27, v2, v22
	v_mul_hi_u32 v28, v21, v24
	v_mul_lo_u32 v24, v21, v24
	v_mul_hi_u32 v29, v21, v22
	v_mul_lo_u32 v22, v21, v22
	v_add_co_u32 v25, vcc_lo, v25, v26
	v_add_co_ci_u32_e32 v26, vcc_lo, 0, v27, vcc_lo
	s_delay_alu instid0(VALU_DEP_2) | instskip(NEXT) | instid1(VALU_DEP_2)
	v_add_co_u32 v24, vcc_lo, v25, v24
	v_add_co_ci_u32_e32 v24, vcc_lo, v26, v28, vcc_lo
	v_add_co_ci_u32_e32 v25, vcc_lo, 0, v29, vcc_lo
	s_delay_alu instid0(VALU_DEP_2) | instskip(NEXT) | instid1(VALU_DEP_2)
	v_add_co_u32 v22, vcc_lo, v24, v22
	v_add_co_ci_u32_e32 v24, vcc_lo, 0, v25, vcc_lo
	s_delay_alu instid0(VALU_DEP_2) | instskip(NEXT) | instid1(VALU_DEP_2)
	v_add_co_u32 v2, vcc_lo, v2, v22
	v_add_co_ci_u32_e32 v21, vcc_lo, v21, v24, vcc_lo
	s_delay_alu instid0(VALU_DEP_2) | instskip(SKIP_1) | instid1(VALU_DEP_3)
	v_mul_hi_u32 v22, s0, v2
	v_mul_lo_u32 v25, s93, v2
	v_mul_lo_u32 v24, s0, v21
	s_delay_alu instid0(VALU_DEP_1) | instskip(SKIP_1) | instid1(VALU_DEP_2)
	v_add_nc_u32_e32 v22, v22, v24
	v_mul_lo_u32 v24, s0, v2
	v_add_nc_u32_e32 v22, v22, v25
	s_delay_alu instid0(VALU_DEP_2) | instskip(NEXT) | instid1(VALU_DEP_2)
	v_mul_hi_u32 v25, v2, v24
	v_mul_lo_u32 v26, v2, v22
	v_mul_hi_u32 v27, v2, v22
	v_mul_hi_u32 v28, v21, v24
	v_mul_lo_u32 v24, v21, v24
	v_mul_hi_u32 v29, v21, v22
	v_mul_lo_u32 v22, v21, v22
	v_add_co_u32 v25, vcc_lo, v25, v26
	v_add_co_ci_u32_e32 v26, vcc_lo, 0, v27, vcc_lo
	s_delay_alu instid0(VALU_DEP_2) | instskip(NEXT) | instid1(VALU_DEP_2)
	v_add_co_u32 v24, vcc_lo, v25, v24
	v_add_co_ci_u32_e32 v24, vcc_lo, v26, v28, vcc_lo
	v_add_co_ci_u32_e32 v25, vcc_lo, 0, v29, vcc_lo
	v_add_co_u32 v26, vcc_lo, v3, v23
	v_add_co_ci_u32_e32 v27, vcc_lo, v4, v23, vcc_lo
	s_delay_alu instid0(VALU_DEP_4) | instskip(NEXT) | instid1(VALU_DEP_4)
	v_add_co_u32 v22, vcc_lo, v24, v22
	v_add_co_ci_u32_e32 v24, vcc_lo, 0, v25, vcc_lo
	s_delay_alu instid0(VALU_DEP_4) | instskip(NEXT) | instid1(VALU_DEP_3)
	v_xor_b32_e32 v28, v26, v23
	v_add_co_u32 v2, vcc_lo, v2, v22
	s_delay_alu instid0(VALU_DEP_3) | instskip(SKIP_1) | instid1(VALU_DEP_3)
	v_add_co_ci_u32_e32 v29, vcc_lo, v21, v24, vcc_lo
	v_xor_b32_e32 v30, v27, v23
	v_mul_hi_u32 v31, v28, v2
	v_xor_b32_e32 v23, s92, v23
	s_delay_alu instid0(VALU_DEP_4) | instskip(NEXT) | instid1(VALU_DEP_4)
	v_mad_u64_u32 v[21:22], null, v28, v29, 0
	v_mad_u64_u32 v[24:25], null, v30, v2, 0
	;; [unrolled: 1-line block ×3, first 2 shown]
	s_delay_alu instid0(VALU_DEP_3) | instskip(NEXT) | instid1(VALU_DEP_4)
	v_add_co_u32 v2, vcc_lo, v31, v21
	v_add_co_ci_u32_e32 v21, vcc_lo, 0, v22, vcc_lo
	s_delay_alu instid0(VALU_DEP_2) | instskip(NEXT) | instid1(VALU_DEP_2)
	v_add_co_u32 v2, vcc_lo, v2, v24
	v_add_co_ci_u32_e32 v2, vcc_lo, v21, v25, vcc_lo
	v_add_co_ci_u32_e32 v21, vcc_lo, 0, v27, vcc_lo
	s_delay_alu instid0(VALU_DEP_2) | instskip(NEXT) | instid1(VALU_DEP_2)
	v_add_co_u32 v2, vcc_lo, v2, v26
	v_add_co_ci_u32_e32 v24, vcc_lo, 0, v21, vcc_lo
	s_delay_alu instid0(VALU_DEP_2) | instskip(SKIP_1) | instid1(VALU_DEP_3)
	v_mul_lo_u32 v25, s95, v2
	v_mad_u64_u32 v[21:22], null, s94, v2, 0
	v_mul_lo_u32 v26, s94, v24
	s_delay_alu instid0(VALU_DEP_2) | instskip(NEXT) | instid1(VALU_DEP_2)
	v_sub_co_u32 v21, vcc_lo, v28, v21
	v_add3_u32 v22, v22, v26, v25
	s_delay_alu instid0(VALU_DEP_1) | instskip(NEXT) | instid1(VALU_DEP_1)
	v_sub_nc_u32_e32 v25, v30, v22
	v_subrev_co_ci_u32_e64 v25, s0, s95, v25, vcc_lo
	v_add_co_u32 v26, s0, v2, 2
	s_delay_alu instid0(VALU_DEP_1) | instskip(SKIP_3) | instid1(VALU_DEP_3)
	v_add_co_ci_u32_e64 v27, s0, 0, v24, s0
	v_sub_co_u32 v28, s0, v21, s94
	v_sub_co_ci_u32_e32 v22, vcc_lo, v30, v22, vcc_lo
	v_subrev_co_ci_u32_e64 v25, s0, 0, v25, s0
	v_cmp_le_u32_e32 vcc_lo, s94, v28
	s_delay_alu instid0(VALU_DEP_3) | instskip(SKIP_1) | instid1(VALU_DEP_4)
	v_cmp_eq_u32_e64 s0, s95, v22
	v_cndmask_b32_e64 v28, 0, -1, vcc_lo
	v_cmp_le_u32_e32 vcc_lo, s95, v25
	v_cndmask_b32_e64 v29, 0, -1, vcc_lo
	v_cmp_le_u32_e32 vcc_lo, s94, v21
	;; [unrolled: 2-line block ×3, first 2 shown]
	v_cndmask_b32_e64 v30, 0, -1, vcc_lo
	v_cmp_eq_u32_e32 vcc_lo, s95, v25
	s_delay_alu instid0(VALU_DEP_2) | instskip(SKIP_3) | instid1(VALU_DEP_3)
	v_cndmask_b32_e64 v21, v30, v21, s0
	v_cndmask_b32_e32 v25, v29, v28, vcc_lo
	v_add_co_u32 v28, vcc_lo, v2, 1
	v_add_co_ci_u32_e32 v29, vcc_lo, 0, v24, vcc_lo
	v_cmp_ne_u32_e32 vcc_lo, 0, v25
	s_delay_alu instid0(VALU_DEP_2) | instskip(SKIP_1) | instid1(VALU_DEP_2)
	v_dual_cndmask_b32 v25, v28, v26 :: v_dual_cndmask_b32 v22, v29, v27
	v_cmp_ne_u32_e32 vcc_lo, 0, v21
	v_dual_cndmask_b32 v21, v24, v22 :: v_dual_cndmask_b32 v2, v2, v25
	s_delay_alu instid0(VALU_DEP_1) | instskip(NEXT) | instid1(VALU_DEP_2)
	v_xor_b32_e32 v22, v21, v23
	v_xor_b32_e32 v2, v2, v23
	s_delay_alu instid0(VALU_DEP_1) | instskip(NEXT) | instid1(VALU_DEP_3)
	v_sub_co_u32 v21, vcc_lo, v2, v23
	v_sub_co_ci_u32_e32 v22, vcc_lo, v22, v23, vcc_lo
.LBB35_37:                              ;   in Loop: Header=BB35_3 Depth=1
	s_and_not1_saveexec_b32 s0, s91
	s_cbranch_execz .LBB35_39
; %bb.38:                               ;   in Loop: Header=BB35_3 Depth=1
	v_cvt_f32_u32_e32 v2, s42
	s_sub_i32 s91, 0, s42
	s_delay_alu instid0(VALU_DEP_1) | instskip(SKIP_2) | instid1(VALU_DEP_1)
	v_rcp_iflag_f32_e32 v2, v2
	s_waitcnt_depctr 0xfff
	v_mul_f32_e32 v2, 0x4f7ffffe, v2
	v_cvt_u32_f32_e32 v2, v2
	s_delay_alu instid0(VALU_DEP_1) | instskip(NEXT) | instid1(VALU_DEP_1)
	v_mul_lo_u32 v21, s91, v2
	v_mul_hi_u32 v21, v2, v21
	s_delay_alu instid0(VALU_DEP_1) | instskip(NEXT) | instid1(VALU_DEP_1)
	v_add_nc_u32_e32 v2, v2, v21
	v_mul_hi_u32 v2, v3, v2
	s_delay_alu instid0(VALU_DEP_1) | instskip(SKIP_1) | instid1(VALU_DEP_2)
	v_mul_lo_u32 v21, v2, s42
	v_add_nc_u32_e32 v22, 1, v2
	v_sub_nc_u32_e32 v21, v3, v21
	s_delay_alu instid0(VALU_DEP_1) | instskip(SKIP_1) | instid1(VALU_DEP_2)
	v_subrev_nc_u32_e32 v23, s42, v21
	v_cmp_le_u32_e32 vcc_lo, s42, v21
	v_dual_cndmask_b32 v21, v21, v23 :: v_dual_cndmask_b32 v2, v2, v22
	s_delay_alu instid0(VALU_DEP_1) | instskip(NEXT) | instid1(VALU_DEP_2)
	v_cmp_le_u32_e32 vcc_lo, s42, v21
	v_add_nc_u32_e32 v22, 1, v2
	s_delay_alu instid0(VALU_DEP_1)
	v_dual_cndmask_b32 v21, v2, v22 :: v_dual_mov_b32 v22, v1
.LBB35_39:                              ;   in Loop: Header=BB35_3 Depth=1
	s_or_b32 exec_lo, exec_lo, s0
	v_mov_b32_e32 v23, 0
	v_mov_b32_e32 v24, 0
	s_and_not1_b32 vcc_lo, exec_lo, s96
	s_delay_alu instid0(VALU_DEP_1)
	v_dual_mov_b32 v28, v24 :: v_dual_mov_b32 v27, v23
	v_dual_mov_b32 v32, v24 :: v_dual_mov_b32 v31, v23
	;; [unrolled: 1-line block ×5, first 2 shown]
	s_cbranch_vccnz .LBB35_41
; %bb.40:                               ;   in Loop: Header=BB35_3 Depth=1
	v_mad_u64_u32 v[23:24], null, s98, v5, v[3:4]
	v_mul_lo_u32 v2, s98, v6
	v_mul_lo_u32 v25, s99, v5
	v_sub_co_u32 v28, vcc_lo, 1, v5
	v_sub_co_ci_u32_e32 v26, vcc_lo, 0, v6, vcc_lo
	v_mul_lo_u32 v29, v23, s45
	s_delay_alu instid0(VALU_DEP_3)
	v_mul_lo_u32 v31, s5, v28
	v_mul_lo_u32 v38, v23, s49
	v_add3_u32 v2, v25, v24, v2
	v_mul_lo_u32 v30, s4, v26
	v_mad_u64_u32 v[26:27], null, s4, v28, v[3:4]
	v_mad_u64_u32 v[24:25], null, v23, s44, 0
	s_delay_alu instid0(VALU_DEP_4) | instskip(SKIP_1) | instid1(VALU_DEP_4)
	v_mul_lo_u32 v28, v2, s44
	v_mul_lo_u32 v2, v2, s48
	v_add3_u32 v34, v31, v27, v30
	v_sub_co_u32 v31, vcc_lo, 2, v5
	v_mul_lo_u32 v33, v26, s45
	v_add3_u32 v25, v25, v29, v28
	v_sub_co_ci_u32_e32 v29, vcc_lo, 0, v6, vcc_lo
	s_delay_alu instid0(VALU_DEP_4) | instskip(SKIP_2) | instid1(VALU_DEP_4)
	v_mul_lo_u32 v36, s5, v31
	v_mul_lo_u32 v32, v34, s44
	v_mad_u64_u32 v[27:28], null, v26, s44, 0
	v_mul_lo_u32 v35, s4, v29
	v_mad_u64_u32 v[29:30], null, s4, v31, v[3:4]
	v_mul_lo_u32 v39, v26, s49
	v_lshlrev_b64 v[24:25], 3, v[24:25]
	v_add3_u32 v28, v28, v33, v32
	v_mad_u64_u32 v[32:33], null, v23, s48, 0
	v_add3_u32 v36, v36, v30, v35
	v_mul_lo_u32 v37, v29, s45
	v_mad_u64_u32 v[30:31], null, v29, s44, 0
	v_mul_lo_u32 v23, v34, s48
	s_delay_alu instid0(VALU_DEP_4)
	v_mul_lo_u32 v35, v36, s44
	v_add3_u32 v33, v33, v38, v2
	v_mul_lo_u32 v2, v36, s48
	v_lshlrev_b64 v[27:28], 3, v[27:28]
	v_add_co_u32 v24, vcc_lo, s2, v24
	v_add_co_ci_u32_e32 v25, vcc_lo, s3, v25, vcc_lo
	v_add3_u32 v31, v31, v37, v35
	v_mad_u64_u32 v[34:35], null, v26, s48, 0
	v_mul_lo_u32 v26, v29, s49
	v_mad_u64_u32 v[36:37], null, v29, s48, 0
	s_delay_alu instid0(VALU_DEP_4)
	v_lshlrev_b64 v[30:31], 3, v[30:31]
	v_add_co_u32 v27, vcc_lo, s2, v27
	v_add3_u32 v35, v35, v39, v23
	v_lshlrev_b64 v[32:33], 3, v[32:33]
	v_add_co_ci_u32_e32 v28, vcc_lo, s3, v28, vcc_lo
	v_add3_u32 v37, v37, v26, v2
	v_add_co_u32 v29, vcc_lo, s2, v30
	v_lshlrev_b64 v[34:35], 3, v[34:35]
	v_add_co_ci_u32_e32 v30, vcc_lo, s3, v31, vcc_lo
	v_add_co_u32 v31, vcc_lo, s46, v32
	v_lshlrev_b64 v[36:37], 3, v[36:37]
	v_add_co_ci_u32_e32 v32, vcc_lo, s47, v33, vcc_lo
	v_add_co_u32 v38, vcc_lo, s46, v34
	v_add_co_ci_u32_e32 v39, vcc_lo, s47, v35, vcc_lo
	s_delay_alu instid0(VALU_DEP_4)
	v_add_co_u32 v35, vcc_lo, s46, v36
	v_add_co_ci_u32_e32 v36, vcc_lo, s47, v37, vcc_lo
	s_clause 0x2
	global_load_b64 v[33:34], v[24:25], off
	global_load_b64 v[23:24], v[27:28], off
	global_load_b64 v[27:28], v[29:30], off
	s_clause 0x2
	global_load_b64 v[31:32], v[31:32], off
	global_load_b64 v[25:26], v[38:39], off
	;; [unrolled: 1-line block ×3, first 2 shown]
.LBB35_41:                              ;   in Loop: Header=BB35_3 Depth=1
	s_waitcnt vmcnt(3)
	v_add_f64 v[7:8], v[7:8], v[15:16]
	v_add_f64 v[13:14], v[13:14], v[27:28]
	s_mov_b32 s91, s63
	s_waitcnt vmcnt(2)
	v_add_f64 v[9:10], v[9:10], v[17:18]
	s_delay_alu instid0(VALU_DEP_3) | instskip(NEXT) | instid1(VALU_DEP_2)
	v_add_f64 v[7:8], v[7:8], v[33:34]
	v_add_f64 v[9:10], v[9:10], v[23:24]
	s_delay_alu instid0(VALU_DEP_2) | instskip(SKIP_1) | instid1(VALU_DEP_2)
	v_add_f64 v[7:8], v[31:32], v[7:8]
	s_waitcnt vmcnt(1)
	v_add_f64 v[25:26], v[9:10], v[25:26]
	s_delay_alu instid0(VALU_DEP_2) | instskip(SKIP_1) | instid1(VALU_DEP_2)
	v_mul_f64 v[15:16], v[7:8], s[60:61]
	v_cmp_nlt_f64_e64 s0, 0x4090cc00, v[7:8]
	v_rndne_f64_e32 v[15:16], v[15:16]
	s_delay_alu instid0(VALU_DEP_1) | instskip(SKIP_1) | instid1(VALU_DEP_2)
	v_fma_f64 v[31:32], v[15:16], s[62:63], -v[7:8]
	v_cvt_i32_f64_e32 v2, v[15:16]
	v_fma_f64 v[31:32], v[15:16], s[64:65], v[31:32]
	s_delay_alu instid0(VALU_DEP_1) | instskip(NEXT) | instid1(VALU_DEP_1)
	v_fma_f64 v[33:34], v[31:32], s[68:69], s[66:67]
	v_fma_f64 v[33:34], v[31:32], v[33:34], s[70:71]
	s_delay_alu instid0(VALU_DEP_1) | instskip(NEXT) | instid1(VALU_DEP_1)
	v_fma_f64 v[33:34], v[31:32], v[33:34], s[72:73]
	;; [unrolled: 3-line block ×5, first 2 shown]
	v_fma_f64 v[33:34], v[31:32], v[33:34], 1.0
	s_delay_alu instid0(VALU_DEP_1) | instskip(NEXT) | instid1(VALU_DEP_1)
	v_fma_f64 v[15:16], v[31:32], v[33:34], 1.0
	v_ldexp_f64 v[15:16], v[15:16], v2
	s_delay_alu instid0(VALU_DEP_1) | instskip(NEXT) | instid1(VALU_DEP_1)
	v_add_f64 v[15:16], v[15:16], 1.0
	v_div_scale_f64 v[31:32], null, v[15:16], v[15:16], 1.0
	v_div_scale_f64 v[37:38], vcc_lo, 1.0, v[15:16], 1.0
	s_delay_alu instid0(VALU_DEP_2) | instskip(SKIP_2) | instid1(VALU_DEP_1)
	v_rcp_f64_e32 v[33:34], v[31:32]
	s_waitcnt_depctr 0xfff
	v_fma_f64 v[35:36], -v[31:32], v[33:34], 1.0
	v_fma_f64 v[33:34], v[33:34], v[35:36], v[33:34]
	s_delay_alu instid0(VALU_DEP_1) | instskip(NEXT) | instid1(VALU_DEP_1)
	v_fma_f64 v[35:36], -v[31:32], v[33:34], 1.0
	v_fma_f64 v[33:34], v[33:34], v[35:36], v[33:34]
	s_delay_alu instid0(VALU_DEP_1) | instskip(NEXT) | instid1(VALU_DEP_1)
	v_mul_f64 v[35:36], v[37:38], v[33:34]
	v_fma_f64 v[31:32], -v[31:32], v[35:36], v[37:38]
	s_delay_alu instid0(VALU_DEP_1) | instskip(SKIP_3) | instid1(VALU_DEP_3)
	v_div_fmas_f64 v[31:32], v[31:32], v[33:34], v[35:36]
	v_cmp_ngt_f64_e32 vcc_lo, 0xc0900000, v[7:8]
	s_waitcnt vmcnt(0)
	v_add_f64 v[7:8], v[19:20], v[29:30]
	v_div_fixup_f64 v[15:16], v[31:32], v[15:16], 1.0
	s_delay_alu instid0(VALU_DEP_1) | instskip(SKIP_1) | instid1(VALU_DEP_2)
	v_cndmask_b32_e32 v2, 0, v16, vcc_lo
	s_and_b32 vcc_lo, s0, vcc_lo
	v_cndmask_b32_e32 v19, 0, v15, vcc_lo
	s_delay_alu instid0(VALU_DEP_2) | instskip(SKIP_1) | instid1(VALU_DEP_1)
	v_cndmask_b32_e64 v20, 0x3ff00000, v2, s0
	s_mov_b32 s0, s60
	v_fma_f64 v[13:14], v[7:8], v[19:20], v[13:14]
	s_delay_alu instid0(VALU_DEP_1) | instskip(SKIP_1) | instid1(VALU_DEP_2)
	v_mul_f64 v[15:16], |v[13:14]|, s[0:1]
	v_cmp_nlt_f64_e64 s0, 0x40331000, |v[13:14]|
	v_rndne_f64_e32 v[15:16], v[15:16]
	s_delay_alu instid0(VALU_DEP_1) | instskip(SKIP_2) | instid1(VALU_DEP_3)
	v_fma_f64 v[27:28], v[15:16], s[90:91], |v[13:14]|
	v_mul_f64 v[29:30], v[15:16], s[86:87]
	v_cvt_i32_f64_e32 v2, v[15:16]
	v_add_f64 v[31:32], v[27:28], 0
	s_delay_alu instid0(VALU_DEP_1) | instskip(SKIP_1) | instid1(VALU_DEP_2)
	v_add_f64 v[33:34], v[31:32], v[29:30]
	v_add_f64 v[27:28], v[27:28], -v[31:32]
	v_add_f64 v[31:32], v[31:32], -v[33:34]
	s_delay_alu instid0(VALU_DEP_2) | instskip(NEXT) | instid1(VALU_DEP_2)
	v_add_f64 v[27:28], v[27:28], 0
	v_add_f64 v[29:30], v[31:32], v[29:30]
	s_delay_alu instid0(VALU_DEP_1) | instskip(SKIP_1) | instid1(VALU_DEP_2)
	v_add_f64 v[27:28], v[27:28], v[29:30]
	v_mul_f64 v[29:30], v[15:16], s[88:89]
	v_add_f64 v[31:32], v[33:34], v[27:28]
	s_delay_alu instid0(VALU_DEP_1) | instskip(SKIP_1) | instid1(VALU_DEP_2)
	v_add_f64 v[35:36], v[31:32], v[29:30]
	v_add_f64 v[33:34], v[33:34], -v[31:32]
	v_add_f64 v[31:32], v[31:32], -v[35:36]
	s_delay_alu instid0(VALU_DEP_2) | instskip(NEXT) | instid1(VALU_DEP_2)
	v_add_f64 v[27:28], v[27:28], v[33:34]
	v_add_f64 v[29:30], v[31:32], v[29:30]
	s_delay_alu instid0(VALU_DEP_1) | instskip(NEXT) | instid1(VALU_DEP_1)
	v_add_f64 v[27:28], v[27:28], v[29:30]
	v_add_f64 v[29:30], v[35:36], v[27:28]
	s_delay_alu instid0(VALU_DEP_1) | instskip(SKIP_2) | instid1(VALU_DEP_3)
	v_fma_f64 v[31:32], v[29:30], s[68:69], s[66:67]
	v_add_f64 v[33:34], v[35:36], -v[29:30]
	v_mul_f64 v[35:36], v[29:30], v[29:30]
	v_fma_f64 v[31:32], v[29:30], v[31:32], s[70:71]
	s_delay_alu instid0(VALU_DEP_3) | instskip(NEXT) | instid1(VALU_DEP_3)
	v_add_f64 v[27:28], v[27:28], v[33:34]
	v_fma_f64 v[33:34], v[29:30], v[29:30], -v[35:36]
	s_delay_alu instid0(VALU_DEP_3) | instskip(NEXT) | instid1(VALU_DEP_3)
	v_fma_f64 v[31:32], v[29:30], v[31:32], s[72:73]
	v_add_f64 v[37:38], v[27:28], v[27:28]
	s_delay_alu instid0(VALU_DEP_2) | instskip(NEXT) | instid1(VALU_DEP_2)
	v_fma_f64 v[31:32], v[29:30], v[31:32], s[74:75]
	v_fma_f64 v[33:34], v[29:30], v[37:38], v[33:34]
	s_delay_alu instid0(VALU_DEP_2) | instskip(NEXT) | instid1(VALU_DEP_2)
	v_fma_f64 v[31:32], v[29:30], v[31:32], s[76:77]
	v_add_f64 v[37:38], v[35:36], v[33:34]
	s_delay_alu instid0(VALU_DEP_2) | instskip(NEXT) | instid1(VALU_DEP_2)
	v_fma_f64 v[31:32], v[29:30], v[31:32], s[78:79]
	v_add_f64 v[35:36], v[37:38], -v[35:36]
	s_delay_alu instid0(VALU_DEP_2) | instskip(NEXT) | instid1(VALU_DEP_2)
	v_fma_f64 v[31:32], v[29:30], v[31:32], s[80:81]
	v_add_f64 v[33:34], v[33:34], -v[35:36]
	s_delay_alu instid0(VALU_DEP_2) | instskip(NEXT) | instid1(VALU_DEP_1)
	v_fma_f64 v[31:32], v[29:30], v[31:32], s[82:83]
	v_fma_f64 v[31:32], v[29:30], v[31:32], s[84:85]
	s_delay_alu instid0(VALU_DEP_1) | instskip(NEXT) | instid1(VALU_DEP_1)
	v_mul_f64 v[39:40], v[37:38], v[31:32]
	v_fma_f64 v[35:36], v[37:38], v[31:32], -v[39:40]
	s_delay_alu instid0(VALU_DEP_1) | instskip(NEXT) | instid1(VALU_DEP_1)
	v_fma_f64 v[31:32], v[33:34], v[31:32], v[35:36]
	v_add_f64 v[33:34], v[39:40], v[31:32]
	s_delay_alu instid0(VALU_DEP_1) | instskip(SKIP_1) | instid1(VALU_DEP_2)
	v_add_f64 v[35:36], v[29:30], v[33:34]
	v_add_f64 v[37:38], v[33:34], -v[39:40]
	v_add_f64 v[29:30], v[35:36], -v[29:30]
	s_delay_alu instid0(VALU_DEP_2) | instskip(NEXT) | instid1(VALU_DEP_2)
	v_add_f64 v[31:32], v[31:32], -v[37:38]
	v_add_f64 v[29:30], v[33:34], -v[29:30]
	s_delay_alu instid0(VALU_DEP_2) | instskip(NEXT) | instid1(VALU_DEP_1)
	v_add_f64 v[27:28], v[27:28], v[31:32]
	v_add_f64 v[27:28], v[27:28], v[29:30]
	s_delay_alu instid0(VALU_DEP_1) | instskip(NEXT) | instid1(VALU_DEP_1)
	v_add_f64 v[29:30], v[35:36], v[27:28]
	v_add_f64 v[31:32], v[29:30], 1.0
	v_add_f64 v[33:34], v[29:30], -v[35:36]
	s_delay_alu instid0(VALU_DEP_2) | instskip(NEXT) | instid1(VALU_DEP_2)
	v_add_f64 v[35:36], v[31:32], -1.0
	v_add_f64 v[27:28], v[27:28], -v[33:34]
	s_delay_alu instid0(VALU_DEP_2) | instskip(NEXT) | instid1(VALU_DEP_1)
	v_add_f64 v[29:30], v[29:30], -v[35:36]
	v_add_f64 v[27:28], v[27:28], v[29:30]
	s_delay_alu instid0(VALU_DEP_1) | instskip(NEXT) | instid1(VALU_DEP_1)
	v_add_f64 v[15:16], v[31:32], v[27:28]
	v_ldexp_f64 v[29:30], v[15:16], v2
	v_add_f64 v[15:16], v[15:16], -v[31:32]
	s_delay_alu instid0(VALU_DEP_2) | instskip(NEXT) | instid1(VALU_DEP_1)
	v_rcp_f64_e32 v[33:34], v[29:30]
	v_add_f64 v[15:16], v[27:28], -v[15:16]
	s_delay_alu instid0(VALU_DEP_1) | instskip(SKIP_2) | instid1(VALU_DEP_1)
	v_ldexp_f64 v[15:16], v[15:16], v2
	s_waitcnt_depctr 0xfff
	v_fma_f64 v[35:36], -v[29:30], v[33:34], 1.0
	v_fma_f64 v[33:34], v[35:36], v[33:34], v[33:34]
	s_delay_alu instid0(VALU_DEP_1) | instskip(NEXT) | instid1(VALU_DEP_1)
	v_fma_f64 v[35:36], -v[29:30], v[33:34], 1.0
	v_fma_f64 v[31:32], v[35:36], v[33:34], v[33:34]
	s_delay_alu instid0(VALU_DEP_1) | instskip(NEXT) | instid1(VALU_DEP_1)
	v_mul_f64 v[27:28], v[29:30], v[31:32]
	v_fma_f64 v[33:34], v[31:32], v[29:30], -v[27:28]
	s_delay_alu instid0(VALU_DEP_1) | instskip(NEXT) | instid1(VALU_DEP_1)
	v_fma_f64 v[33:34], v[31:32], v[15:16], v[33:34]
	v_add_f64 v[35:36], v[27:28], v[33:34]
	s_delay_alu instid0(VALU_DEP_1) | instskip(SKIP_1) | instid1(VALU_DEP_2)
	v_add_f64 v[37:38], -v[35:36], 1.0
	v_add_f64 v[27:28], v[35:36], -v[27:28]
	v_add_f64 v[39:40], -v[37:38], 1.0
	s_delay_alu instid0(VALU_DEP_2) | instskip(NEXT) | instid1(VALU_DEP_2)
	v_add_f64 v[27:28], v[27:28], -v[33:34]
	v_add_f64 v[33:34], v[39:40], -v[35:36]
	s_delay_alu instid0(VALU_DEP_1) | instskip(NEXT) | instid1(VALU_DEP_1)
	v_add_f64 v[27:28], v[27:28], v[33:34]
	v_add_f64 v[33:34], v[37:38], v[27:28]
	s_delay_alu instid0(VALU_DEP_1) | instskip(SKIP_1) | instid1(VALU_DEP_2)
	v_mul_f64 v[35:36], v[31:32], v[33:34]
	v_add_f64 v[37:38], v[37:38], -v[33:34]
	v_mul_f64 v[39:40], v[29:30], v[35:36]
	s_delay_alu instid0(VALU_DEP_2) | instskip(SKIP_1) | instid1(VALU_DEP_3)
	v_add_f64 v[27:28], v[27:28], v[37:38]
	v_add_f64 v[17:18], v[31:32], v[35:36]
	v_fma_f64 v[41:42], v[35:36], v[29:30], -v[39:40]
	s_delay_alu instid0(VALU_DEP_2) | instskip(NEXT) | instid1(VALU_DEP_2)
	v_add_f64 v[23:24], v[17:18], -v[31:32]
	v_fma_f64 v[41:42], v[35:36], v[15:16], v[41:42]
	s_delay_alu instid0(VALU_DEP_2) | instskip(NEXT) | instid1(VALU_DEP_2)
	v_add_f64 v[9:10], v[35:36], -v[23:24]
	v_add_f64 v[43:44], v[39:40], v[41:42]
	s_delay_alu instid0(VALU_DEP_1) | instskip(SKIP_1) | instid1(VALU_DEP_2)
	v_add_f64 v[45:46], v[33:34], -v[43:44]
	v_add_f64 v[37:38], v[43:44], -v[39:40]
	v_add_f64 v[33:34], v[33:34], -v[45:46]
	s_delay_alu instid0(VALU_DEP_2) | instskip(NEXT) | instid1(VALU_DEP_2)
	v_add_f64 v[37:38], v[37:38], -v[41:42]
	v_add_f64 v[33:34], v[33:34], -v[43:44]
	s_delay_alu instid0(VALU_DEP_1) | instskip(NEXT) | instid1(VALU_DEP_1)
	v_add_f64 v[27:28], v[27:28], v[33:34]
	v_add_f64 v[27:28], v[37:38], v[27:28]
	s_delay_alu instid0(VALU_DEP_1) | instskip(NEXT) | instid1(VALU_DEP_1)
	v_add_f64 v[27:28], v[45:46], v[27:28]
	v_mul_f64 v[23:24], v[31:32], v[27:28]
	v_mul_f64 v[27:28], v[25:26], s[60:61]
	s_delay_alu instid0(VALU_DEP_2) | instskip(NEXT) | instid1(VALU_DEP_2)
	v_add_f64 v[9:10], v[9:10], v[23:24]
	v_rndne_f64_e32 v[23:24], v[27:28]
	s_delay_alu instid0(VALU_DEP_2) | instskip(NEXT) | instid1(VALU_DEP_2)
	v_add_f64 v[27:28], v[17:18], v[9:10]
	v_fma_f64 v[31:32], v[23:24], s[62:63], -v[25:26]
	v_cvt_i32_f64_e32 v2, v[23:24]
	s_delay_alu instid0(VALU_DEP_3) | instskip(SKIP_1) | instid1(VALU_DEP_4)
	v_add_f64 v[33:34], v[29:30], v[27:28]
	v_add_f64 v[17:18], v[27:28], -v[17:18]
	v_fma_f64 v[31:32], v[23:24], s[64:65], v[31:32]
	v_add_f64 v[39:40], v[29:30], -v[27:28]
	s_delay_alu instid0(VALU_DEP_4) | instskip(NEXT) | instid1(VALU_DEP_4)
	v_add_f64 v[35:36], v[33:34], -v[29:30]
	v_add_f64 v[9:10], v[9:10], -v[17:18]
	s_delay_alu instid0(VALU_DEP_4) | instskip(NEXT) | instid1(VALU_DEP_4)
	v_fma_f64 v[17:18], v[31:32], s[68:69], s[66:67]
	v_add_f64 v[29:30], v[29:30], -v[39:40]
	s_delay_alu instid0(VALU_DEP_4) | instskip(NEXT) | instid1(VALU_DEP_4)
	v_add_f64 v[35:36], v[27:28], -v[35:36]
	v_add_f64 v[37:38], v[15:16], v[9:10]
	s_delay_alu instid0(VALU_DEP_4) | instskip(NEXT) | instid1(VALU_DEP_4)
	v_fma_f64 v[17:18], v[31:32], v[17:18], s[70:71]
	v_add_f64 v[27:28], v[29:30], -v[27:28]
	s_delay_alu instid0(VALU_DEP_3) | instskip(NEXT) | instid1(VALU_DEP_3)
	v_add_f64 v[35:36], v[37:38], v[35:36]
	v_fma_f64 v[17:18], v[31:32], v[17:18], s[72:73]
	s_delay_alu instid0(VALU_DEP_3) | instskip(NEXT) | instid1(VALU_DEP_3)
	v_add_f64 v[15:16], v[15:16], v[27:28]
	v_add_f64 v[37:38], v[33:34], v[35:36]
	s_delay_alu instid0(VALU_DEP_3) | instskip(NEXT) | instid1(VALU_DEP_3)
	v_fma_f64 v[17:18], v[31:32], v[17:18], s[74:75]
	v_add_f64 v[9:10], v[15:16], -v[9:10]
	s_delay_alu instid0(VALU_DEP_3) | instskip(NEXT) | instid1(VALU_DEP_2)
	v_rcp_f64_e32 v[41:42], v[37:38]
	v_fma_f64 v[17:18], v[31:32], v[17:18], s[76:77]
	v_add_f64 v[33:34], v[37:38], -v[33:34]
	s_delay_alu instid0(VALU_DEP_2) | instskip(SKIP_4) | instid1(VALU_DEP_3)
	v_fma_f64 v[17:18], v[31:32], v[17:18], s[78:79]
	s_waitcnt_depctr 0xfff
	v_fma_f64 v[29:30], -v[37:38], v[41:42], 1.0
	v_add_f64 v[23:24], v[35:36], -v[33:34]
	v_fma_f64 v[17:18], v[31:32], v[17:18], s[80:81]
	v_fma_f64 v[27:28], v[29:30], v[41:42], v[41:42]
	v_add_f64 v[29:30], v[39:40], v[9:10]
	s_delay_alu instid0(VALU_DEP_3) | instskip(NEXT) | instid1(VALU_DEP_3)
	v_fma_f64 v[17:18], v[31:32], v[17:18], s[82:83]
	v_fma_f64 v[15:16], -v[37:38], v[27:28], 1.0
	s_delay_alu instid0(VALU_DEP_2) | instskip(NEXT) | instid1(VALU_DEP_2)
	v_fma_f64 v[17:18], v[31:32], v[17:18], s[84:85]
	v_fma_f64 v[15:16], v[15:16], v[27:28], v[27:28]
	s_delay_alu instid0(VALU_DEP_2) | instskip(NEXT) | instid1(VALU_DEP_2)
	v_fma_f64 v[17:18], v[31:32], v[17:18], 1.0
	v_mul_f64 v[27:28], v[29:30], v[15:16]
	s_delay_alu instid0(VALU_DEP_2) | instskip(NEXT) | instid1(VALU_DEP_2)
	v_fma_f64 v[17:18], v[31:32], v[17:18], 1.0
	v_mul_f64 v[41:42], v[37:38], v[27:28]
	s_delay_alu instid0(VALU_DEP_2) | instskip(NEXT) | instid1(VALU_DEP_2)
	v_ldexp_f64 v[17:18], v[17:18], v2
	v_fma_f64 v[31:32], v[27:28], v[37:38], -v[41:42]
	s_delay_alu instid0(VALU_DEP_2) | instskip(NEXT) | instid1(VALU_DEP_2)
	v_add_f64 v[17:18], v[17:18], 1.0
	v_fma_f64 v[23:24], v[27:28], v[23:24], v[31:32]
	s_delay_alu instid0(VALU_DEP_2) | instskip(NEXT) | instid1(VALU_DEP_2)
	v_div_scale_f64 v[33:34], null, v[17:18], v[17:18], 1.0
	v_add_f64 v[31:32], v[41:42], v[23:24]
	s_delay_alu instid0(VALU_DEP_2) | instskip(NEXT) | instid1(VALU_DEP_1)
	v_rcp_f64_e32 v[37:38], v[33:34]
	v_add_f64 v[35:36], v[29:30], -v[31:32]
	v_add_f64 v[41:42], v[31:32], -v[41:42]
	s_delay_alu instid0(VALU_DEP_2)
	v_add_f64 v[43:44], v[29:30], -v[35:36]
	s_waitcnt_depctr 0xfff
	v_fma_f64 v[45:46], -v[33:34], v[37:38], 1.0
	v_add_f64 v[29:30], v[29:30], -v[39:40]
	v_add_f64 v[23:24], v[23:24], -v[41:42]
	;; [unrolled: 1-line block ×3, first 2 shown]
	s_delay_alu instid0(VALU_DEP_4) | instskip(NEXT) | instid1(VALU_DEP_4)
	v_fma_f64 v[37:38], v[37:38], v[45:46], v[37:38]
	v_add_f64 v[9:10], v[9:10], -v[29:30]
	s_delay_alu instid0(VALU_DEP_3) | instskip(NEXT) | instid1(VALU_DEP_3)
	v_add_f64 v[23:24], v[31:32], -v[23:24]
	v_fma_f64 v[29:30], -v[33:34], v[37:38], 1.0
	s_delay_alu instid0(VALU_DEP_2) | instskip(SKIP_1) | instid1(VALU_DEP_3)
	v_add_f64 v[9:10], v[9:10], v[23:24]
	v_div_scale_f64 v[23:24], vcc_lo, 1.0, v[17:18], 1.0
	v_fma_f64 v[29:30], v[37:38], v[29:30], v[37:38]
	s_delay_alu instid0(VALU_DEP_3) | instskip(NEXT) | instid1(VALU_DEP_2)
	v_add_f64 v[9:10], v[35:36], v[9:10]
	v_mul_f64 v[31:32], v[23:24], v[29:30]
	s_delay_alu instid0(VALU_DEP_2) | instskip(NEXT) | instid1(VALU_DEP_2)
	v_mul_f64 v[9:10], v[15:16], v[9:10]
	v_fma_f64 v[15:16], -v[33:34], v[31:32], v[23:24]
	v_mul_lo_u32 v23, s103, v21
	s_delay_alu instid0(VALU_DEP_3)
	v_add_f64 v[9:10], v[27:28], v[9:10]
	v_mul_lo_u32 v27, v21, s21
	v_mul_lo_u32 v28, s59, v5
	v_div_fmas_f64 v[15:16], v[15:16], v[29:30], v[31:32]
	v_cmp_gt_f64_e64 vcc_lo, 0x3e400000, |v[13:14]|
	v_mul_lo_u32 v29, s58, v6
	v_cndmask_b32_e64 v2, 0x3ff00000, v10, s0
	v_cndmask_b32_e64 v9, 0, v9, s0
	v_and_b32_e32 v10, 0x7fffffff, v14
	v_div_fixup_f64 v[15:16], v[15:16], v[17:18], 1.0
	v_cmp_nlt_f64_e64 s0, 0x4090cc00, v[25:26]
	v_mad_u64_u32 v[17:18], null, s102, v21, v[3:4]
	s_delay_alu instid0(VALU_DEP_4) | instskip(SKIP_2) | instid1(VALU_DEP_4)
	v_dual_cndmask_b32 v9, v9, v13 :: v_dual_cndmask_b32 v2, v2, v10
	v_cmp_ngt_f64_e32 vcc_lo, 0xc0900000, v[25:26]
	v_mul_lo_u32 v26, v22, s20
	v_mul_lo_u32 v25, v17, s23
	v_cndmask_b32_e32 v16, 0, v16, vcc_lo
	s_and_b32 vcc_lo, s0, vcc_lo
	v_cndmask_b32_e32 v15, 0, v15, vcc_lo
	v_bfi_b32 v10, 0x7fffffff, v2, v14
	v_mul_lo_u32 v2, s102, v22
	v_cndmask_b32_e64 v16, 0x3ff00000, v16, s0
	s_mov_b32 s0, exec_lo
	s_delay_alu instid0(VALU_DEP_3) | instskip(NEXT) | instid1(VALU_DEP_3)
	v_add_f64 v[13:14], v[11:12], -v[9:10]
	v_add3_u32 v2, v23, v18, v2
	s_delay_alu instid0(VALU_DEP_1) | instskip(NEXT) | instid1(VALU_DEP_3)
	v_mul_lo_u32 v2, v2, s22
	v_fma_f64 v[23:24], v[15:16], v[13:14], v[9:10]
	v_mad_u64_u32 v[13:14], null, v21, s20, 0
	v_mad_u64_u32 v[21:22], null, v17, s22, 0
	;; [unrolled: 1-line block ×3, first 2 shown]
	s_delay_alu instid0(VALU_DEP_3) | instskip(NEXT) | instid1(VALU_DEP_3)
	v_add3_u32 v14, v14, v27, v26
	v_add3_u32 v22, v22, v25, v2
	s_delay_alu instid0(VALU_DEP_3) | instskip(NEXT) | instid1(VALU_DEP_3)
	v_add3_u32 v18, v18, v29, v28
	v_lshlrev_b64 v[25:26], 3, v[13:14]
	v_add_co_u32 v13, vcc_lo, v3, v17
	s_delay_alu instid0(VALU_DEP_4) | instskip(NEXT) | instid1(VALU_DEP_4)
	v_lshlrev_b64 v[21:22], 3, v[21:22]
	v_add_co_ci_u32_e32 v14, vcc_lo, v4, v18, vcc_lo
	s_delay_alu instid0(VALU_DEP_4) | instskip(SKIP_1) | instid1(VALU_DEP_3)
	v_add_co_u32 v25, vcc_lo, s50, v25
	v_add_co_ci_u32_e32 v26, vcc_lo, s51, v26, vcc_lo
	v_or_b32_e32 v2, s55, v14
	s_delay_alu instid0(VALU_DEP_3) | instskip(NEXT) | instid1(VALU_DEP_3)
	v_add_co_u32 v21, vcc_lo, v25, v21
	v_add_co_ci_u32_e32 v22, vcc_lo, v26, v22, vcc_lo
	global_store_b64 v[21:22], v[23:24], off
                                        ; implicit-def: $vgpr21_vgpr22
	v_cmpx_ne_u64_e32 0, v[1:2]
	s_xor_b32 s91, exec_lo, s0
	s_cbranch_execz .LBB35_43
; %bb.42:                               ;   in Loop: Header=BB35_3 Depth=1
	s_ashr_i32 s92, s55, 31
	s_delay_alu instid0(SALU_CYCLE_1) | instskip(SKIP_2) | instid1(SALU_CYCLE_1)
	s_add_u32 s94, s54, s92
	s_mov_b32 s93, s92
	s_addc_u32 s95, s55, s92
	s_xor_b64 s[94:95], s[94:95], s[92:93]
	s_delay_alu instid0(SALU_CYCLE_1) | instskip(SKIP_3) | instid1(VALU_DEP_1)
	v_cvt_f32_u32_e32 v2, s94
	v_cvt_f32_u32_e32 v21, s95
	s_sub_u32 s0, 0, s94
	s_subb_u32 s93, 0, s95
	v_fmac_f32_e32 v2, 0x4f800000, v21
	s_delay_alu instid0(VALU_DEP_1) | instskip(SKIP_2) | instid1(VALU_DEP_1)
	v_rcp_f32_e32 v2, v2
	s_waitcnt_depctr 0xfff
	v_mul_f32_e32 v2, 0x5f7ffffc, v2
	v_mul_f32_e32 v21, 0x2f800000, v2
	s_delay_alu instid0(VALU_DEP_1) | instskip(NEXT) | instid1(VALU_DEP_1)
	v_trunc_f32_e32 v21, v21
	v_fmac_f32_e32 v2, 0xcf800000, v21
	v_cvt_u32_f32_e32 v21, v21
	s_delay_alu instid0(VALU_DEP_2) | instskip(NEXT) | instid1(VALU_DEP_2)
	v_cvt_u32_f32_e32 v2, v2
	v_mul_lo_u32 v22, s0, v21
	s_delay_alu instid0(VALU_DEP_2) | instskip(SKIP_1) | instid1(VALU_DEP_2)
	v_mul_hi_u32 v23, s0, v2
	v_mul_lo_u32 v24, s93, v2
	v_add_nc_u32_e32 v22, v23, v22
	v_mul_lo_u32 v23, s0, v2
	s_delay_alu instid0(VALU_DEP_2) | instskip(NEXT) | instid1(VALU_DEP_2)
	v_add_nc_u32_e32 v22, v22, v24
	v_mul_hi_u32 v24, v2, v23
	s_delay_alu instid0(VALU_DEP_2)
	v_mul_lo_u32 v25, v2, v22
	v_mul_hi_u32 v26, v2, v22
	v_mul_hi_u32 v27, v21, v23
	v_mul_lo_u32 v23, v21, v23
	v_mul_hi_u32 v28, v21, v22
	v_mul_lo_u32 v22, v21, v22
	v_add_co_u32 v24, vcc_lo, v24, v25
	v_add_co_ci_u32_e32 v25, vcc_lo, 0, v26, vcc_lo
	s_delay_alu instid0(VALU_DEP_2) | instskip(NEXT) | instid1(VALU_DEP_2)
	v_add_co_u32 v23, vcc_lo, v24, v23
	v_add_co_ci_u32_e32 v23, vcc_lo, v25, v27, vcc_lo
	v_add_co_ci_u32_e32 v24, vcc_lo, 0, v28, vcc_lo
	v_ashrrev_i32_e32 v27, 31, v14
	s_delay_alu instid0(VALU_DEP_3) | instskip(NEXT) | instid1(VALU_DEP_3)
	v_add_co_u32 v22, vcc_lo, v23, v22
	v_add_co_ci_u32_e32 v23, vcc_lo, 0, v24, vcc_lo
	s_delay_alu instid0(VALU_DEP_2) | instskip(NEXT) | instid1(VALU_DEP_2)
	v_add_co_u32 v2, vcc_lo, v2, v22
	v_add_co_ci_u32_e32 v21, vcc_lo, v21, v23, vcc_lo
	s_delay_alu instid0(VALU_DEP_2) | instskip(SKIP_1) | instid1(VALU_DEP_3)
	v_mul_hi_u32 v22, s0, v2
	v_mul_lo_u32 v24, s93, v2
	v_mul_lo_u32 v23, s0, v21
	s_delay_alu instid0(VALU_DEP_1) | instskip(SKIP_1) | instid1(VALU_DEP_2)
	v_add_nc_u32_e32 v22, v22, v23
	v_mul_lo_u32 v23, s0, v2
	v_add_nc_u32_e32 v22, v22, v24
	s_delay_alu instid0(VALU_DEP_2) | instskip(NEXT) | instid1(VALU_DEP_2)
	v_mul_hi_u32 v24, v2, v23
	v_mul_lo_u32 v25, v2, v22
	v_mul_hi_u32 v26, v2, v22
	v_mul_hi_u32 v28, v21, v23
	v_mul_lo_u32 v23, v21, v23
	v_mul_hi_u32 v29, v21, v22
	v_mul_lo_u32 v22, v21, v22
	v_add_co_u32 v24, vcc_lo, v24, v25
	v_add_co_ci_u32_e32 v25, vcc_lo, 0, v26, vcc_lo
	s_delay_alu instid0(VALU_DEP_2) | instskip(NEXT) | instid1(VALU_DEP_2)
	v_add_co_u32 v23, vcc_lo, v24, v23
	v_add_co_ci_u32_e32 v23, vcc_lo, v25, v28, vcc_lo
	v_add_co_ci_u32_e32 v24, vcc_lo, 0, v29, vcc_lo
	v_add_co_u32 v13, vcc_lo, v13, v27
	v_add_co_ci_u32_e32 v14, vcc_lo, v14, v27, vcc_lo
	s_delay_alu instid0(VALU_DEP_4) | instskip(NEXT) | instid1(VALU_DEP_4)
	v_add_co_u32 v22, vcc_lo, v23, v22
	v_add_co_ci_u32_e32 v23, vcc_lo, 0, v24, vcc_lo
	s_delay_alu instid0(VALU_DEP_4) | instskip(NEXT) | instid1(VALU_DEP_3)
	v_xor_b32_e32 v25, v13, v27
	v_add_co_u32 v2, vcc_lo, v2, v22
	s_delay_alu instid0(VALU_DEP_3) | instskip(SKIP_1) | instid1(VALU_DEP_3)
	v_add_co_ci_u32_e32 v26, vcc_lo, v21, v23, vcc_lo
	v_xor_b32_e32 v28, v14, v27
	v_mul_hi_u32 v29, v25, v2
	s_delay_alu instid0(VALU_DEP_3) | instskip(NEXT) | instid1(VALU_DEP_3)
	v_mad_u64_u32 v[13:14], null, v25, v26, 0
	v_mad_u64_u32 v[21:22], null, v28, v2, 0
	;; [unrolled: 1-line block ×3, first 2 shown]
	s_delay_alu instid0(VALU_DEP_3) | instskip(NEXT) | instid1(VALU_DEP_4)
	v_add_co_u32 v2, vcc_lo, v29, v13
	v_add_co_ci_u32_e32 v13, vcc_lo, 0, v14, vcc_lo
	s_delay_alu instid0(VALU_DEP_2) | instskip(NEXT) | instid1(VALU_DEP_2)
	v_add_co_u32 v2, vcc_lo, v2, v21
	v_add_co_ci_u32_e32 v2, vcc_lo, v13, v22, vcc_lo
	v_add_co_ci_u32_e32 v13, vcc_lo, 0, v24, vcc_lo
	s_delay_alu instid0(VALU_DEP_2) | instskip(NEXT) | instid1(VALU_DEP_2)
	v_add_co_u32 v2, vcc_lo, v2, v23
	v_add_co_ci_u32_e32 v21, vcc_lo, 0, v13, vcc_lo
	s_delay_alu instid0(VALU_DEP_2) | instskip(SKIP_1) | instid1(VALU_DEP_3)
	v_mul_lo_u32 v22, s95, v2
	v_mad_u64_u32 v[13:14], null, s94, v2, 0
	v_mul_lo_u32 v23, s94, v21
	s_delay_alu instid0(VALU_DEP_2) | instskip(NEXT) | instid1(VALU_DEP_2)
	v_sub_co_u32 v13, vcc_lo, v25, v13
	v_add3_u32 v14, v14, v23, v22
	s_delay_alu instid0(VALU_DEP_1) | instskip(NEXT) | instid1(VALU_DEP_1)
	v_sub_nc_u32_e32 v22, v28, v14
	v_subrev_co_ci_u32_e64 v22, s0, s95, v22, vcc_lo
	v_add_co_u32 v23, s0, v2, 2
	s_delay_alu instid0(VALU_DEP_1) | instskip(SKIP_3) | instid1(VALU_DEP_3)
	v_add_co_ci_u32_e64 v24, s0, 0, v21, s0
	v_sub_co_u32 v25, s0, v13, s94
	v_sub_co_ci_u32_e32 v14, vcc_lo, v28, v14, vcc_lo
	v_subrev_co_ci_u32_e64 v22, s0, 0, v22, s0
	v_cmp_le_u32_e32 vcc_lo, s94, v25
	s_delay_alu instid0(VALU_DEP_3) | instskip(SKIP_1) | instid1(VALU_DEP_4)
	v_cmp_eq_u32_e64 s0, s95, v14
	v_cndmask_b32_e64 v25, 0, -1, vcc_lo
	v_cmp_le_u32_e32 vcc_lo, s95, v22
	v_cndmask_b32_e64 v26, 0, -1, vcc_lo
	v_cmp_le_u32_e32 vcc_lo, s94, v13
	v_cndmask_b32_e64 v13, 0, -1, vcc_lo
	v_cmp_le_u32_e32 vcc_lo, s95, v14
	v_cndmask_b32_e64 v28, 0, -1, vcc_lo
	v_cmp_eq_u32_e32 vcc_lo, s95, v22
	s_delay_alu instid0(VALU_DEP_2) | instskip(SKIP_3) | instid1(VALU_DEP_3)
	v_cndmask_b32_e64 v13, v28, v13, s0
	v_cndmask_b32_e32 v22, v26, v25, vcc_lo
	v_add_co_u32 v25, vcc_lo, v2, 1
	v_add_co_ci_u32_e32 v26, vcc_lo, 0, v21, vcc_lo
	v_cmp_ne_u32_e32 vcc_lo, 0, v22
	s_delay_alu instid0(VALU_DEP_2) | instskip(NEXT) | instid1(VALU_DEP_4)
	v_cndmask_b32_e32 v14, v26, v24, vcc_lo
	v_cndmask_b32_e32 v22, v25, v23, vcc_lo
	v_cmp_ne_u32_e32 vcc_lo, 0, v13
	v_xor_b32_e32 v13, s92, v27
	s_delay_alu instid0(VALU_DEP_3) | instskip(SKIP_1) | instid1(VALU_DEP_2)
	v_cndmask_b32_e32 v2, v2, v22, vcc_lo
	v_cndmask_b32_e32 v14, v21, v14, vcc_lo
	v_xor_b32_e32 v2, v2, v13
	s_delay_alu instid0(VALU_DEP_2) | instskip(NEXT) | instid1(VALU_DEP_2)
	v_xor_b32_e32 v14, v14, v13
	v_sub_co_u32 v21, vcc_lo, v2, v13
	s_delay_alu instid0(VALU_DEP_2)
	v_sub_co_ci_u32_e32 v22, vcc_lo, v14, v13, vcc_lo
                                        ; implicit-def: $vgpr13
.LBB35_43:                              ;   in Loop: Header=BB35_3 Depth=1
	s_or_saveexec_b32 s0, s91
	v_cvt_f32_u32_e32 v23, s54
	s_xor_b32 exec_lo, exec_lo, s0
	s_cbranch_execz .LBB35_45
; %bb.44:                               ;   in Loop: Header=BB35_3 Depth=1
	s_delay_alu instid0(VALU_DEP_1) | instskip(SKIP_4) | instid1(VALU_DEP_1)
	v_rcp_iflag_f32_e32 v2, v23
	s_sub_i32 s91, 0, s54
	v_mov_b32_e32 v22, v1
	s_waitcnt_depctr 0xfff
	v_mul_f32_e32 v2, 0x4f7ffffe, v2
	v_cvt_u32_f32_e32 v2, v2
	s_delay_alu instid0(VALU_DEP_1) | instskip(NEXT) | instid1(VALU_DEP_1)
	v_mul_lo_u32 v14, s91, v2
	v_mul_hi_u32 v14, v2, v14
	s_delay_alu instid0(VALU_DEP_1) | instskip(NEXT) | instid1(VALU_DEP_1)
	v_add_nc_u32_e32 v2, v2, v14
	v_mul_hi_u32 v2, v13, v2
	s_delay_alu instid0(VALU_DEP_1) | instskip(NEXT) | instid1(VALU_DEP_1)
	v_mul_lo_u32 v14, v2, s54
	v_sub_nc_u32_e32 v13, v13, v14
	v_add_nc_u32_e32 v14, 1, v2
	s_delay_alu instid0(VALU_DEP_2) | instskip(SKIP_1) | instid1(VALU_DEP_2)
	v_subrev_nc_u32_e32 v21, s54, v13
	v_cmp_le_u32_e32 vcc_lo, s54, v13
	v_dual_cndmask_b32 v13, v13, v21 :: v_dual_cndmask_b32 v2, v2, v14
	s_delay_alu instid0(VALU_DEP_1) | instskip(NEXT) | instid1(VALU_DEP_2)
	v_cmp_le_u32_e32 vcc_lo, s54, v13
	v_add_nc_u32_e32 v14, 1, v2
	s_delay_alu instid0(VALU_DEP_1)
	v_cndmask_b32_e32 v21, v2, v14, vcc_lo
.LBB35_45:                              ;   in Loop: Header=BB35_3 Depth=1
	s_or_b32 exec_lo, exec_lo, s0
	v_mul_lo_u32 v2, v22, s54
	s_delay_alu instid0(VALU_DEP_2) | instskip(SKIP_4) | instid1(VALU_DEP_3)
	v_mul_lo_u32 v13, v21, s55
	v_mad_u64_u32 v[24:25], null, v21, s54, 0
	v_mul_lo_u32 v22, v22, s24
	v_mul_lo_u32 v26, v21, s25
	s_mov_b32 s0, exec_lo
	v_add3_u32 v2, v25, v13, v2
	s_delay_alu instid0(VALU_DEP_4) | instskip(SKIP_2) | instid1(VALU_DEP_4)
	v_sub_co_u32 v17, vcc_lo, v17, v24
	v_lshlrev_b64 v[13:14], 2, v[5:6]
	v_alignbit_b32 v5, v6, v5, 30
	v_sub_co_ci_u32_e32 v2, vcc_lo, v18, v2, vcc_lo
	s_delay_alu instid0(VALU_DEP_4) | instskip(SKIP_1) | instid1(VALU_DEP_3)
	v_add_co_u32 v27, vcc_lo, v3, v17
	v_mad_u64_u32 v[17:18], null, v21, s24, 0
	v_add_co_ci_u32_e32 v2, vcc_lo, v4, v2, vcc_lo
	v_mul_lo_u32 v21, s4, v5
	v_mul_lo_u32 v28, s5, v13
	;; [unrolled: 1-line block ×3, first 2 shown]
	s_delay_alu instid0(VALU_DEP_4) | instskip(SKIP_3) | instid1(VALU_DEP_3)
	v_mul_lo_u32 v2, v2, s26
	v_mad_u64_u32 v[5:6], null, s4, v13, s[4:5]
	v_mad_u64_u32 v[24:25], null, v27, s26, 0
	v_add3_u32 v18, v18, v26, v22
	v_add3_u32 v6, v28, v6, v21
	s_delay_alu instid0(VALU_DEP_2) | instskip(NEXT) | instid1(VALU_DEP_4)
	v_lshlrev_b64 v[17:18], 3, v[17:18]
	v_add3_u32 v25, v25, v29, v2
	v_add_co_u32 v21, vcc_lo, v3, v5
	s_delay_alu instid0(VALU_DEP_4) | instskip(NEXT) | instid1(VALU_DEP_3)
	v_add_co_ci_u32_e32 v22, vcc_lo, v4, v6, vcc_lo
	v_lshlrev_b64 v[24:25], 3, v[24:25]
	v_add_co_u32 v17, vcc_lo, s52, v17
	v_add_co_ci_u32_e32 v18, vcc_lo, s53, v18, vcc_lo
	s_delay_alu instid0(VALU_DEP_4) | instskip(NEXT) | instid1(VALU_DEP_3)
	v_or_b32_e32 v2, s55, v22
	v_add_co_u32 v17, vcc_lo, v17, v24
	s_delay_alu instid0(VALU_DEP_3)
	v_add_co_ci_u32_e32 v18, vcc_lo, v18, v25, vcc_lo
	global_store_b64 v[17:18], v[19:20], off
                                        ; implicit-def: $vgpr17_vgpr18
	v_cmpx_ne_u64_e32 0, v[1:2]
	s_xor_b32 s91, exec_lo, s0
	s_cbranch_execz .LBB35_47
; %bb.46:                               ;   in Loop: Header=BB35_3 Depth=1
	s_ashr_i32 s92, s55, 31
	s_delay_alu instid0(SALU_CYCLE_1) | instskip(SKIP_2) | instid1(SALU_CYCLE_1)
	s_add_u32 s94, s54, s92
	s_mov_b32 s93, s92
	s_addc_u32 s95, s55, s92
	s_xor_b64 s[94:95], s[94:95], s[92:93]
	s_delay_alu instid0(SALU_CYCLE_1) | instskip(SKIP_3) | instid1(VALU_DEP_1)
	v_cvt_f32_u32_e32 v2, s94
	v_cvt_f32_u32_e32 v17, s95
	s_sub_u32 s0, 0, s94
	s_subb_u32 s93, 0, s95
	v_fmac_f32_e32 v2, 0x4f800000, v17
	s_delay_alu instid0(VALU_DEP_1) | instskip(SKIP_2) | instid1(VALU_DEP_1)
	v_rcp_f32_e32 v2, v2
	s_waitcnt_depctr 0xfff
	v_mul_f32_e32 v2, 0x5f7ffffc, v2
	v_mul_f32_e32 v17, 0x2f800000, v2
	s_delay_alu instid0(VALU_DEP_1) | instskip(NEXT) | instid1(VALU_DEP_1)
	v_trunc_f32_e32 v17, v17
	v_fmac_f32_e32 v2, 0xcf800000, v17
	v_cvt_u32_f32_e32 v17, v17
	s_delay_alu instid0(VALU_DEP_2) | instskip(NEXT) | instid1(VALU_DEP_2)
	v_cvt_u32_f32_e32 v2, v2
	v_mul_lo_u32 v18, s0, v17
	s_delay_alu instid0(VALU_DEP_2) | instskip(SKIP_1) | instid1(VALU_DEP_2)
	v_mul_hi_u32 v19, s0, v2
	v_mul_lo_u32 v20, s93, v2
	v_add_nc_u32_e32 v18, v19, v18
	v_mul_lo_u32 v19, s0, v2
	s_delay_alu instid0(VALU_DEP_2) | instskip(NEXT) | instid1(VALU_DEP_2)
	v_add_nc_u32_e32 v18, v18, v20
	v_mul_hi_u32 v20, v2, v19
	s_delay_alu instid0(VALU_DEP_2)
	v_mul_lo_u32 v24, v2, v18
	v_mul_hi_u32 v25, v2, v18
	v_mul_hi_u32 v26, v17, v19
	v_mul_lo_u32 v19, v17, v19
	v_mul_hi_u32 v27, v17, v18
	v_mul_lo_u32 v18, v17, v18
	v_add_co_u32 v20, vcc_lo, v20, v24
	v_add_co_ci_u32_e32 v24, vcc_lo, 0, v25, vcc_lo
	s_delay_alu instid0(VALU_DEP_2) | instskip(NEXT) | instid1(VALU_DEP_2)
	v_add_co_u32 v19, vcc_lo, v20, v19
	v_add_co_ci_u32_e32 v19, vcc_lo, v24, v26, vcc_lo
	v_add_co_ci_u32_e32 v20, vcc_lo, 0, v27, vcc_lo
	v_ashrrev_i32_e32 v26, 31, v22
	s_delay_alu instid0(VALU_DEP_3) | instskip(NEXT) | instid1(VALU_DEP_3)
	v_add_co_u32 v18, vcc_lo, v19, v18
	v_add_co_ci_u32_e32 v19, vcc_lo, 0, v20, vcc_lo
	s_delay_alu instid0(VALU_DEP_2) | instskip(NEXT) | instid1(VALU_DEP_2)
	v_add_co_u32 v2, vcc_lo, v2, v18
	v_add_co_ci_u32_e32 v17, vcc_lo, v17, v19, vcc_lo
	s_delay_alu instid0(VALU_DEP_2) | instskip(SKIP_1) | instid1(VALU_DEP_3)
	v_mul_hi_u32 v18, s0, v2
	v_mul_lo_u32 v20, s93, v2
	v_mul_lo_u32 v19, s0, v17
	s_delay_alu instid0(VALU_DEP_1) | instskip(SKIP_1) | instid1(VALU_DEP_2)
	v_add_nc_u32_e32 v18, v18, v19
	v_mul_lo_u32 v19, s0, v2
	v_add_nc_u32_e32 v18, v18, v20
	s_delay_alu instid0(VALU_DEP_2) | instskip(NEXT) | instid1(VALU_DEP_2)
	v_mul_hi_u32 v20, v2, v19
	v_mul_lo_u32 v24, v2, v18
	v_mul_hi_u32 v25, v2, v18
	v_mul_hi_u32 v27, v17, v19
	v_mul_lo_u32 v19, v17, v19
	v_mul_hi_u32 v28, v17, v18
	v_mul_lo_u32 v18, v17, v18
	v_add_co_u32 v20, vcc_lo, v20, v24
	v_add_co_ci_u32_e32 v24, vcc_lo, 0, v25, vcc_lo
	s_delay_alu instid0(VALU_DEP_2) | instskip(NEXT) | instid1(VALU_DEP_2)
	v_add_co_u32 v19, vcc_lo, v20, v19
	v_add_co_ci_u32_e32 v19, vcc_lo, v24, v27, vcc_lo
	v_add_co_ci_u32_e32 v20, vcc_lo, 0, v28, vcc_lo
	v_add_co_u32 v21, vcc_lo, v21, v26
	v_add_co_ci_u32_e32 v22, vcc_lo, v22, v26, vcc_lo
	s_delay_alu instid0(VALU_DEP_4) | instskip(NEXT) | instid1(VALU_DEP_4)
	v_add_co_u32 v18, vcc_lo, v19, v18
	v_add_co_ci_u32_e32 v19, vcc_lo, 0, v20, vcc_lo
	s_delay_alu instid0(VALU_DEP_4) | instskip(NEXT) | instid1(VALU_DEP_3)
	v_xor_b32_e32 v24, v21, v26
	v_add_co_u32 v2, vcc_lo, v2, v18
	s_delay_alu instid0(VALU_DEP_3) | instskip(SKIP_1) | instid1(VALU_DEP_3)
	v_add_co_ci_u32_e32 v25, vcc_lo, v17, v19, vcc_lo
	v_xor_b32_e32 v27, v22, v26
	v_mul_hi_u32 v28, v24, v2
	s_delay_alu instid0(VALU_DEP_3) | instskip(NEXT) | instid1(VALU_DEP_3)
	v_mad_u64_u32 v[17:18], null, v24, v25, 0
	v_mad_u64_u32 v[19:20], null, v27, v2, 0
	v_mad_u64_u32 v[21:22], null, v27, v25, 0
	s_delay_alu instid0(VALU_DEP_3) | instskip(NEXT) | instid1(VALU_DEP_4)
	v_add_co_u32 v2, vcc_lo, v28, v17
	v_add_co_ci_u32_e32 v17, vcc_lo, 0, v18, vcc_lo
	s_delay_alu instid0(VALU_DEP_2) | instskip(NEXT) | instid1(VALU_DEP_2)
	v_add_co_u32 v2, vcc_lo, v2, v19
	v_add_co_ci_u32_e32 v2, vcc_lo, v17, v20, vcc_lo
	v_add_co_ci_u32_e32 v17, vcc_lo, 0, v22, vcc_lo
	s_delay_alu instid0(VALU_DEP_2) | instskip(NEXT) | instid1(VALU_DEP_2)
	v_add_co_u32 v2, vcc_lo, v2, v21
	v_add_co_ci_u32_e32 v19, vcc_lo, 0, v17, vcc_lo
	s_delay_alu instid0(VALU_DEP_2) | instskip(SKIP_1) | instid1(VALU_DEP_3)
	v_mul_lo_u32 v20, s95, v2
	v_mad_u64_u32 v[17:18], null, s94, v2, 0
	v_mul_lo_u32 v21, s94, v19
	s_delay_alu instid0(VALU_DEP_2) | instskip(NEXT) | instid1(VALU_DEP_2)
	v_sub_co_u32 v17, vcc_lo, v24, v17
	v_add3_u32 v18, v18, v21, v20
	s_delay_alu instid0(VALU_DEP_1) | instskip(NEXT) | instid1(VALU_DEP_1)
	v_sub_nc_u32_e32 v20, v27, v18
	v_subrev_co_ci_u32_e64 v20, s0, s95, v20, vcc_lo
	v_add_co_u32 v21, s0, v2, 2
	s_delay_alu instid0(VALU_DEP_1) | instskip(SKIP_3) | instid1(VALU_DEP_3)
	v_add_co_ci_u32_e64 v22, s0, 0, v19, s0
	v_sub_co_u32 v24, s0, v17, s94
	v_sub_co_ci_u32_e32 v18, vcc_lo, v27, v18, vcc_lo
	v_subrev_co_ci_u32_e64 v20, s0, 0, v20, s0
	v_cmp_le_u32_e32 vcc_lo, s94, v24
	s_delay_alu instid0(VALU_DEP_3) | instskip(SKIP_1) | instid1(VALU_DEP_4)
	v_cmp_eq_u32_e64 s0, s95, v18
	v_cndmask_b32_e64 v24, 0, -1, vcc_lo
	v_cmp_le_u32_e32 vcc_lo, s95, v20
	v_cndmask_b32_e64 v25, 0, -1, vcc_lo
	v_cmp_le_u32_e32 vcc_lo, s94, v17
	;; [unrolled: 2-line block ×3, first 2 shown]
	v_cndmask_b32_e64 v27, 0, -1, vcc_lo
	v_cmp_eq_u32_e32 vcc_lo, s95, v20
	s_delay_alu instid0(VALU_DEP_2) | instskip(SKIP_3) | instid1(VALU_DEP_3)
	v_cndmask_b32_e64 v17, v27, v17, s0
	v_cndmask_b32_e32 v20, v25, v24, vcc_lo
	v_add_co_u32 v24, vcc_lo, v2, 1
	v_add_co_ci_u32_e32 v25, vcc_lo, 0, v19, vcc_lo
	v_cmp_ne_u32_e32 vcc_lo, 0, v20
	s_delay_alu instid0(VALU_DEP_2) | instskip(NEXT) | instid1(VALU_DEP_4)
	v_cndmask_b32_e32 v18, v25, v22, vcc_lo
	v_cndmask_b32_e32 v20, v24, v21, vcc_lo
	v_cmp_ne_u32_e32 vcc_lo, 0, v17
	v_xor_b32_e32 v21, s92, v26
	s_delay_alu instid0(VALU_DEP_3) | instskip(NEXT) | instid1(VALU_DEP_1)
	v_dual_cndmask_b32 v2, v2, v20 :: v_dual_cndmask_b32 v17, v19, v18
	v_xor_b32_e32 v2, v2, v21
	s_delay_alu instid0(VALU_DEP_2) | instskip(NEXT) | instid1(VALU_DEP_2)
	v_xor_b32_e32 v18, v17, v21
	v_sub_co_u32 v17, vcc_lo, v2, v21
	s_delay_alu instid0(VALU_DEP_2)
	v_sub_co_ci_u32_e32 v18, vcc_lo, v18, v21, vcc_lo
                                        ; implicit-def: $vgpr21
.LBB35_47:                              ;   in Loop: Header=BB35_3 Depth=1
	s_and_not1_saveexec_b32 s0, s91
	s_cbranch_execz .LBB35_49
; %bb.48:                               ;   in Loop: Header=BB35_3 Depth=1
	v_rcp_iflag_f32_e32 v2, v23
	s_sub_i32 s91, 0, s54
	s_waitcnt_depctr 0xfff
	v_mul_f32_e32 v2, 0x4f7ffffe, v2
	s_delay_alu instid0(VALU_DEP_1) | instskip(NEXT) | instid1(VALU_DEP_1)
	v_cvt_u32_f32_e32 v2, v2
	v_mul_lo_u32 v17, s91, v2
	s_delay_alu instid0(VALU_DEP_1) | instskip(NEXT) | instid1(VALU_DEP_1)
	v_mul_hi_u32 v17, v2, v17
	v_add_nc_u32_e32 v2, v2, v17
	s_delay_alu instid0(VALU_DEP_1) | instskip(NEXT) | instid1(VALU_DEP_1)
	v_mul_hi_u32 v2, v21, v2
	v_mul_lo_u32 v17, v2, s54
	v_add_nc_u32_e32 v18, 1, v2
	s_delay_alu instid0(VALU_DEP_2) | instskip(NEXT) | instid1(VALU_DEP_1)
	v_sub_nc_u32_e32 v17, v21, v17
	v_subrev_nc_u32_e32 v19, s54, v17
	v_cmp_le_u32_e32 vcc_lo, s54, v17
	s_delay_alu instid0(VALU_DEP_2) | instskip(NEXT) | instid1(VALU_DEP_1)
	v_dual_cndmask_b32 v17, v17, v19 :: v_dual_cndmask_b32 v2, v2, v18
	v_cmp_le_u32_e32 vcc_lo, s54, v17
	s_delay_alu instid0(VALU_DEP_2) | instskip(NEXT) | instid1(VALU_DEP_1)
	v_add_nc_u32_e32 v18, 1, v2
	v_dual_cndmask_b32 v17, v2, v18 :: v_dual_mov_b32 v18, v1
.LBB35_49:                              ;   in Loop: Header=BB35_3 Depth=1
	s_or_b32 exec_lo, exec_lo, s0
	s_delay_alu instid0(VALU_DEP_1) | instskip(NEXT) | instid1(VALU_DEP_2)
	v_mul_lo_u32 v2, v18, s54
	v_mul_lo_u32 v21, v17, s55
	v_mad_u64_u32 v[19:20], null, v17, s54, 0
	v_mul_lo_u32 v22, v18, s24
	v_mul_lo_u32 v24, v17, s25
	s_mov_b32 s0, exec_lo
	s_delay_alu instid0(VALU_DEP_3) | instskip(NEXT) | instid1(VALU_DEP_4)
	v_add3_u32 v2, v20, v21, v2
	v_sub_co_u32 v5, vcc_lo, v5, v19
	v_mad_u64_u32 v[18:19], null, v17, s24, 0
	s_delay_alu instid0(VALU_DEP_3) | instskip(NEXT) | instid1(VALU_DEP_3)
	v_sub_co_ci_u32_e32 v2, vcc_lo, v6, v2, vcc_lo
	v_add_co_u32 v5, vcc_lo, v3, v5
	s_delay_alu instid0(VALU_DEP_2) | instskip(SKIP_2) | instid1(VALU_DEP_4)
	v_add_co_ci_u32_e32 v2, vcc_lo, v4, v2, vcc_lo
	v_add_co_u32 v17, vcc_lo, v13, 2
	v_add_co_ci_u32_e32 v6, vcc_lo, 0, v14, vcc_lo
	v_mul_lo_u32 v25, v5, s27
	s_delay_alu instid0(VALU_DEP_4)
	v_mul_lo_u32 v2, v2, s26
	v_mad_u64_u32 v[20:21], null, v5, s26, 0
	v_mul_lo_u32 v26, s5, v17
	v_mul_lo_u32 v27, s4, v6
	v_mad_u64_u32 v[5:6], null, s4, v17, 0
	v_add3_u32 v19, v19, v24, v22
	v_add3_u32 v21, v21, v25, v2
	s_delay_alu instid0(VALU_DEP_2) | instskip(NEXT) | instid1(VALU_DEP_4)
	v_lshlrev_b64 v[24:25], 3, v[18:19]
	v_add3_u32 v6, v6, v27, v26
	v_add_co_u32 v17, vcc_lo, v3, v5
	s_delay_alu instid0(VALU_DEP_4) | instskip(NEXT) | instid1(VALU_DEP_3)
	v_lshlrev_b64 v[19:20], 3, v[20:21]
	v_add_co_ci_u32_e32 v18, vcc_lo, v4, v6, vcc_lo
	v_add_co_u32 v21, vcc_lo, s52, v24
	v_add_co_ci_u32_e32 v22, vcc_lo, s53, v25, vcc_lo
	s_delay_alu instid0(VALU_DEP_3) | instskip(NEXT) | instid1(VALU_DEP_3)
	v_or_b32_e32 v2, s55, v18
	v_add_co_u32 v19, vcc_lo, v21, v19
	s_delay_alu instid0(VALU_DEP_3)
	v_add_co_ci_u32_e32 v20, vcc_lo, v22, v20, vcc_lo
	global_store_b64 v[19:20], v[15:16], off
                                        ; implicit-def: $vgpr15_vgpr16
	v_cmpx_ne_u64_e32 0, v[1:2]
	s_xor_b32 s91, exec_lo, s0
	s_cbranch_execz .LBB35_51
; %bb.50:                               ;   in Loop: Header=BB35_3 Depth=1
	s_ashr_i32 s92, s55, 31
	s_delay_alu instid0(SALU_CYCLE_1) | instskip(SKIP_2) | instid1(SALU_CYCLE_1)
	s_add_u32 s94, s54, s92
	s_mov_b32 s93, s92
	s_addc_u32 s95, s55, s92
	s_xor_b64 s[94:95], s[94:95], s[92:93]
	s_delay_alu instid0(SALU_CYCLE_1) | instskip(SKIP_3) | instid1(VALU_DEP_1)
	v_cvt_f32_u32_e32 v2, s94
	v_cvt_f32_u32_e32 v15, s95
	s_sub_u32 s0, 0, s94
	s_subb_u32 s93, 0, s95
	v_fmac_f32_e32 v2, 0x4f800000, v15
	s_delay_alu instid0(VALU_DEP_1) | instskip(SKIP_2) | instid1(VALU_DEP_1)
	v_rcp_f32_e32 v2, v2
	s_waitcnt_depctr 0xfff
	v_mul_f32_e32 v2, 0x5f7ffffc, v2
	v_mul_f32_e32 v15, 0x2f800000, v2
	s_delay_alu instid0(VALU_DEP_1) | instskip(NEXT) | instid1(VALU_DEP_1)
	v_trunc_f32_e32 v15, v15
	v_fmac_f32_e32 v2, 0xcf800000, v15
	v_cvt_u32_f32_e32 v15, v15
	s_delay_alu instid0(VALU_DEP_2) | instskip(NEXT) | instid1(VALU_DEP_2)
	v_cvt_u32_f32_e32 v2, v2
	v_mul_lo_u32 v16, s0, v15
	s_delay_alu instid0(VALU_DEP_2) | instskip(SKIP_1) | instid1(VALU_DEP_2)
	v_mul_hi_u32 v19, s0, v2
	v_mul_lo_u32 v20, s93, v2
	v_add_nc_u32_e32 v16, v19, v16
	v_mul_lo_u32 v19, s0, v2
	s_delay_alu instid0(VALU_DEP_2) | instskip(NEXT) | instid1(VALU_DEP_2)
	v_add_nc_u32_e32 v16, v16, v20
	v_mul_hi_u32 v20, v2, v19
	s_delay_alu instid0(VALU_DEP_2)
	v_mul_lo_u32 v21, v2, v16
	v_mul_hi_u32 v22, v2, v16
	v_mul_hi_u32 v24, v15, v19
	v_mul_lo_u32 v19, v15, v19
	v_mul_hi_u32 v25, v15, v16
	v_mul_lo_u32 v16, v15, v16
	v_add_co_u32 v20, vcc_lo, v20, v21
	v_add_co_ci_u32_e32 v21, vcc_lo, 0, v22, vcc_lo
	s_delay_alu instid0(VALU_DEP_2) | instskip(NEXT) | instid1(VALU_DEP_2)
	v_add_co_u32 v19, vcc_lo, v20, v19
	v_add_co_ci_u32_e32 v19, vcc_lo, v21, v24, vcc_lo
	v_add_co_ci_u32_e32 v20, vcc_lo, 0, v25, vcc_lo
	v_ashrrev_i32_e32 v24, 31, v18
	s_delay_alu instid0(VALU_DEP_3) | instskip(NEXT) | instid1(VALU_DEP_3)
	v_add_co_u32 v16, vcc_lo, v19, v16
	v_add_co_ci_u32_e32 v19, vcc_lo, 0, v20, vcc_lo
	s_delay_alu instid0(VALU_DEP_2) | instskip(NEXT) | instid1(VALU_DEP_2)
	v_add_co_u32 v2, vcc_lo, v2, v16
	v_add_co_ci_u32_e32 v15, vcc_lo, v15, v19, vcc_lo
	s_delay_alu instid0(VALU_DEP_2) | instskip(SKIP_1) | instid1(VALU_DEP_3)
	v_mul_hi_u32 v16, s0, v2
	v_mul_lo_u32 v20, s93, v2
	v_mul_lo_u32 v19, s0, v15
	s_delay_alu instid0(VALU_DEP_1) | instskip(SKIP_1) | instid1(VALU_DEP_2)
	v_add_nc_u32_e32 v16, v16, v19
	v_mul_lo_u32 v19, s0, v2
	v_add_nc_u32_e32 v16, v16, v20
	s_delay_alu instid0(VALU_DEP_2) | instskip(NEXT) | instid1(VALU_DEP_2)
	v_mul_hi_u32 v20, v2, v19
	v_mul_lo_u32 v21, v2, v16
	v_mul_hi_u32 v22, v2, v16
	v_mul_hi_u32 v25, v15, v19
	v_mul_lo_u32 v19, v15, v19
	v_mul_hi_u32 v26, v15, v16
	v_mul_lo_u32 v16, v15, v16
	v_add_co_u32 v20, vcc_lo, v20, v21
	v_add_co_ci_u32_e32 v21, vcc_lo, 0, v22, vcc_lo
	s_delay_alu instid0(VALU_DEP_2) | instskip(NEXT) | instid1(VALU_DEP_2)
	v_add_co_u32 v19, vcc_lo, v20, v19
	v_add_co_ci_u32_e32 v19, vcc_lo, v21, v25, vcc_lo
	v_add_co_ci_u32_e32 v20, vcc_lo, 0, v26, vcc_lo
	v_add_co_u32 v17, vcc_lo, v17, v24
	v_add_co_ci_u32_e32 v18, vcc_lo, v18, v24, vcc_lo
	s_delay_alu instid0(VALU_DEP_4) | instskip(NEXT) | instid1(VALU_DEP_4)
	v_add_co_u32 v16, vcc_lo, v19, v16
	v_add_co_ci_u32_e32 v19, vcc_lo, 0, v20, vcc_lo
	s_delay_alu instid0(VALU_DEP_4) | instskip(NEXT) | instid1(VALU_DEP_3)
	v_xor_b32_e32 v21, v17, v24
	v_add_co_u32 v2, vcc_lo, v2, v16
	s_delay_alu instid0(VALU_DEP_3) | instskip(SKIP_1) | instid1(VALU_DEP_3)
	v_add_co_ci_u32_e32 v22, vcc_lo, v15, v19, vcc_lo
	v_xor_b32_e32 v25, v18, v24
	v_mul_hi_u32 v26, v21, v2
	s_delay_alu instid0(VALU_DEP_3) | instskip(NEXT) | instid1(VALU_DEP_3)
	v_mad_u64_u32 v[15:16], null, v21, v22, 0
	v_mad_u64_u32 v[17:18], null, v25, v2, 0
	;; [unrolled: 1-line block ×3, first 2 shown]
	s_delay_alu instid0(VALU_DEP_3) | instskip(NEXT) | instid1(VALU_DEP_4)
	v_add_co_u32 v2, vcc_lo, v26, v15
	v_add_co_ci_u32_e32 v15, vcc_lo, 0, v16, vcc_lo
	s_delay_alu instid0(VALU_DEP_2) | instskip(NEXT) | instid1(VALU_DEP_2)
	v_add_co_u32 v2, vcc_lo, v2, v17
	v_add_co_ci_u32_e32 v2, vcc_lo, v15, v18, vcc_lo
	v_add_co_ci_u32_e32 v15, vcc_lo, 0, v20, vcc_lo
	s_delay_alu instid0(VALU_DEP_2) | instskip(NEXT) | instid1(VALU_DEP_2)
	v_add_co_u32 v2, vcc_lo, v2, v19
	v_add_co_ci_u32_e32 v17, vcc_lo, 0, v15, vcc_lo
	s_delay_alu instid0(VALU_DEP_2) | instskip(SKIP_1) | instid1(VALU_DEP_3)
	v_mul_lo_u32 v18, s95, v2
	v_mad_u64_u32 v[15:16], null, s94, v2, 0
	v_mul_lo_u32 v19, s94, v17
	s_delay_alu instid0(VALU_DEP_2) | instskip(NEXT) | instid1(VALU_DEP_2)
	v_sub_co_u32 v15, vcc_lo, v21, v15
	v_add3_u32 v16, v16, v19, v18
	s_delay_alu instid0(VALU_DEP_1) | instskip(NEXT) | instid1(VALU_DEP_1)
	v_sub_nc_u32_e32 v18, v25, v16
	v_subrev_co_ci_u32_e64 v18, s0, s95, v18, vcc_lo
	v_add_co_u32 v19, s0, v2, 2
	s_delay_alu instid0(VALU_DEP_1) | instskip(SKIP_3) | instid1(VALU_DEP_3)
	v_add_co_ci_u32_e64 v20, s0, 0, v17, s0
	v_sub_co_u32 v21, s0, v15, s94
	v_sub_co_ci_u32_e32 v16, vcc_lo, v25, v16, vcc_lo
	v_subrev_co_ci_u32_e64 v18, s0, 0, v18, s0
	v_cmp_le_u32_e32 vcc_lo, s94, v21
	s_delay_alu instid0(VALU_DEP_3) | instskip(SKIP_1) | instid1(VALU_DEP_4)
	v_cmp_eq_u32_e64 s0, s95, v16
	v_cndmask_b32_e64 v21, 0, -1, vcc_lo
	v_cmp_le_u32_e32 vcc_lo, s95, v18
	v_cndmask_b32_e64 v22, 0, -1, vcc_lo
	v_cmp_le_u32_e32 vcc_lo, s94, v15
	;; [unrolled: 2-line block ×3, first 2 shown]
	v_cndmask_b32_e64 v25, 0, -1, vcc_lo
	v_cmp_eq_u32_e32 vcc_lo, s95, v18
	s_delay_alu instid0(VALU_DEP_2) | instskip(SKIP_3) | instid1(VALU_DEP_3)
	v_cndmask_b32_e64 v15, v25, v15, s0
	v_cndmask_b32_e32 v18, v22, v21, vcc_lo
	v_add_co_u32 v21, vcc_lo, v2, 1
	v_add_co_ci_u32_e32 v22, vcc_lo, 0, v17, vcc_lo
	v_cmp_ne_u32_e32 vcc_lo, 0, v18
	s_delay_alu instid0(VALU_DEP_2) | instskip(NEXT) | instid1(VALU_DEP_4)
	v_cndmask_b32_e32 v16, v22, v20, vcc_lo
	v_cndmask_b32_e32 v18, v21, v19, vcc_lo
	v_cmp_ne_u32_e32 vcc_lo, 0, v15
	v_xor_b32_e32 v19, s92, v24
	s_delay_alu instid0(VALU_DEP_3) | instskip(NEXT) | instid1(VALU_DEP_1)
	v_dual_cndmask_b32 v2, v2, v18 :: v_dual_cndmask_b32 v15, v17, v16
                                        ; implicit-def: $vgpr17
	v_xor_b32_e32 v2, v2, v19
	s_delay_alu instid0(VALU_DEP_2) | instskip(NEXT) | instid1(VALU_DEP_2)
	v_xor_b32_e32 v16, v15, v19
	v_sub_co_u32 v15, vcc_lo, v2, v19
	s_delay_alu instid0(VALU_DEP_2)
	v_sub_co_ci_u32_e32 v16, vcc_lo, v16, v19, vcc_lo
.LBB35_51:                              ;   in Loop: Header=BB35_3 Depth=1
	s_and_not1_saveexec_b32 s0, s91
	s_cbranch_execz .LBB35_53
; %bb.52:                               ;   in Loop: Header=BB35_3 Depth=1
	v_rcp_iflag_f32_e32 v2, v23
	s_sub_i32 s91, 0, s54
	s_waitcnt_depctr 0xfff
	v_mul_f32_e32 v2, 0x4f7ffffe, v2
	s_delay_alu instid0(VALU_DEP_1) | instskip(NEXT) | instid1(VALU_DEP_1)
	v_cvt_u32_f32_e32 v2, v2
	v_mul_lo_u32 v15, s91, v2
	s_delay_alu instid0(VALU_DEP_1) | instskip(NEXT) | instid1(VALU_DEP_1)
	v_mul_hi_u32 v15, v2, v15
	v_add_nc_u32_e32 v2, v2, v15
	s_delay_alu instid0(VALU_DEP_1) | instskip(NEXT) | instid1(VALU_DEP_1)
	v_mul_hi_u32 v2, v17, v2
	v_mul_lo_u32 v15, v2, s54
	v_add_nc_u32_e32 v16, 1, v2
	s_delay_alu instid0(VALU_DEP_2) | instskip(NEXT) | instid1(VALU_DEP_1)
	v_sub_nc_u32_e32 v15, v17, v15
	v_subrev_nc_u32_e32 v17, s54, v15
	v_cmp_le_u32_e32 vcc_lo, s54, v15
	s_delay_alu instid0(VALU_DEP_2) | instskip(NEXT) | instid1(VALU_DEP_1)
	v_dual_cndmask_b32 v15, v15, v17 :: v_dual_cndmask_b32 v2, v2, v16
	v_cmp_le_u32_e32 vcc_lo, s54, v15
	s_delay_alu instid0(VALU_DEP_2) | instskip(NEXT) | instid1(VALU_DEP_1)
	v_add_nc_u32_e32 v16, 1, v2
	v_dual_cndmask_b32 v15, v2, v16 :: v_dual_mov_b32 v16, v1
.LBB35_53:                              ;   in Loop: Header=BB35_3 Depth=1
	s_or_b32 exec_lo, exec_lo, s0
	s_delay_alu instid0(VALU_DEP_1) | instskip(NEXT) | instid1(VALU_DEP_2)
	v_mul_lo_u32 v2, v16, s54
	v_mul_lo_u32 v19, v15, s55
	v_mad_u64_u32 v[17:18], null, v15, s54, 0
	v_mul_lo_u32 v20, v16, s24
	v_mul_lo_u32 v21, v15, s25
	s_mov_b32 s0, exec_lo
	s_delay_alu instid0(VALU_DEP_3) | instskip(NEXT) | instid1(VALU_DEP_4)
	v_add3_u32 v2, v18, v19, v2
	v_sub_co_u32 v5, vcc_lo, v5, v17
	v_mad_u64_u32 v[16:17], null, v15, s24, 0
	s_delay_alu instid0(VALU_DEP_3) | instskip(NEXT) | instid1(VALU_DEP_3)
	v_sub_co_ci_u32_e32 v2, vcc_lo, v6, v2, vcc_lo
	v_add_co_u32 v5, vcc_lo, v3, v5
	s_delay_alu instid0(VALU_DEP_2) | instskip(SKIP_2) | instid1(VALU_DEP_4)
	v_add_co_ci_u32_e32 v2, vcc_lo, v4, v2, vcc_lo
	v_add_co_u32 v15, vcc_lo, v13, 3
	v_add_co_ci_u32_e32 v6, vcc_lo, 0, v14, vcc_lo
	v_mul_lo_u32 v22, v5, s27
	s_delay_alu instid0(VALU_DEP_4)
	v_mul_lo_u32 v2, v2, s26
	v_mad_u64_u32 v[18:19], null, v5, s26, 0
	v_mul_lo_u32 v24, s5, v15
	v_mul_lo_u32 v25, s4, v6
	v_mad_u64_u32 v[5:6], null, s4, v15, 0
	v_add3_u32 v17, v17, v21, v20
	v_add3_u32 v19, v19, v22, v2
	s_delay_alu instid0(VALU_DEP_2) | instskip(NEXT) | instid1(VALU_DEP_4)
	v_lshlrev_b64 v[20:21], 3, v[16:17]
	v_add3_u32 v6, v6, v25, v24
	v_add_co_u32 v15, vcc_lo, v3, v5
	s_delay_alu instid0(VALU_DEP_4) | instskip(NEXT) | instid1(VALU_DEP_3)
	v_lshlrev_b64 v[17:18], 3, v[18:19]
	v_add_co_ci_u32_e32 v16, vcc_lo, v4, v6, vcc_lo
	v_add_co_u32 v19, vcc_lo, s52, v20
	v_add_co_ci_u32_e32 v20, vcc_lo, s53, v21, vcc_lo
	s_delay_alu instid0(VALU_DEP_3) | instskip(NEXT) | instid1(VALU_DEP_3)
	v_or_b32_e32 v2, s55, v16
	v_add_co_u32 v17, vcc_lo, v19, v17
	s_delay_alu instid0(VALU_DEP_3)
	v_add_co_ci_u32_e32 v18, vcc_lo, v20, v18, vcc_lo
	global_store_b64 v[17:18], v[9:10], off
                                        ; implicit-def: $vgpr9_vgpr10
	v_cmpx_ne_u64_e32 0, v[1:2]
	s_xor_b32 s91, exec_lo, s0
	s_cbranch_execz .LBB35_55
; %bb.54:                               ;   in Loop: Header=BB35_3 Depth=1
	s_ashr_i32 s92, s55, 31
	s_delay_alu instid0(SALU_CYCLE_1) | instskip(SKIP_2) | instid1(SALU_CYCLE_1)
	s_add_u32 s94, s54, s92
	s_mov_b32 s93, s92
	s_addc_u32 s95, s55, s92
	s_xor_b64 s[94:95], s[94:95], s[92:93]
	s_delay_alu instid0(SALU_CYCLE_1) | instskip(SKIP_3) | instid1(VALU_DEP_1)
	v_cvt_f32_u32_e32 v2, s94
	v_cvt_f32_u32_e32 v9, s95
	s_sub_u32 s0, 0, s94
	s_subb_u32 s93, 0, s95
	v_fmac_f32_e32 v2, 0x4f800000, v9
	s_delay_alu instid0(VALU_DEP_1) | instskip(SKIP_2) | instid1(VALU_DEP_1)
	v_rcp_f32_e32 v2, v2
	s_waitcnt_depctr 0xfff
	v_mul_f32_e32 v2, 0x5f7ffffc, v2
	v_mul_f32_e32 v9, 0x2f800000, v2
	s_delay_alu instid0(VALU_DEP_1) | instskip(NEXT) | instid1(VALU_DEP_1)
	v_trunc_f32_e32 v9, v9
	v_fmac_f32_e32 v2, 0xcf800000, v9
	v_cvt_u32_f32_e32 v9, v9
	s_delay_alu instid0(VALU_DEP_2) | instskip(NEXT) | instid1(VALU_DEP_2)
	v_cvt_u32_f32_e32 v2, v2
	v_mul_lo_u32 v10, s0, v9
	s_delay_alu instid0(VALU_DEP_2) | instskip(SKIP_1) | instid1(VALU_DEP_2)
	v_mul_hi_u32 v17, s0, v2
	v_mul_lo_u32 v18, s93, v2
	v_add_nc_u32_e32 v10, v17, v10
	v_mul_lo_u32 v17, s0, v2
	s_delay_alu instid0(VALU_DEP_2) | instskip(NEXT) | instid1(VALU_DEP_2)
	v_add_nc_u32_e32 v10, v10, v18
	v_mul_hi_u32 v18, v2, v17
	s_delay_alu instid0(VALU_DEP_2)
	v_mul_lo_u32 v19, v2, v10
	v_mul_hi_u32 v20, v2, v10
	v_mul_hi_u32 v21, v9, v17
	v_mul_lo_u32 v17, v9, v17
	v_mul_hi_u32 v22, v9, v10
	v_mul_lo_u32 v10, v9, v10
	v_add_co_u32 v18, vcc_lo, v18, v19
	v_add_co_ci_u32_e32 v19, vcc_lo, 0, v20, vcc_lo
	s_delay_alu instid0(VALU_DEP_2) | instskip(NEXT) | instid1(VALU_DEP_2)
	v_add_co_u32 v17, vcc_lo, v18, v17
	v_add_co_ci_u32_e32 v17, vcc_lo, v19, v21, vcc_lo
	v_add_co_ci_u32_e32 v18, vcc_lo, 0, v22, vcc_lo
	v_ashrrev_i32_e32 v21, 31, v16
	s_delay_alu instid0(VALU_DEP_3) | instskip(NEXT) | instid1(VALU_DEP_3)
	v_add_co_u32 v10, vcc_lo, v17, v10
	v_add_co_ci_u32_e32 v17, vcc_lo, 0, v18, vcc_lo
	s_delay_alu instid0(VALU_DEP_2) | instskip(NEXT) | instid1(VALU_DEP_2)
	v_add_co_u32 v2, vcc_lo, v2, v10
	v_add_co_ci_u32_e32 v9, vcc_lo, v9, v17, vcc_lo
	s_delay_alu instid0(VALU_DEP_2) | instskip(SKIP_1) | instid1(VALU_DEP_3)
	v_mul_hi_u32 v10, s0, v2
	v_mul_lo_u32 v18, s93, v2
	v_mul_lo_u32 v17, s0, v9
	s_delay_alu instid0(VALU_DEP_1) | instskip(SKIP_1) | instid1(VALU_DEP_2)
	v_add_nc_u32_e32 v10, v10, v17
	v_mul_lo_u32 v17, s0, v2
	v_add_nc_u32_e32 v10, v10, v18
	s_delay_alu instid0(VALU_DEP_2) | instskip(NEXT) | instid1(VALU_DEP_2)
	v_mul_hi_u32 v18, v2, v17
	v_mul_lo_u32 v19, v2, v10
	v_mul_hi_u32 v20, v2, v10
	v_mul_hi_u32 v22, v9, v17
	v_mul_lo_u32 v17, v9, v17
	v_mul_hi_u32 v24, v9, v10
	v_mul_lo_u32 v10, v9, v10
	v_add_co_u32 v18, vcc_lo, v18, v19
	v_add_co_ci_u32_e32 v19, vcc_lo, 0, v20, vcc_lo
	s_delay_alu instid0(VALU_DEP_2) | instskip(NEXT) | instid1(VALU_DEP_2)
	v_add_co_u32 v17, vcc_lo, v18, v17
	v_add_co_ci_u32_e32 v17, vcc_lo, v19, v22, vcc_lo
	v_add_co_ci_u32_e32 v18, vcc_lo, 0, v24, vcc_lo
	v_add_co_u32 v15, vcc_lo, v15, v21
	v_add_co_ci_u32_e32 v16, vcc_lo, v16, v21, vcc_lo
	s_delay_alu instid0(VALU_DEP_4) | instskip(NEXT) | instid1(VALU_DEP_4)
	v_add_co_u32 v10, vcc_lo, v17, v10
	v_add_co_ci_u32_e32 v17, vcc_lo, 0, v18, vcc_lo
	s_delay_alu instid0(VALU_DEP_4) | instskip(NEXT) | instid1(VALU_DEP_3)
	v_xor_b32_e32 v19, v15, v21
	v_add_co_u32 v2, vcc_lo, v2, v10
	s_delay_alu instid0(VALU_DEP_3) | instskip(SKIP_1) | instid1(VALU_DEP_3)
	v_add_co_ci_u32_e32 v20, vcc_lo, v9, v17, vcc_lo
	v_xor_b32_e32 v22, v16, v21
	v_mul_hi_u32 v24, v19, v2
	s_delay_alu instid0(VALU_DEP_3) | instskip(NEXT) | instid1(VALU_DEP_3)
	v_mad_u64_u32 v[9:10], null, v19, v20, 0
	v_mad_u64_u32 v[15:16], null, v22, v2, 0
	;; [unrolled: 1-line block ×3, first 2 shown]
	s_delay_alu instid0(VALU_DEP_3) | instskip(NEXT) | instid1(VALU_DEP_4)
	v_add_co_u32 v2, vcc_lo, v24, v9
	v_add_co_ci_u32_e32 v9, vcc_lo, 0, v10, vcc_lo
	s_delay_alu instid0(VALU_DEP_2) | instskip(NEXT) | instid1(VALU_DEP_2)
	v_add_co_u32 v2, vcc_lo, v2, v15
	v_add_co_ci_u32_e32 v2, vcc_lo, v9, v16, vcc_lo
	v_add_co_ci_u32_e32 v9, vcc_lo, 0, v18, vcc_lo
	s_delay_alu instid0(VALU_DEP_2) | instskip(NEXT) | instid1(VALU_DEP_2)
	v_add_co_u32 v2, vcc_lo, v2, v17
	v_add_co_ci_u32_e32 v15, vcc_lo, 0, v9, vcc_lo
	s_delay_alu instid0(VALU_DEP_2) | instskip(SKIP_1) | instid1(VALU_DEP_3)
	v_mul_lo_u32 v16, s95, v2
	v_mad_u64_u32 v[9:10], null, s94, v2, 0
	v_mul_lo_u32 v17, s94, v15
	s_delay_alu instid0(VALU_DEP_2) | instskip(NEXT) | instid1(VALU_DEP_2)
	v_sub_co_u32 v9, vcc_lo, v19, v9
	v_add3_u32 v10, v10, v17, v16
	s_delay_alu instid0(VALU_DEP_1) | instskip(NEXT) | instid1(VALU_DEP_1)
	v_sub_nc_u32_e32 v16, v22, v10
	v_subrev_co_ci_u32_e64 v16, s0, s95, v16, vcc_lo
	v_add_co_u32 v17, s0, v2, 2
	s_delay_alu instid0(VALU_DEP_1) | instskip(SKIP_3) | instid1(VALU_DEP_3)
	v_add_co_ci_u32_e64 v18, s0, 0, v15, s0
	v_sub_co_u32 v19, s0, v9, s94
	v_sub_co_ci_u32_e32 v10, vcc_lo, v22, v10, vcc_lo
	v_subrev_co_ci_u32_e64 v16, s0, 0, v16, s0
	v_cmp_le_u32_e32 vcc_lo, s94, v19
	s_delay_alu instid0(VALU_DEP_3) | instskip(SKIP_1) | instid1(VALU_DEP_4)
	v_cmp_eq_u32_e64 s0, s95, v10
	v_cndmask_b32_e64 v19, 0, -1, vcc_lo
	v_cmp_le_u32_e32 vcc_lo, s95, v16
	v_cndmask_b32_e64 v20, 0, -1, vcc_lo
	v_cmp_le_u32_e32 vcc_lo, s94, v9
	;; [unrolled: 2-line block ×3, first 2 shown]
	v_cndmask_b32_e64 v22, 0, -1, vcc_lo
	v_cmp_eq_u32_e32 vcc_lo, s95, v16
	s_delay_alu instid0(VALU_DEP_2) | instskip(SKIP_3) | instid1(VALU_DEP_3)
	v_cndmask_b32_e64 v9, v22, v9, s0
	v_cndmask_b32_e32 v16, v20, v19, vcc_lo
	v_add_co_u32 v19, vcc_lo, v2, 1
	v_add_co_ci_u32_e32 v20, vcc_lo, 0, v15, vcc_lo
	v_cmp_ne_u32_e32 vcc_lo, 0, v16
	s_delay_alu instid0(VALU_DEP_2) | instskip(NEXT) | instid1(VALU_DEP_4)
	v_cndmask_b32_e32 v10, v20, v18, vcc_lo
	v_cndmask_b32_e32 v16, v19, v17, vcc_lo
	v_cmp_ne_u32_e32 vcc_lo, 0, v9
	v_xor_b32_e32 v17, s92, v21
	s_delay_alu instid0(VALU_DEP_3) | instskip(NEXT) | instid1(VALU_DEP_1)
	v_dual_cndmask_b32 v2, v2, v16 :: v_dual_cndmask_b32 v9, v15, v10
                                        ; implicit-def: $vgpr15
	v_xor_b32_e32 v2, v2, v17
	s_delay_alu instid0(VALU_DEP_2) | instskip(NEXT) | instid1(VALU_DEP_2)
	v_xor_b32_e32 v10, v9, v17
	v_sub_co_u32 v9, vcc_lo, v2, v17
	s_delay_alu instid0(VALU_DEP_2)
	v_sub_co_ci_u32_e32 v10, vcc_lo, v10, v17, vcc_lo
.LBB35_55:                              ;   in Loop: Header=BB35_3 Depth=1
	s_and_not1_saveexec_b32 s0, s91
	s_cbranch_execz .LBB35_57
; %bb.56:                               ;   in Loop: Header=BB35_3 Depth=1
	v_rcp_iflag_f32_e32 v2, v23
	s_sub_i32 s91, 0, s54
	s_waitcnt_depctr 0xfff
	v_mul_f32_e32 v2, 0x4f7ffffe, v2
	s_delay_alu instid0(VALU_DEP_1) | instskip(NEXT) | instid1(VALU_DEP_1)
	v_cvt_u32_f32_e32 v2, v2
	v_mul_lo_u32 v9, s91, v2
	s_delay_alu instid0(VALU_DEP_1) | instskip(NEXT) | instid1(VALU_DEP_1)
	v_mul_hi_u32 v9, v2, v9
	v_add_nc_u32_e32 v2, v2, v9
	s_delay_alu instid0(VALU_DEP_1) | instskip(NEXT) | instid1(VALU_DEP_1)
	v_mul_hi_u32 v2, v15, v2
	v_mul_lo_u32 v9, v2, s54
	v_add_nc_u32_e32 v10, 1, v2
	s_delay_alu instid0(VALU_DEP_2) | instskip(NEXT) | instid1(VALU_DEP_1)
	v_sub_nc_u32_e32 v9, v15, v9
	v_subrev_nc_u32_e32 v15, s54, v9
	v_cmp_le_u32_e32 vcc_lo, s54, v9
	s_delay_alu instid0(VALU_DEP_2) | instskip(NEXT) | instid1(VALU_DEP_1)
	v_dual_cndmask_b32 v9, v9, v15 :: v_dual_cndmask_b32 v2, v2, v10
	v_cmp_le_u32_e32 vcc_lo, s54, v9
	s_delay_alu instid0(VALU_DEP_2) | instskip(NEXT) | instid1(VALU_DEP_1)
	v_add_nc_u32_e32 v10, 1, v2
	v_dual_cndmask_b32 v9, v2, v10 :: v_dual_mov_b32 v10, v1
.LBB35_57:                              ;   in Loop: Header=BB35_3 Depth=1
	s_or_b32 exec_lo, exec_lo, s0
	s_delay_alu instid0(VALU_DEP_1) | instskip(NEXT) | instid1(VALU_DEP_2)
	v_mul_lo_u32 v2, v10, s54
	v_mul_lo_u32 v17, v9, s55
	v_mad_u64_u32 v[15:16], null, v9, s54, 0
	v_mul_lo_u32 v18, v10, s24
	s_mov_b32 s0, exec_lo
	s_delay_alu instid0(VALU_DEP_2) | instskip(NEXT) | instid1(VALU_DEP_3)
	v_add3_u32 v2, v16, v17, v2
	v_sub_co_u32 v5, vcc_lo, v5, v15
	v_mul_lo_u32 v17, v9, s25
	v_mad_u64_u32 v[15:16], null, v9, s24, 0
	s_delay_alu instid0(VALU_DEP_4) | instskip(NEXT) | instid1(VALU_DEP_4)
	v_sub_co_ci_u32_e32 v2, vcc_lo, v6, v2, vcc_lo
	v_add_co_u32 v5, vcc_lo, v3, v5
	s_delay_alu instid0(VALU_DEP_2) | instskip(SKIP_2) | instid1(VALU_DEP_4)
	v_add_co_ci_u32_e32 v2, vcc_lo, v4, v2, vcc_lo
	v_add_co_u32 v13, vcc_lo, v13, 4
	v_add_co_ci_u32_e32 v6, vcc_lo, 0, v14, vcc_lo
	v_mul_lo_u32 v14, v5, s27
	s_delay_alu instid0(VALU_DEP_4)
	v_mul_lo_u32 v2, v2, s26
	v_mad_u64_u32 v[9:10], null, v5, s26, 0
	v_mul_lo_u32 v19, s5, v13
	v_mul_lo_u32 v20, s4, v6
	v_mad_u64_u32 v[5:6], null, s4, v13, 0
	v_add3_u32 v16, v16, v17, v18
	v_add3_u32 v10, v10, v14, v2
	s_delay_alu instid0(VALU_DEP_2) | instskip(NEXT) | instid1(VALU_DEP_4)
	v_lshlrev_b64 v[15:16], 3, v[15:16]
	v_add3_u32 v6, v6, v20, v19
	v_add_co_u32 v13, vcc_lo, v3, v5
	s_delay_alu instid0(VALU_DEP_4) | instskip(NEXT) | instid1(VALU_DEP_3)
	v_lshlrev_b64 v[9:10], 3, v[9:10]
	v_add_co_ci_u32_e32 v14, vcc_lo, v4, v6, vcc_lo
	v_add_co_u32 v15, vcc_lo, s52, v15
	v_add_co_ci_u32_e32 v16, vcc_lo, s53, v16, vcc_lo
	s_delay_alu instid0(VALU_DEP_3) | instskip(NEXT) | instid1(VALU_DEP_3)
	v_or_b32_e32 v2, s55, v14
	v_add_co_u32 v9, vcc_lo, v15, v9
	s_delay_alu instid0(VALU_DEP_3)
	v_add_co_ci_u32_e32 v10, vcc_lo, v16, v10, vcc_lo
	global_store_b64 v[9:10], v[11:12], off
                                        ; implicit-def: $vgpr9_vgpr10
	v_cmpx_ne_u64_e32 0, v[1:2]
	s_xor_b32 s91, exec_lo, s0
	s_cbranch_execz .LBB35_59
; %bb.58:                               ;   in Loop: Header=BB35_3 Depth=1
	s_ashr_i32 s92, s55, 31
                                        ; implicit-def: $vgpr23
	s_delay_alu instid0(SALU_CYCLE_1) | instskip(SKIP_2) | instid1(SALU_CYCLE_1)
	s_add_u32 s94, s54, s92
	s_mov_b32 s93, s92
	s_addc_u32 s95, s55, s92
	s_xor_b64 s[94:95], s[94:95], s[92:93]
	s_delay_alu instid0(SALU_CYCLE_1) | instskip(SKIP_3) | instid1(VALU_DEP_1)
	v_cvt_f32_u32_e32 v2, s94
	v_cvt_f32_u32_e32 v9, s95
	s_sub_u32 s0, 0, s94
	s_subb_u32 s93, 0, s95
	v_fmac_f32_e32 v2, 0x4f800000, v9
	s_delay_alu instid0(VALU_DEP_1) | instskip(SKIP_2) | instid1(VALU_DEP_1)
	v_rcp_f32_e32 v2, v2
	s_waitcnt_depctr 0xfff
	v_mul_f32_e32 v2, 0x5f7ffffc, v2
	v_mul_f32_e32 v9, 0x2f800000, v2
	s_delay_alu instid0(VALU_DEP_1) | instskip(NEXT) | instid1(VALU_DEP_1)
	v_trunc_f32_e32 v9, v9
	v_fmac_f32_e32 v2, 0xcf800000, v9
	v_cvt_u32_f32_e32 v9, v9
	s_delay_alu instid0(VALU_DEP_2) | instskip(NEXT) | instid1(VALU_DEP_2)
	v_cvt_u32_f32_e32 v2, v2
	v_mul_lo_u32 v10, s0, v9
	s_delay_alu instid0(VALU_DEP_2) | instskip(SKIP_1) | instid1(VALU_DEP_2)
	v_mul_hi_u32 v11, s0, v2
	v_mul_lo_u32 v12, s93, v2
	v_add_nc_u32_e32 v10, v11, v10
	v_mul_lo_u32 v11, s0, v2
	s_delay_alu instid0(VALU_DEP_2) | instskip(NEXT) | instid1(VALU_DEP_2)
	v_add_nc_u32_e32 v10, v10, v12
	v_mul_hi_u32 v12, v2, v11
	s_delay_alu instid0(VALU_DEP_2)
	v_mul_lo_u32 v15, v2, v10
	v_mul_hi_u32 v16, v2, v10
	v_mul_hi_u32 v17, v9, v11
	v_mul_lo_u32 v11, v9, v11
	v_mul_hi_u32 v18, v9, v10
	v_mul_lo_u32 v10, v9, v10
	v_add_co_u32 v12, vcc_lo, v12, v15
	v_add_co_ci_u32_e32 v15, vcc_lo, 0, v16, vcc_lo
	s_delay_alu instid0(VALU_DEP_2) | instskip(NEXT) | instid1(VALU_DEP_2)
	v_add_co_u32 v11, vcc_lo, v12, v11
	v_add_co_ci_u32_e32 v11, vcc_lo, v15, v17, vcc_lo
	v_add_co_ci_u32_e32 v12, vcc_lo, 0, v18, vcc_lo
	v_ashrrev_i32_e32 v17, 31, v14
	s_delay_alu instid0(VALU_DEP_3) | instskip(NEXT) | instid1(VALU_DEP_3)
	v_add_co_u32 v10, vcc_lo, v11, v10
	v_add_co_ci_u32_e32 v11, vcc_lo, 0, v12, vcc_lo
	s_delay_alu instid0(VALU_DEP_2) | instskip(NEXT) | instid1(VALU_DEP_2)
	v_add_co_u32 v2, vcc_lo, v2, v10
	v_add_co_ci_u32_e32 v9, vcc_lo, v9, v11, vcc_lo
	s_delay_alu instid0(VALU_DEP_2) | instskip(SKIP_1) | instid1(VALU_DEP_3)
	v_mul_hi_u32 v10, s0, v2
	v_mul_lo_u32 v12, s93, v2
	v_mul_lo_u32 v11, s0, v9
	s_delay_alu instid0(VALU_DEP_1) | instskip(SKIP_1) | instid1(VALU_DEP_2)
	v_add_nc_u32_e32 v10, v10, v11
	v_mul_lo_u32 v11, s0, v2
	v_add_nc_u32_e32 v10, v10, v12
	s_delay_alu instid0(VALU_DEP_2) | instskip(NEXT) | instid1(VALU_DEP_2)
	v_mul_hi_u32 v12, v2, v11
	v_mul_lo_u32 v15, v2, v10
	v_mul_hi_u32 v16, v2, v10
	v_mul_hi_u32 v18, v9, v11
	v_mul_lo_u32 v11, v9, v11
	v_mul_hi_u32 v19, v9, v10
	v_mul_lo_u32 v10, v9, v10
	v_add_co_u32 v12, vcc_lo, v12, v15
	v_add_co_ci_u32_e32 v15, vcc_lo, 0, v16, vcc_lo
	s_delay_alu instid0(VALU_DEP_2) | instskip(NEXT) | instid1(VALU_DEP_2)
	v_add_co_u32 v11, vcc_lo, v12, v11
	v_add_co_ci_u32_e32 v11, vcc_lo, v15, v18, vcc_lo
	v_add_co_ci_u32_e32 v12, vcc_lo, 0, v19, vcc_lo
	v_add_co_u32 v13, vcc_lo, v13, v17
	v_add_co_ci_u32_e32 v14, vcc_lo, v14, v17, vcc_lo
	s_delay_alu instid0(VALU_DEP_4) | instskip(NEXT) | instid1(VALU_DEP_4)
	v_add_co_u32 v10, vcc_lo, v11, v10
	v_add_co_ci_u32_e32 v11, vcc_lo, 0, v12, vcc_lo
	s_delay_alu instid0(VALU_DEP_4) | instskip(NEXT) | instid1(VALU_DEP_3)
	v_xor_b32_e32 v15, v13, v17
	v_add_co_u32 v2, vcc_lo, v2, v10
	s_delay_alu instid0(VALU_DEP_3) | instskip(SKIP_1) | instid1(VALU_DEP_3)
	v_add_co_ci_u32_e32 v16, vcc_lo, v9, v11, vcc_lo
	v_xor_b32_e32 v18, v14, v17
	v_mul_hi_u32 v19, v15, v2
	s_delay_alu instid0(VALU_DEP_3) | instskip(NEXT) | instid1(VALU_DEP_3)
	v_mad_u64_u32 v[9:10], null, v15, v16, 0
	v_mad_u64_u32 v[11:12], null, v18, v2, 0
	;; [unrolled: 1-line block ×3, first 2 shown]
	s_delay_alu instid0(VALU_DEP_3) | instskip(NEXT) | instid1(VALU_DEP_4)
	v_add_co_u32 v2, vcc_lo, v19, v9
	v_add_co_ci_u32_e32 v9, vcc_lo, 0, v10, vcc_lo
	s_delay_alu instid0(VALU_DEP_2) | instskip(NEXT) | instid1(VALU_DEP_2)
	v_add_co_u32 v2, vcc_lo, v2, v11
	v_add_co_ci_u32_e32 v2, vcc_lo, v9, v12, vcc_lo
	v_add_co_ci_u32_e32 v9, vcc_lo, 0, v14, vcc_lo
	s_delay_alu instid0(VALU_DEP_2) | instskip(NEXT) | instid1(VALU_DEP_2)
	v_add_co_u32 v2, vcc_lo, v2, v13
	v_add_co_ci_u32_e32 v11, vcc_lo, 0, v9, vcc_lo
	s_delay_alu instid0(VALU_DEP_2) | instskip(SKIP_1) | instid1(VALU_DEP_3)
	v_mul_lo_u32 v12, s95, v2
	v_mad_u64_u32 v[9:10], null, s94, v2, 0
	v_mul_lo_u32 v13, s94, v11
	s_delay_alu instid0(VALU_DEP_2) | instskip(NEXT) | instid1(VALU_DEP_2)
	v_sub_co_u32 v9, vcc_lo, v15, v9
	v_add3_u32 v10, v10, v13, v12
	s_delay_alu instid0(VALU_DEP_1) | instskip(NEXT) | instid1(VALU_DEP_1)
	v_sub_nc_u32_e32 v12, v18, v10
	v_subrev_co_ci_u32_e64 v12, s0, s95, v12, vcc_lo
	v_add_co_u32 v13, s0, v2, 2
	s_delay_alu instid0(VALU_DEP_1) | instskip(SKIP_3) | instid1(VALU_DEP_3)
	v_add_co_ci_u32_e64 v14, s0, 0, v11, s0
	v_sub_co_u32 v15, s0, v9, s94
	v_sub_co_ci_u32_e32 v10, vcc_lo, v18, v10, vcc_lo
	v_subrev_co_ci_u32_e64 v12, s0, 0, v12, s0
	v_cmp_le_u32_e32 vcc_lo, s94, v15
	s_delay_alu instid0(VALU_DEP_3) | instskip(SKIP_1) | instid1(VALU_DEP_4)
	v_cmp_eq_u32_e64 s0, s95, v10
	v_cndmask_b32_e64 v15, 0, -1, vcc_lo
	v_cmp_le_u32_e32 vcc_lo, s95, v12
	v_cndmask_b32_e64 v16, 0, -1, vcc_lo
	v_cmp_le_u32_e32 vcc_lo, s94, v9
	;; [unrolled: 2-line block ×3, first 2 shown]
	v_cndmask_b32_e64 v18, 0, -1, vcc_lo
	v_cmp_eq_u32_e32 vcc_lo, s95, v12
	s_delay_alu instid0(VALU_DEP_2) | instskip(SKIP_3) | instid1(VALU_DEP_3)
	v_cndmask_b32_e64 v9, v18, v9, s0
	v_cndmask_b32_e32 v12, v16, v15, vcc_lo
	v_add_co_u32 v15, vcc_lo, v2, 1
	v_add_co_ci_u32_e32 v16, vcc_lo, 0, v11, vcc_lo
	v_cmp_ne_u32_e32 vcc_lo, 0, v12
	s_delay_alu instid0(VALU_DEP_2) | instskip(NEXT) | instid1(VALU_DEP_4)
	v_cndmask_b32_e32 v10, v16, v14, vcc_lo
	v_cndmask_b32_e32 v12, v15, v13, vcc_lo
	v_cmp_ne_u32_e32 vcc_lo, 0, v9
	v_xor_b32_e32 v13, s92, v17
	s_delay_alu instid0(VALU_DEP_3) | instskip(NEXT) | instid1(VALU_DEP_1)
	v_dual_cndmask_b32 v2, v2, v12 :: v_dual_cndmask_b32 v9, v11, v10
	v_xor_b32_e32 v2, v2, v13
	s_delay_alu instid0(VALU_DEP_2) | instskip(NEXT) | instid1(VALU_DEP_2)
	v_xor_b32_e32 v10, v9, v13
	v_sub_co_u32 v9, vcc_lo, v2, v13
	s_delay_alu instid0(VALU_DEP_2)
	v_sub_co_ci_u32_e32 v10, vcc_lo, v10, v13, vcc_lo
                                        ; implicit-def: $vgpr13
.LBB35_59:                              ;   in Loop: Header=BB35_3 Depth=1
	s_and_not1_saveexec_b32 s0, s91
	s_cbranch_execz .LBB35_2
; %bb.60:                               ;   in Loop: Header=BB35_3 Depth=1
	v_rcp_iflag_f32_e32 v2, v23
	s_sub_i32 s91, 0, s54
	s_waitcnt_depctr 0xfff
	v_mul_f32_e32 v2, 0x4f7ffffe, v2
	s_delay_alu instid0(VALU_DEP_1) | instskip(NEXT) | instid1(VALU_DEP_1)
	v_cvt_u32_f32_e32 v2, v2
	v_mul_lo_u32 v9, s91, v2
	s_delay_alu instid0(VALU_DEP_1) | instskip(NEXT) | instid1(VALU_DEP_1)
	v_mul_hi_u32 v9, v2, v9
	v_add_nc_u32_e32 v2, v2, v9
	s_delay_alu instid0(VALU_DEP_1) | instskip(NEXT) | instid1(VALU_DEP_1)
	v_mul_hi_u32 v2, v13, v2
	v_mul_lo_u32 v9, v2, s54
	v_add_nc_u32_e32 v10, 1, v2
	s_delay_alu instid0(VALU_DEP_2) | instskip(NEXT) | instid1(VALU_DEP_1)
	v_sub_nc_u32_e32 v9, v13, v9
	v_subrev_nc_u32_e32 v11, s54, v9
	v_cmp_le_u32_e32 vcc_lo, s54, v9
	s_delay_alu instid0(VALU_DEP_2) | instskip(NEXT) | instid1(VALU_DEP_1)
	v_dual_cndmask_b32 v9, v9, v11 :: v_dual_cndmask_b32 v2, v2, v10
	v_cmp_le_u32_e32 vcc_lo, s54, v9
	s_delay_alu instid0(VALU_DEP_2) | instskip(NEXT) | instid1(VALU_DEP_1)
	v_add_nc_u32_e32 v10, 1, v2
	v_dual_cndmask_b32 v9, v2, v10 :: v_dual_mov_b32 v10, v1
	s_branch .LBB35_2
.LBB35_61:
	s_nop 0
	s_sendmsg sendmsg(MSG_DEALLOC_VGPRS)
	s_endpgm
	.section	.rodata,"a",@progbits
	.p2align	6, 0x0
	.amdhsa_kernel _ZN2at6native12_GLOBAL__N_16kernel16gru_cell_forwardIddlLi2EEEvNS_4cuda6detail10TensorInfoIT_T1_EES9_S9_S9_S9_S9_S9_S8_S8_
		.amdhsa_group_segment_fixed_size 0
		.amdhsa_private_segment_fixed_size 0
		.amdhsa_kernarg_size 3184
		.amdhsa_user_sgpr_count 15
		.amdhsa_user_sgpr_dispatch_ptr 0
		.amdhsa_user_sgpr_queue_ptr 0
		.amdhsa_user_sgpr_kernarg_segment_ptr 1
		.amdhsa_user_sgpr_dispatch_id 0
		.amdhsa_user_sgpr_private_segment_size 0
		.amdhsa_wavefront_size32 1
		.amdhsa_uses_dynamic_stack 0
		.amdhsa_enable_private_segment 0
		.amdhsa_system_sgpr_workgroup_id_x 1
		.amdhsa_system_sgpr_workgroup_id_y 0
		.amdhsa_system_sgpr_workgroup_id_z 0
		.amdhsa_system_sgpr_workgroup_info 0
		.amdhsa_system_vgpr_workitem_id 0
		.amdhsa_next_free_vgpr 47
		.amdhsa_next_free_sgpr 104
		.amdhsa_reserve_vcc 1
		.amdhsa_float_round_mode_32 0
		.amdhsa_float_round_mode_16_64 0
		.amdhsa_float_denorm_mode_32 3
		.amdhsa_float_denorm_mode_16_64 3
		.amdhsa_dx10_clamp 1
		.amdhsa_ieee_mode 1
		.amdhsa_fp16_overflow 0
		.amdhsa_workgroup_processor_mode 1
		.amdhsa_memory_ordered 1
		.amdhsa_forward_progress 0
		.amdhsa_shared_vgpr_count 0
		.amdhsa_exception_fp_ieee_invalid_op 0
		.amdhsa_exception_fp_denorm_src 0
		.amdhsa_exception_fp_ieee_div_zero 0
		.amdhsa_exception_fp_ieee_overflow 0
		.amdhsa_exception_fp_ieee_underflow 0
		.amdhsa_exception_fp_ieee_inexact 0
		.amdhsa_exception_int_div_zero 0
	.end_amdhsa_kernel
	.section	.text._ZN2at6native12_GLOBAL__N_16kernel16gru_cell_forwardIddlLi2EEEvNS_4cuda6detail10TensorInfoIT_T1_EES9_S9_S9_S9_S9_S9_S8_S8_,"axG",@progbits,_ZN2at6native12_GLOBAL__N_16kernel16gru_cell_forwardIddlLi2EEEvNS_4cuda6detail10TensorInfoIT_T1_EES9_S9_S9_S9_S9_S9_S8_S8_,comdat
.Lfunc_end35:
	.size	_ZN2at6native12_GLOBAL__N_16kernel16gru_cell_forwardIddlLi2EEEvNS_4cuda6detail10TensorInfoIT_T1_EES9_S9_S9_S9_S9_S9_S8_S8_, .Lfunc_end35-_ZN2at6native12_GLOBAL__N_16kernel16gru_cell_forwardIddlLi2EEEvNS_4cuda6detail10TensorInfoIT_T1_EES9_S9_S9_S9_S9_S9_S8_S8_
                                        ; -- End function
	.section	.AMDGPU.csdata,"",@progbits
; Kernel info:
; codeLenInByte = 20148
; NumSgprs: 106
; NumVgprs: 47
; ScratchSize: 0
; MemoryBound: 0
; FloatMode: 240
; IeeeMode: 1
; LDSByteSize: 0 bytes/workgroup (compile time only)
; SGPRBlocks: 13
; VGPRBlocks: 5
; NumSGPRsForWavesPerEU: 106
; NumVGPRsForWavesPerEU: 47
; Occupancy: 16
; WaveLimiterHint : 1
; COMPUTE_PGM_RSRC2:SCRATCH_EN: 0
; COMPUTE_PGM_RSRC2:USER_SGPR: 15
; COMPUTE_PGM_RSRC2:TRAP_HANDLER: 0
; COMPUTE_PGM_RSRC2:TGID_X_EN: 1
; COMPUTE_PGM_RSRC2:TGID_Y_EN: 0
; COMPUTE_PGM_RSRC2:TGID_Z_EN: 0
; COMPUTE_PGM_RSRC2:TIDIG_COMP_CNT: 0
	.section	.text._ZN2at6native12_GLOBAL__N_16kernel16gru_cell_forwardIffiLi1EEEvNS_4cuda6detail10TensorInfoIT_T1_EES9_S9_S9_S9_S9_S9_S8_S8_,"axG",@progbits,_ZN2at6native12_GLOBAL__N_16kernel16gru_cell_forwardIffiLi1EEEvNS_4cuda6detail10TensorInfoIT_T1_EES9_S9_S9_S9_S9_S9_S8_S8_,comdat
	.globl	_ZN2at6native12_GLOBAL__N_16kernel16gru_cell_forwardIffiLi1EEEvNS_4cuda6detail10TensorInfoIT_T1_EES9_S9_S9_S9_S9_S9_S8_S8_ ; -- Begin function _ZN2at6native12_GLOBAL__N_16kernel16gru_cell_forwardIffiLi1EEEvNS_4cuda6detail10TensorInfoIT_T1_EES9_S9_S9_S9_S9_S9_S8_S8_
	.p2align	8
	.type	_ZN2at6native12_GLOBAL__N_16kernel16gru_cell_forwardIffiLi1EEEvNS_4cuda6detail10TensorInfoIT_T1_EES9_S9_S9_S9_S9_S9_S8_S8_,@function
_ZN2at6native12_GLOBAL__N_16kernel16gru_cell_forwardIffiLi1EEEvNS_4cuda6detail10TensorInfoIT_T1_EES9_S9_S9_S9_S9_S9_S8_S8_: ; @_ZN2at6native12_GLOBAL__N_16kernel16gru_cell_forwardIffiLi1EEEvNS_4cuda6detail10TensorInfoIT_T1_EES9_S9_S9_S9_S9_S9_S8_S8_
; %bb.0:
	s_clause 0x1
	s_load_b32 s4, s[0:1], 0x5fc
	s_load_b64 s[2:3], s[0:1], 0x5e8
	s_add_u32 s8, s0, 0x5f0
	s_addc_u32 s9, s1, 0
	s_waitcnt lgkmcnt(0)
	s_and_b32 s25, s4, 0xffff
	s_mov_b32 s4, exec_lo
	v_mad_u64_u32 v[1:2], null, s15, s25, v[0:1]
	s_delay_alu instid0(VALU_DEP_1)
	v_cmpx_gt_i32_e64 s3, v1
	s_cbranch_execz .LBB36_9
; %bb.1:
	s_clause 0x4
	s_load_b64 s[4:5], s[0:1], 0x1b0
	s_load_b32 s18, s[0:1], 0x21c
	s_load_b64 s[6:7], s[0:1], 0x288
	s_load_b32 s19, s[0:1], 0x2f4
	s_load_b32 s30, s[0:1], 0x3cc
	;; [unrolled: 1-line block ×3, first 2 shown]
	s_clause 0x6
	s_load_b32 s31, s[0:1], 0x4a4
	s_load_b64 s[8:9], s[0:1], 0x360
	s_load_b64 s[10:11], s[0:1], 0x438
	;; [unrolled: 1-line block ×3, first 2 shown]
	s_load_b32 s22, s[0:1], 0x6c
	s_load_b64 s[14:15], s[0:1], 0xd8
	s_load_b32 s23, s[0:1], 0x144
	s_mov_b32 s24, 0
	s_mov_b32 s33, 0xbbbac73d
	s_waitcnt lgkmcnt(0)
	s_cmp_lg_u64 s[4:5], 0
	s_cselect_b32 s20, -1, 0
	s_abs_i32 s21, s2
	v_mul_lo_u32 v4, v1, s31
	v_cvt_f32_u32_e32 v0, s21
	s_sub_i32 s16, 0, s21
	s_mul_i32 s25, s26, s25
	s_ashr_i32 s26, s2, 31
	s_lshl_b32 s27, s2, 1
	v_rcp_iflag_f32_e32 v0, v0
	s_lshl_b32 s28, s2, 2
	s_sub_i32 s29, 0, s2
	s_mul_i32 s31, s25, s31
	s_waitcnt_depctr 0xfff
	v_mul_f32_e32 v0, 0x4f7ffffe, v0
	s_delay_alu instid0(VALU_DEP_1) | instskip(NEXT) | instid1(VALU_DEP_1)
	v_cvt_u32_f32_e32 v0, v0
	v_mul_lo_u32 v2, s16, v0
	s_clause 0x1
	s_load_b64 s[16:17], s[0:1], 0x510
	s_load_b32 s1, s[0:1], 0x57c
	s_delay_alu instid0(VALU_DEP_1) | instskip(SKIP_2) | instid1(VALU_DEP_2)
	v_mul_hi_u32 v3, v0, v2
	v_mul_lo_u32 v2, v1, s30
	s_mul_i32 s30, s25, s30
	v_add_nc_u32_e32 v0, v0, v3
	s_branch .LBB36_3
.LBB36_2:                               ;   in Loop: Header=BB36_3 Depth=1
	s_or_b32 exec_lo, exec_lo, s0
	v_add_f32_e32 v10, v10, v11
	s_waitcnt_depctr 0xfff
	v_bfi_b32 v20, 0x7fffffff, v12, v13
	v_dual_add_f32 v10, v10, v14 :: v_dual_lshlrev_b32 v7, 2, v7
	s_delay_alu instid0(VALU_DEP_1) | instskip(NEXT) | instid1(VALU_DEP_1)
	v_dual_sub_f32 v21, v3, v20 :: v_dual_add_f32 v14, v10, v15
	v_cmp_nlt_f32_e32 vcc_lo, 0x42ce8ed0, v14
	v_mul_f32_e32 v10, 0xbfb8aa3b, v14
	s_delay_alu instid0(VALU_DEP_1) | instskip(SKIP_1) | instid1(VALU_DEP_1)
	v_fma_f32 v11, 0xbfb8aa3b, v14, -v10
	v_rndne_f32_e32 v15, v10
	v_dual_fmac_f32 v11, 0xb2a5705f, v14 :: v_dual_sub_f32 v10, v10, v15
	v_cvt_i32_f32_e32 v15, v15
	s_delay_alu instid0(VALU_DEP_2) | instskip(NEXT) | instid1(VALU_DEP_1)
	v_add_f32_e32 v10, v10, v11
	v_exp_f32_e32 v16, v10
	v_mad_u64_u32 v[10:11], null, s28, v5, v[1:2]
	v_add_nc_u32_e32 v2, s30, v2
	v_ashrrev_i32_e32 v5, 31, v4
	s_waitcnt lgkmcnt(0)
	s_delay_alu instid0(VALU_DEP_3) | instskip(SKIP_2) | instid1(VALU_DEP_1)
	v_mul_lo_u32 v10, v10, s1
	s_waitcnt_depctr 0xfff
	v_ldexp_f32 v11, v16, v15
	v_cndmask_b32_e32 v11, 0, v11, vcc_lo
	v_cmp_ngt_f32_e32 vcc_lo, 0xc2b17218, v14
	v_lshlrev_b32_e32 v12, 2, v6
	v_lshlrev_b64 v[5:6], 2, v[4:5]
	v_add_nc_u32_e32 v4, s31, v4
	v_cndmask_b32_e32 v11, 0x7f800000, v11, vcc_lo
	s_delay_alu instid0(VALU_DEP_4) | instskip(NEXT) | instid1(VALU_DEP_4)
	v_sub_nc_u32_e32 v7, v7, v12
	v_add_co_u32 v5, vcc_lo, s10, v5
	s_delay_alu instid0(VALU_DEP_3) | instskip(NEXT) | instid1(VALU_DEP_3)
	v_add_f32_e32 v22, 1.0, v11
	v_or_b32_e32 v14, 1, v7
	v_or_b32_e32 v15, 2, v7
	;; [unrolled: 1-line block ×3, first 2 shown]
	v_add_nc_u32_e32 v7, 4, v7
	v_div_scale_f32 v23, null, v22, v22, 1.0
	v_mad_u64_u32 v[12:13], null, s2, v14, v[1:2]
	v_mad_u64_u32 v[13:14], null, s2, v15, v[1:2]
	s_delay_alu instid0(VALU_DEP_3)
	v_rcp_f32_e32 v24, v23
	v_mad_u64_u32 v[14:15], null, s2, v16, v[1:2]
	v_mad_u64_u32 v[15:16], null, s2, v7, v[1:2]
	v_div_scale_f32 v25, s0, 1.0, v22, 1.0
	v_mul_lo_u32 v12, v12, s1
	v_ashrrev_i32_e32 v11, 31, v10
	v_add_nc_u32_e32 v1, s25, v1
	s_delay_alu instid0(TRANS32_DEP_1) | instskip(SKIP_3) | instid1(VALU_DEP_4)
	v_fma_f32 v7, -v23, v24, 1.0
	v_mul_lo_u32 v16, v13, s1
	v_add_co_ci_u32_e32 v6, vcc_lo, s11, v6, vcc_lo
	v_lshlrev_b64 v[10:11], 2, v[10:11]
	v_fmac_f32_e32 v24, v7, v24
	v_ashrrev_i32_e32 v13, 31, v12
	v_cmp_le_i32_e32 vcc_lo, s3, v1
	v_mul_lo_u32 v14, v14, s1
	v_mul_lo_u32 v18, v15, s1
	v_mul_f32_e32 v7, v25, v24
	v_lshlrev_b64 v[12:13], 2, v[12:13]
	s_or_b32 s24, vcc_lo, s24
	v_add_co_u32 v10, vcc_lo, s16, v10
	s_delay_alu instid0(VALU_DEP_3) | instskip(SKIP_1) | instid1(VALU_DEP_4)
	v_fma_f32 v26, -v23, v7, v25
	v_add_co_ci_u32_e32 v11, vcc_lo, s17, v11, vcc_lo
	v_add_co_u32 v12, vcc_lo, s16, v12
	s_delay_alu instid0(VALU_DEP_3) | instskip(SKIP_3) | instid1(VALU_DEP_3)
	v_fmac_f32_e32 v7, v26, v24
	v_ashrrev_i32_e32 v17, 31, v16
	v_add_co_ci_u32_e32 v13, vcc_lo, s17, v13, vcc_lo
	s_mov_b32 vcc_lo, s0
	v_fma_f32 v23, -v23, v7, v25
	v_ashrrev_i32_e32 v15, 31, v14
	v_lshlrev_b64 v[16:17], 2, v[16:17]
	v_ashrrev_i32_e32 v19, 31, v18
	s_delay_alu instid0(VALU_DEP_4) | instskip(NEXT) | instid1(VALU_DEP_4)
	v_div_fmas_f32 v7, v23, v24, v7
	v_lshlrev_b64 v[14:15], 2, v[14:15]
	s_delay_alu instid0(VALU_DEP_3) | instskip(SKIP_1) | instid1(VALU_DEP_4)
	v_lshlrev_b64 v[18:19], 2, v[18:19]
	v_add_co_u32 v16, vcc_lo, s16, v16
	v_div_fixup_f32 v7, v7, v22, 1.0
	v_add_co_ci_u32_e32 v17, vcc_lo, s17, v17, vcc_lo
	v_add_co_u32 v14, vcc_lo, s16, v14
	s_delay_alu instid0(VALU_DEP_3)
	v_fma_f32 v21, v7, v21, v20
	v_add_co_ci_u32_e32 v15, vcc_lo, s17, v15, vcc_lo
	v_add_co_u32 v18, vcc_lo, s16, v18
	v_add_co_ci_u32_e32 v19, vcc_lo, s17, v19, vcc_lo
	global_store_b32 v[5:6], v21, off
	s_clause 0x4
	global_store_b32 v[10:11], v9, off
	global_store_b32 v[12:13], v7, off
	;; [unrolled: 1-line block ×5, first 2 shown]
	s_and_not1_b32 exec_lo, exec_lo, s24
	s_cbranch_execz .LBB36_9
.LBB36_3:                               ; =>This Inner Loop Header: Depth=1
	v_sub_nc_u32_e32 v3, 0, v1
	s_delay_alu instid0(VALU_DEP_1) | instskip(NEXT) | instid1(VALU_DEP_1)
	v_max_i32_e32 v3, v1, v3
	v_mul_hi_u32 v5, v3, v0
	s_delay_alu instid0(VALU_DEP_1) | instskip(NEXT) | instid1(VALU_DEP_1)
	v_mul_lo_u32 v6, v5, s21
	v_sub_nc_u32_e32 v3, v3, v6
	s_delay_alu instid0(VALU_DEP_1) | instskip(SKIP_1) | instid1(VALU_DEP_2)
	v_subrev_nc_u32_e32 v7, s21, v3
	v_cmp_le_u32_e32 vcc_lo, s21, v3
	v_dual_cndmask_b32 v3, v3, v7 :: v_dual_add_nc_u32 v6, 1, v5
	s_delay_alu instid0(VALU_DEP_1) | instskip(SKIP_1) | instid1(VALU_DEP_3)
	v_cndmask_b32_e32 v5, v5, v6, vcc_lo
	v_ashrrev_i32_e32 v6, 31, v1
	v_cmp_le_u32_e32 vcc_lo, s21, v3
	s_delay_alu instid0(VALU_DEP_3) | instskip(NEXT) | instid1(VALU_DEP_3)
	v_add_nc_u32_e32 v7, 1, v5
	v_xor_b32_e32 v6, s26, v6
	s_delay_alu instid0(VALU_DEP_2) | instskip(NEXT) | instid1(VALU_DEP_1)
	v_cndmask_b32_e32 v3, v5, v7, vcc_lo
	v_xor_b32_e32 v7, v3, v6
	v_lshlrev_b32_e32 v3, 1, v6
	s_delay_alu instid0(VALU_DEP_2) | instskip(SKIP_1) | instid1(VALU_DEP_2)
	v_sub_nc_u32_e32 v5, v7, v6
	v_lshlrev_b32_e32 v10, 1, v7
	v_mad_u64_u32 v[8:9], null, s27, v5, v[1:2]
	s_delay_alu instid0(VALU_DEP_2) | instskip(SKIP_1) | instid1(VALU_DEP_2)
	v_sub_nc_u32_e32 v9, v10, v3
	v_ashrrev_i32_e32 v3, 31, v2
	v_or_b32_e32 v10, 1, v9
	v_add_nc_u32_e32 v12, 2, v9
	v_mul_lo_u32 v9, v8, s22
	v_mul_lo_u32 v11, v8, s23
	s_delay_alu instid0(VALU_DEP_4) | instskip(NEXT) | instid1(VALU_DEP_4)
	v_mad_u64_u32 v[13:14], null, s2, v10, v[1:2]
	v_mad_u64_u32 v[14:15], null, s2, v12, v[1:2]
	v_lshlrev_b64 v[15:16], 2, v[2:3]
	v_ashrrev_i32_e32 v10, 31, v9
	v_ashrrev_i32_e32 v12, 31, v11
	v_mul_lo_u32 v8, v13, s22
	v_mul_lo_u32 v13, v13, s23
	;; [unrolled: 1-line block ×3, first 2 shown]
	v_lshlrev_b64 v[21:22], 2, v[9:10]
	v_mul_lo_u32 v19, v14, s23
	v_add_co_u32 v15, vcc_lo, s8, v15
	v_lshlrev_b64 v[10:11], 2, v[11:12]
	v_ashrrev_i32_e32 v9, 31, v8
	v_add_co_ci_u32_e32 v16, vcc_lo, s9, v16, vcc_lo
	v_ashrrev_i32_e32 v18, 31, v17
	v_add_co_u32 v21, vcc_lo, s12, v21
	v_add_co_ci_u32_e32 v22, vcc_lo, s13, v22, vcc_lo
	v_lshlrev_b64 v[8:9], 2, v[8:9]
	v_ashrrev_i32_e32 v14, 31, v13
	v_ashrrev_i32_e32 v20, 31, v19
	v_add_co_u32 v23, vcc_lo, s14, v10
	v_add_co_ci_u32_e32 v24, vcc_lo, s15, v11, vcc_lo
	v_lshlrev_b64 v[10:11], 2, v[17:18]
	v_lshlrev_b64 v[12:13], 2, v[13:14]
	v_lshlrev_b64 v[17:18], 2, v[19:20]
	v_add_co_u32 v19, vcc_lo, s12, v8
	v_add_co_ci_u32_e32 v20, vcc_lo, s13, v9, vcc_lo
	v_add_co_u32 v25, vcc_lo, s12, v10
	v_add_co_ci_u32_e32 v26, vcc_lo, s13, v11, vcc_lo
	;; [unrolled: 2-line block ×4, first 2 shown]
	s_clause 0x2
	global_load_b32 v9, v[21:22], off
	global_load_b32 v10, v[19:20], off
	;; [unrolled: 1-line block ×3, first 2 shown]
	s_clause 0x2
	global_load_b32 v13, v[23:24], off
	global_load_b32 v11, v[11:12], off
	;; [unrolled: 1-line block ×4, first 2 shown]
	v_mov_b32_e32 v16, 0
	v_mov_b32_e32 v14, 0
	v_dual_mov_b32 v18, 0 :: v_dual_mov_b32 v15, 0
	v_mov_b32_e32 v17, 0
	v_mov_b32_e32 v19, 0
	s_and_not1_b32 vcc_lo, exec_lo, s20
	s_cbranch_vccnz .LBB36_5
; %bb.4:                                ;   in Loop: Header=BB36_3 Depth=1
	v_sub_nc_u32_e32 v16, v6, v7
	v_mad_u64_u32 v[14:15], null, s29, v5, v[1:2]
	s_delay_alu instid0(VALU_DEP_2) | instskip(SKIP_1) | instid1(VALU_DEP_3)
	v_mul_lo_u32 v18, s2, v16
	v_add_nc_u32_e32 v16, 2, v16
	v_mul_lo_u32 v15, v14, s18
	v_mul_lo_u32 v17, v14, s19
	s_delay_alu instid0(VALU_DEP_3) | instskip(SKIP_1) | instid1(VALU_DEP_4)
	v_mad_u64_u32 v[19:20], null, s2, v16, v[1:2]
	v_add3_u32 v21, v18, s2, v1
	v_ashrrev_i32_e32 v16, 31, v15
	s_delay_alu instid0(VALU_DEP_2) | instskip(NEXT) | instid1(VALU_DEP_4)
	v_mul_lo_u32 v14, v21, s18
	v_mul_lo_u32 v20, v19, s18
	v_ashrrev_i32_e32 v18, 31, v17
	v_mul_lo_u32 v22, v21, s19
	v_lshlrev_b64 v[26:27], 2, v[15:16]
	v_mul_lo_u32 v24, v19, s19
	s_delay_alu instid0(VALU_DEP_4) | instskip(SKIP_4) | instid1(VALU_DEP_4)
	v_lshlrev_b64 v[16:17], 2, v[17:18]
	v_ashrrev_i32_e32 v15, 31, v14
	v_ashrrev_i32_e32 v21, 31, v20
	v_add_co_u32 v18, vcc_lo, s4, v26
	v_add_co_ci_u32_e32 v19, vcc_lo, s5, v27, vcc_lo
	v_lshlrev_b64 v[14:15], 2, v[14:15]
	s_delay_alu instid0(VALU_DEP_4) | instskip(SKIP_2) | instid1(VALU_DEP_4)
	v_lshlrev_b64 v[20:21], 2, v[20:21]
	v_ashrrev_i32_e32 v23, 31, v22
	v_ashrrev_i32_e32 v25, 31, v24
	v_add_co_u32 v14, vcc_lo, s4, v14
	v_add_co_ci_u32_e32 v15, vcc_lo, s5, v15, vcc_lo
	v_add_co_u32 v20, vcc_lo, s4, v20
	v_lshlrev_b64 v[22:23], 2, v[22:23]
	v_add_co_ci_u32_e32 v21, vcc_lo, s5, v21, vcc_lo
	v_add_co_u32 v26, vcc_lo, s6, v16
	v_add_co_ci_u32_e32 v27, vcc_lo, s7, v17, vcc_lo
	v_lshlrev_b64 v[16:17], 2, v[24:25]
	v_add_co_u32 v22, vcc_lo, s6, v22
	v_add_co_ci_u32_e32 v23, vcc_lo, s7, v23, vcc_lo
	s_delay_alu instid0(VALU_DEP_3) | instskip(NEXT) | instid1(VALU_DEP_4)
	v_add_co_u32 v24, vcc_lo, s6, v16
	v_add_co_ci_u32_e32 v25, vcc_lo, s7, v17, vcc_lo
	s_clause 0x2
	global_load_b32 v19, v[18:19], off
	global_load_b32 v14, v[14:15], off
	;; [unrolled: 1-line block ×3, first 2 shown]
	s_clause 0x2
	global_load_b32 v18, v[26:27], off
	global_load_b32 v15, v[22:23], off
	;; [unrolled: 1-line block ×3, first 2 shown]
.LBB36_5:                               ;   in Loop: Header=BB36_3 Depth=1
	s_waitcnt vmcnt(3)
	v_add_f32_e32 v9, v9, v13
	s_delay_alu instid0(VALU_DEP_1) | instskip(SKIP_1) | instid1(VALU_DEP_1)
	v_add_f32_e32 v9, v9, v19
	s_waitcnt vmcnt(2)
	v_add_f32_e32 v9, v18, v9
	s_delay_alu instid0(VALU_DEP_1) | instskip(SKIP_1) | instid1(VALU_DEP_2)
	v_mul_f32_e32 v13, 0xbfb8aa3b, v9
	v_cmp_nlt_f32_e32 vcc_lo, 0x42ce8ed0, v9
	v_fma_f32 v18, 0xbfb8aa3b, v9, -v13
	v_rndne_f32_e32 v19, v13
	s_delay_alu instid0(VALU_DEP_1) | instskip(NEXT) | instid1(VALU_DEP_1)
	v_dual_fmac_f32 v18, 0xb2a5705f, v9 :: v_dual_sub_f32 v13, v13, v19
	v_add_f32_e32 v13, v13, v18
	v_cvt_i32_f32_e32 v18, v19
	s_delay_alu instid0(VALU_DEP_2) | instskip(SKIP_2) | instid1(VALU_DEP_1)
	v_exp_f32_e32 v13, v13
	s_waitcnt_depctr 0xfff
	v_ldexp_f32 v13, v13, v18
	v_cndmask_b32_e32 v13, 0, v13, vcc_lo
	v_cmp_ngt_f32_e32 vcc_lo, 0xc2b17218, v9
	s_delay_alu instid0(VALU_DEP_2) | instskip(NEXT) | instid1(VALU_DEP_1)
	v_cndmask_b32_e32 v9, 0x7f800000, v13, vcc_lo
	v_add_f32_e32 v9, 1.0, v9
	s_delay_alu instid0(VALU_DEP_1) | instskip(SKIP_1) | instid1(VALU_DEP_2)
	v_div_scale_f32 v13, null, v9, v9, 1.0
	v_div_scale_f32 v20, vcc_lo, 1.0, v9, 1.0
	v_rcp_f32_e32 v18, v13
	s_waitcnt_depctr 0xfff
	v_fma_f32 v19, -v13, v18, 1.0
	s_delay_alu instid0(VALU_DEP_1) | instskip(NEXT) | instid1(VALU_DEP_1)
	v_fmac_f32_e32 v18, v19, v18
	v_mul_f32_e32 v19, v20, v18
	s_delay_alu instid0(VALU_DEP_1) | instskip(NEXT) | instid1(VALU_DEP_1)
	v_fma_f32 v21, -v13, v19, v20
	v_fmac_f32_e32 v19, v21, v18
	s_delay_alu instid0(VALU_DEP_1) | instskip(NEXT) | instid1(VALU_DEP_1)
	v_fma_f32 v13, -v13, v19, v20
	v_div_fmas_f32 v18, v13, v18, v19
	v_add_f32_e32 v13, v8, v16
	s_waitcnt vmcnt(0)
	v_add_f32_e32 v8, v12, v17
                                        ; implicit-def: $vgpr12
	s_delay_alu instid0(VALU_DEP_3) | instskip(NEXT) | instid1(VALU_DEP_1)
	v_div_fixup_f32 v9, v18, v9, 1.0
	v_fmac_f32_e32 v13, v8, v9
	s_delay_alu instid0(VALU_DEP_1) | instskip(NEXT) | instid1(VALU_DEP_1)
	v_cmp_ngt_f32_e64 s0, 0x3f200000, |v13|
	s_and_saveexec_b32 s34, s0
	s_delay_alu instid0(SALU_CYCLE_1)
	s_xor_b32 s0, exec_lo, s34
	s_cbranch_execz .LBB36_7
; %bb.6:                                ;   in Loop: Header=BB36_3 Depth=1
	v_add_f32_e64 v12, |v13|, |v13|
	s_delay_alu instid0(VALU_DEP_1) | instskip(SKIP_1) | instid1(VALU_DEP_2)
	v_mul_f32_e32 v16, 0x3fb8aa3b, v12
	v_cmp_ngt_f32_e32 vcc_lo, 0xc2ce8ed0, v12
	v_rndne_f32_e32 v17, v16
	v_fma_f32 v18, 0x3fb8aa3b, v12, -v16
	s_delay_alu instid0(VALU_DEP_2) | instskip(NEXT) | instid1(VALU_DEP_2)
	v_sub_f32_e32 v16, v16, v17
	v_fmac_f32_e32 v18, 0x32a5705f, v12
	v_cvt_i32_f32_e32 v17, v17
	s_delay_alu instid0(VALU_DEP_2) | instskip(NEXT) | instid1(VALU_DEP_1)
	v_add_f32_e32 v16, v16, v18
	v_exp_f32_e32 v16, v16
	s_waitcnt_depctr 0xfff
	v_ldexp_f32 v16, v16, v17
	s_delay_alu instid0(VALU_DEP_1) | instskip(SKIP_1) | instid1(VALU_DEP_2)
	v_cndmask_b32_e32 v16, 0, v16, vcc_lo
	v_cmp_nlt_f32_e32 vcc_lo, 0x42b17218, v12
	v_cndmask_b32_e32 v12, 0x7f800000, v16, vcc_lo
	s_delay_alu instid0(VALU_DEP_1) | instskip(NEXT) | instid1(VALU_DEP_1)
	v_add_f32_e32 v12, 1.0, v12
	v_rcp_f32_e32 v12, v12
	s_waitcnt_depctr 0xfff
	v_fma_f32 v12, v12, -2.0, 1.0
.LBB36_7:                               ;   in Loop: Header=BB36_3 Depth=1
	s_and_not1_saveexec_b32 s0, s0
	s_cbranch_execz .LBB36_2
; %bb.8:                                ;   in Loop: Header=BB36_3 Depth=1
	v_mul_f32_e32 v12, v13, v13
	s_delay_alu instid0(VALU_DEP_1) | instskip(NEXT) | instid1(VALU_DEP_1)
	v_fmaak_f32 v16, s33, v12, 0x3ca908c9
	v_fmaak_f32 v16, v12, v16, 0xbd5c1c4e
	s_delay_alu instid0(VALU_DEP_1) | instskip(NEXT) | instid1(VALU_DEP_1)
	v_fmaak_f32 v16, v12, v16, 0x3e088382
	v_fmaak_f32 v16, v12, v16, 0xbeaaaa99
	s_delay_alu instid0(VALU_DEP_1) | instskip(NEXT) | instid1(VALU_DEP_1)
	v_mul_f32_e64 v16, |v13|, v16
	v_fma_f32 v12, v12, v16, |v13|
	s_branch .LBB36_2
.LBB36_9:
	s_nop 0
	s_sendmsg sendmsg(MSG_DEALLOC_VGPRS)
	s_endpgm
	.section	.rodata,"a",@progbits
	.p2align	6, 0x0
	.amdhsa_kernel _ZN2at6native12_GLOBAL__N_16kernel16gru_cell_forwardIffiLi1EEEvNS_4cuda6detail10TensorInfoIT_T1_EES9_S9_S9_S9_S9_S9_S8_S8_
		.amdhsa_group_segment_fixed_size 0
		.amdhsa_private_segment_fixed_size 0
		.amdhsa_kernarg_size 1776
		.amdhsa_user_sgpr_count 15
		.amdhsa_user_sgpr_dispatch_ptr 0
		.amdhsa_user_sgpr_queue_ptr 0
		.amdhsa_user_sgpr_kernarg_segment_ptr 1
		.amdhsa_user_sgpr_dispatch_id 0
		.amdhsa_user_sgpr_private_segment_size 0
		.amdhsa_wavefront_size32 1
		.amdhsa_uses_dynamic_stack 0
		.amdhsa_enable_private_segment 0
		.amdhsa_system_sgpr_workgroup_id_x 1
		.amdhsa_system_sgpr_workgroup_id_y 0
		.amdhsa_system_sgpr_workgroup_id_z 0
		.amdhsa_system_sgpr_workgroup_info 0
		.amdhsa_system_vgpr_workitem_id 0
		.amdhsa_next_free_vgpr 28
		.amdhsa_next_free_sgpr 35
		.amdhsa_reserve_vcc 1
		.amdhsa_float_round_mode_32 0
		.amdhsa_float_round_mode_16_64 0
		.amdhsa_float_denorm_mode_32 3
		.amdhsa_float_denorm_mode_16_64 3
		.amdhsa_dx10_clamp 1
		.amdhsa_ieee_mode 1
		.amdhsa_fp16_overflow 0
		.amdhsa_workgroup_processor_mode 1
		.amdhsa_memory_ordered 1
		.amdhsa_forward_progress 0
		.amdhsa_shared_vgpr_count 0
		.amdhsa_exception_fp_ieee_invalid_op 0
		.amdhsa_exception_fp_denorm_src 0
		.amdhsa_exception_fp_ieee_div_zero 0
		.amdhsa_exception_fp_ieee_overflow 0
		.amdhsa_exception_fp_ieee_underflow 0
		.amdhsa_exception_fp_ieee_inexact 0
		.amdhsa_exception_int_div_zero 0
	.end_amdhsa_kernel
	.section	.text._ZN2at6native12_GLOBAL__N_16kernel16gru_cell_forwardIffiLi1EEEvNS_4cuda6detail10TensorInfoIT_T1_EES9_S9_S9_S9_S9_S9_S8_S8_,"axG",@progbits,_ZN2at6native12_GLOBAL__N_16kernel16gru_cell_forwardIffiLi1EEEvNS_4cuda6detail10TensorInfoIT_T1_EES9_S9_S9_S9_S9_S9_S8_S8_,comdat
.Lfunc_end36:
	.size	_ZN2at6native12_GLOBAL__N_16kernel16gru_cell_forwardIffiLi1EEEvNS_4cuda6detail10TensorInfoIT_T1_EES9_S9_S9_S9_S9_S9_S8_S8_, .Lfunc_end36-_ZN2at6native12_GLOBAL__N_16kernel16gru_cell_forwardIffiLi1EEEvNS_4cuda6detail10TensorInfoIT_T1_EES9_S9_S9_S9_S9_S9_S8_S8_
                                        ; -- End function
	.section	.AMDGPU.csdata,"",@progbits
; Kernel info:
; codeLenInByte = 2216
; NumSgprs: 37
; NumVgprs: 28
; ScratchSize: 0
; MemoryBound: 0
; FloatMode: 240
; IeeeMode: 1
; LDSByteSize: 0 bytes/workgroup (compile time only)
; SGPRBlocks: 4
; VGPRBlocks: 3
; NumSGPRsForWavesPerEU: 37
; NumVGPRsForWavesPerEU: 28
; Occupancy: 16
; WaveLimiterHint : 1
; COMPUTE_PGM_RSRC2:SCRATCH_EN: 0
; COMPUTE_PGM_RSRC2:USER_SGPR: 15
; COMPUTE_PGM_RSRC2:TRAP_HANDLER: 0
; COMPUTE_PGM_RSRC2:TGID_X_EN: 1
; COMPUTE_PGM_RSRC2:TGID_Y_EN: 0
; COMPUTE_PGM_RSRC2:TGID_Z_EN: 0
; COMPUTE_PGM_RSRC2:TIDIG_COMP_CNT: 0
	.section	.text._ZN2at6native12_GLOBAL__N_16kernel16gru_cell_forwardIffiLi2EEEvNS_4cuda6detail10TensorInfoIT_T1_EES9_S9_S9_S9_S9_S9_S8_S8_,"axG",@progbits,_ZN2at6native12_GLOBAL__N_16kernel16gru_cell_forwardIffiLi2EEEvNS_4cuda6detail10TensorInfoIT_T1_EES9_S9_S9_S9_S9_S9_S8_S8_,comdat
	.globl	_ZN2at6native12_GLOBAL__N_16kernel16gru_cell_forwardIffiLi2EEEvNS_4cuda6detail10TensorInfoIT_T1_EES9_S9_S9_S9_S9_S9_S8_S8_ ; -- Begin function _ZN2at6native12_GLOBAL__N_16kernel16gru_cell_forwardIffiLi2EEEvNS_4cuda6detail10TensorInfoIT_T1_EES9_S9_S9_S9_S9_S9_S8_S8_
	.p2align	8
	.type	_ZN2at6native12_GLOBAL__N_16kernel16gru_cell_forwardIffiLi2EEEvNS_4cuda6detail10TensorInfoIT_T1_EES9_S9_S9_S9_S9_S9_S8_S8_,@function
_ZN2at6native12_GLOBAL__N_16kernel16gru_cell_forwardIffiLi2EEEvNS_4cuda6detail10TensorInfoIT_T1_EES9_S9_S9_S9_S9_S9_S8_S8_: ; @_ZN2at6native12_GLOBAL__N_16kernel16gru_cell_forwardIffiLi2EEEvNS_4cuda6detail10TensorInfoIT_T1_EES9_S9_S9_S9_S9_S9_S8_S8_
; %bb.0:
	s_clause 0x1
	s_load_b32 s6, s[0:1], 0x5fc
	s_load_b64 s[4:5], s[0:1], 0x5e8
	s_add_u32 s2, s0, 0x5f0
	s_addc_u32 s3, s1, 0
	s_waitcnt lgkmcnt(0)
	s_and_b32 s37, s6, 0xffff
	s_mov_b32 s6, exec_lo
	v_mad_u64_u32 v[1:2], null, s15, s37, v[0:1]
	s_delay_alu instid0(VALU_DEP_1)
	v_cmpx_gt_i32_e64 s5, v1
	s_cbranch_execz .LBB37_9
; %bb.1:
	s_clause 0x2
	s_load_b64 s[6:7], s[0:1], 0x1b0
	s_load_b32 s30, s[0:1], 0xe4
	s_load_b64 s[8:9], s[0:1], 0x144
	s_load_b32 s2, s[2:3], 0x0
	s_clause 0xf
	s_load_b64 s[10:11], s[0:1], 0x0
	s_load_b32 s3, s[0:1], 0xc
	s_load_b32 s53, s[0:1], 0x36c
	s_load_b64 s[12:13], s[0:1], 0x288
	s_load_b32 s31, s[0:1], 0x2f4
	s_load_b64 s[14:15], s[0:1], 0x360
	s_load_b64 s[16:17], s[0:1], 0x3cc
	;; [unrolled: 1-line block ×3, first 2 shown]
	s_load_b32 s54, s[0:1], 0x444
	s_load_b32 s33, s[0:1], 0x51c
	s_load_b64 s[20:21], s[0:1], 0x510
	s_load_b64 s[22:23], s[0:1], 0x6c
	s_load_b64 s[24:25], s[0:1], 0xd8
	s_load_b32 s34, s[0:1], 0x21c
	s_load_b64 s[26:27], s[0:1], 0x4a4
	s_load_b64 s[28:29], s[0:1], 0x57c
	s_waitcnt lgkmcnt(0)
	s_cmp_lg_u64 s[6:7], 0
	s_mov_b32 s44, 0
	s_cselect_b32 s35, -1, 0
	s_abs_i32 s36, s4
	s_abs_i32 s40, s30
	v_cvt_f32_u32_e32 v0, s36
	v_cvt_f32_u32_e32 v3, s40
	s_abs_i32 s39, s3
	s_abs_i32 s41, s53
	v_cvt_f32_u32_e32 v2, s39
	v_rcp_iflag_f32_e32 v0, v0
	v_rcp_iflag_f32_e32 v3, v3
	s_abs_i32 s42, s54
	s_abs_i32 s43, s33
	v_rcp_iflag_f32_e32 v2, v2
	v_cvt_f32_u32_e32 v5, s42
	v_cvt_f32_u32_e32 v4, s41
	s_mul_i32 s37, s2, s37
	v_cvt_f32_u32_e32 v6, s43
	s_sub_i32 s2, 0, s40
	s_waitcnt_depctr 0xfff
	v_dual_mul_f32 v0, 0x4f7ffffe, v0 :: v_dual_mul_f32 v3, 0x4f7ffffe, v3
	v_rcp_iflag_f32_e32 v5, v5
	v_rcp_iflag_f32_e32 v4, v4
	v_rcp_iflag_f32_e32 v6, v6
	v_mul_f32_e32 v2, 0x4f7ffffe, v2
	v_cvt_u32_f32_e32 v3, v3
	v_cvt_u32_f32_e32 v0, v0
	s_sub_i32 s0, 0, s36
	s_sub_i32 s1, 0, s39
	s_ashr_i32 s38, s4, 31
	v_mul_lo_u32 v9, s2, v3
	v_mul_f32_e32 v5, 0x4f7ffffe, v5
	v_cvt_u32_f32_e32 v2, v2
	v_mul_f32_e32 v6, 0x4f7ffffe, v6
	v_mul_lo_u32 v7, s0, v0
	s_sub_i32 s0, 0, s41
	v_cvt_u32_f32_e32 v5, v5
	v_mul_lo_u32 v8, s1, v2
	v_mul_hi_u32 v9, v3, v9
	v_mul_f32_e32 v4, 0x4f7ffffe, v4
	v_cvt_u32_f32_e32 v6, v6
	s_sub_i32 s1, 0, s42
	v_mul_hi_u32 v7, v0, v7
	v_mul_lo_u32 v11, s1, v5
	s_ashr_i32 s45, s3, 31
	v_mul_hi_u32 v8, v2, v8
	v_add_nc_u32_e32 v3, v3, v9
	v_cvt_u32_f32_e32 v4, v4
	s_ashr_i32 s46, s30, 31
	s_ashr_i32 s47, s53, 31
	v_add_nc_u32_e32 v0, v0, v7
	s_ashr_i32 s48, s54, 31
	v_mul_lo_u32 v10, s0, v4
	s_sub_i32 s0, 0, s43
	v_add_nc_u32_e32 v2, v2, v8
	v_mul_lo_u32 v12, s0, v6
	s_ashr_i32 s49, s33, 31
	s_lshl_b32 s50, s4, 1
	s_lshl_b32 s51, s4, 2
	s_sub_i32 s52, 0, s4
	v_mul_hi_u32 v7, v4, v10
	v_mul_hi_u32 v10, v5, v11
	s_sub_i32 s53, 0, s53
	v_mul_hi_u32 v8, v6, v12
	s_sub_i32 s54, 0, s54
	s_mov_b32 s55, 0xbbbac73d
	s_delay_alu instid0(VALU_DEP_3) | instskip(NEXT) | instid1(VALU_DEP_3)
	v_add_nc_u32_e32 v4, v4, v7
	v_add_nc_u32_e32 v5, v5, v10
	s_delay_alu instid0(VALU_DEP_3)
	v_add_nc_u32_e32 v6, v6, v8
	s_branch .LBB37_3
.LBB37_2:                               ;   in Loop: Header=BB37_3 Depth=1
	s_or_b32 exec_lo, exec_lo, s0
	v_add_f32_e32 v17, v17, v18
	v_lshlrev_b32_e32 v11, 2, v11
	v_lshlrev_b32_e32 v10, 2, v10
	v_mul_hi_u32 v18, v7, v5
	v_mul_lo_u32 v15, s51, v15
	v_add_f32_e32 v17, v17, v19
	v_xor_b32_e32 v8, s48, v8
	v_sub_nc_u32_e32 v10, v11, v10
	s_delay_alu instid0(VALU_DEP_3) | instskip(NEXT) | instid1(VALU_DEP_2)
	v_dual_add_f32 v11, v17, v20 :: v_dual_add_nc_u32 v20, 1, v18
	v_or_b32_e32 v21, 1, v10
	v_or_b32_e32 v23, 2, v10
	;; [unrolled: 1-line block ×3, first 2 shown]
	s_delay_alu instid0(VALU_DEP_4)
	v_mul_f32_e32 v22, 0xbfb8aa3b, v11
	v_mul_lo_u32 v19, v18, s42
	v_mul_lo_u32 v21, s4, v21
	;; [unrolled: 1-line block ×4, first 2 shown]
	v_fma_f32 v25, 0xbfb8aa3b, v11, -v22
	v_rndne_f32_e32 v26, v22
	v_add_nc_u32_e32 v10, 4, v10
	v_sub_nc_u32_e32 v7, v7, v19
	s_delay_alu instid0(VALU_DEP_3) | instskip(SKIP_1) | instid1(VALU_DEP_4)
	v_dual_fmac_f32 v25, 0xb2a5705f, v11 :: v_dual_sub_f32 v22, v22, v26
	v_add_nc_u32_e32 v17, v1, v15
	v_mul_lo_u32 v19, s4, v10
	s_delay_alu instid0(VALU_DEP_4)
	v_cmp_le_u32_e32 vcc_lo, s42, v7
	v_cvt_i32_f32_e32 v26, v26
	v_add_f32_e32 v22, v22, v25
	v_ashrrev_i32_e32 v17, 31, v17
	v_dual_cndmask_b32 v18, v18, v20 :: v_dual_add_nc_u32 v25, v1, v23
	v_subrev_nc_u32_e32 v20, s42, v7
	s_delay_alu instid0(VALU_DEP_3) | instskip(SKIP_1) | instid1(VALU_DEP_4)
	v_add3_u32 v10, v17, v15, v1
	v_xor_b32_e32 v27, s49, v17
	v_ashrrev_i32_e32 v25, 31, v25
	s_delay_alu instid0(VALU_DEP_4) | instskip(SKIP_4) | instid1(VALU_DEP_2)
	v_cndmask_b32_e32 v7, v7, v20, vcc_lo
	v_cmp_nlt_f32_e32 vcc_lo, 0x42ce8ed0, v11
	v_xor_b32_e32 v10, v10, v17
	v_exp_f32_e32 v17, v22
	v_add_nc_u32_e32 v22, v1, v21
	v_mul_hi_u32 v30, v10, v6
	s_delay_alu instid0(VALU_DEP_2) | instskip(SKIP_3) | instid1(VALU_DEP_2)
	v_ashrrev_i32_e32 v22, 31, v22
	s_waitcnt_depctr 0xfff
	v_ldexp_f32 v17, v17, v26
	v_add_nc_u32_e32 v28, v1, v24
	v_dual_cndmask_b32 v17, 0, v17 :: v_dual_add_nc_u32 v32, 1, v30
	v_add_nc_u32_e32 v20, 1, v18
	v_cmp_le_u32_e32 vcc_lo, s42, v7
	s_delay_alu instid0(VALU_DEP_4) | instskip(NEXT) | instid1(VALU_DEP_3)
	v_ashrrev_i32_e32 v26, 31, v28
	v_cndmask_b32_e32 v7, v18, v20, vcc_lo
	v_cmp_ngt_f32_e32 vcc_lo, 0xc2b17218, v11
	v_xor_b32_e32 v18, s49, v22
	v_add3_u32 v20, v25, v23, v1
	s_delay_alu instid0(VALU_DEP_4) | instskip(SKIP_2) | instid1(VALU_DEP_4)
	v_xor_b32_e32 v7, v7, v8
	v_cndmask_b32_e32 v11, 0x7f800000, v17, vcc_lo
	v_add3_u32 v17, v22, v21, v1
	v_xor_b32_e32 v20, v20, v25
	s_delay_alu instid0(VALU_DEP_4) | instskip(NEXT) | instid1(VALU_DEP_3)
	v_sub_nc_u32_e32 v33, v7, v8
	v_xor_b32_e32 v17, v17, v22
	s_delay_alu instid0(VALU_DEP_3) | instskip(NEXT) | instid1(VALU_DEP_3)
	v_mul_hi_u32 v36, v20, v6
	v_mad_u64_u32 v[7:8], null, s54, v33, v[1:2]
	s_delay_alu instid0(VALU_DEP_3) | instskip(SKIP_2) | instid1(VALU_DEP_4)
	v_mul_hi_u32 v34, v17, v6
	v_add_f32_e32 v31, 1.0, v11
	v_mul_lo_u32 v11, v30, s43
	v_mul_lo_u32 v7, v7, s27
	s_delay_alu instid0(VALU_DEP_2) | instskip(NEXT) | instid1(VALU_DEP_1)
	v_sub_nc_u32_e32 v10, v10, v11
	v_cmp_le_u32_e32 vcc_lo, s43, v10
	v_add_nc_u32_e32 v29, v1, v19
	v_subrev_nc_u32_e32 v11, s43, v10
	v_cndmask_b32_e32 v8, v30, v32, vcc_lo
	v_add_nc_u32_e32 v32, 1, v34
	v_div_scale_f32 v22, null, v31, v31, 1.0
	v_mul_lo_u32 v30, v34, s43
	s_delay_alu instid0(VALU_DEP_4) | instskip(NEXT) | instid1(VALU_DEP_3)
	v_dual_cndmask_b32 v10, v10, v11 :: v_dual_add_nc_u32 v11, 1, v8
	v_rcp_f32_e32 v35, v22
	v_div_scale_f32 v38, vcc_lo, 1.0, v31, 1.0
	s_delay_alu instid0(VALU_DEP_2) | instskip(SKIP_3) | instid1(VALU_DEP_4)
	v_cmp_le_u32_e64 s0, s43, v10
	v_ashrrev_i32_e32 v28, 31, v29
	v_sub_nc_u32_e32 v17, v17, v30
	v_add3_u32 v29, v26, v24, v1
	v_cndmask_b32_e64 v8, v8, v11, s0
	s_delay_alu instid0(TRANS32_DEP_1) | instskip(NEXT) | instid1(VALU_DEP_4)
	v_fma_f32 v37, -v22, v35, 1.0
	v_cmp_le_u32_e64 s0, s43, v17
	s_delay_alu instid0(VALU_DEP_4) | instskip(NEXT) | instid1(VALU_DEP_4)
	v_xor_b32_e32 v29, v29, v26
	v_mad_u64_u32 v[10:11], null, v33, s26, v[7:8]
	v_xor_b32_e32 v7, v8, v27
	v_subrev_nc_u32_e32 v8, s43, v17
	v_cndmask_b32_e64 v32, v34, v32, s0
	v_fmac_f32_e32 v35, v37, v35
	v_add_nc_u32_e32 v33, 1, v36
	v_sub_nc_u32_e32 v27, v7, v27
	v_cndmask_b32_e64 v7, v17, v8, s0
	v_add_nc_u32_e32 v8, 1, v32
	v_mul_f32_e32 v30, v38, v35
	v_mul_lo_u32 v37, v36, s43
	v_mul_lo_u32 v17, v27, s33
	v_mul_hi_u32 v34, v29, v6
	v_xor_b32_e32 v26, s49, v26
	v_fma_f32 v11, -v22, v30, v38
	v_sub_nc_u32_e32 v20, v20, v37
	s_delay_alu instid0(VALU_DEP_2) | instskip(SKIP_2) | instid1(VALU_DEP_3)
	v_fmac_f32_e32 v30, v11, v35
	v_ashrrev_i32_e32 v11, 31, v10
	v_add3_u32 v37, v28, v19, v1
	v_fma_f32 v22, -v22, v30, v38
	s_delay_alu instid0(VALU_DEP_1) | instskip(SKIP_2) | instid1(VALU_DEP_3)
	v_div_fmas_f32 v22, v22, v35, v30
	v_cmp_le_u32_e32 vcc_lo, s43, v7
	v_subrev_nc_u32_e32 v30, s43, v20
	v_div_fixup_f32 v22, v22, v31, 1.0
	v_cndmask_b32_e32 v32, v32, v8, vcc_lo
	v_cmp_le_u32_e32 vcc_lo, s43, v20
	v_lshlrev_b64 v[7:8], 2, v[10:11]
	v_xor_b32_e32 v11, v37, v28
	v_sub_nc_u32_e32 v10, v15, v17
	v_xor_b32_e32 v17, v32, v18
	v_cndmask_b32_e32 v15, v36, v33, vcc_lo
	v_xor_b32_e32 v28, s49, v28
	v_mul_hi_u32 v31, v11, v6
	s_delay_alu instid0(VALU_DEP_4)
	v_sub_nc_u32_e32 v33, v17, v18
	v_xor_b32_e32 v17, s49, v25
	v_add_nc_u32_e32 v25, 1, v34
	v_add_nc_u32_e32 v32, 1, v15
	v_cndmask_b32_e32 v20, v20, v30, vcc_lo
	v_mul_lo_u32 v30, v34, s43
	s_delay_alu instid0(VALU_DEP_2) | instskip(SKIP_1) | instid1(VALU_DEP_3)
	v_cmp_le_u32_e32 vcc_lo, s43, v20
	v_mul_lo_u32 v20, v31, s43
	v_sub_nc_u32_e32 v18, v29, v30
	v_cndmask_b32_e32 v15, v15, v32, vcc_lo
	v_mul_lo_u32 v29, v33, s33
	s_delay_alu instid0(VALU_DEP_3)
	v_subrev_nc_u32_e32 v30, s43, v18
	v_cmp_le_u32_e32 vcc_lo, s43, v18
	v_sub_nc_u32_e32 v11, v11, v20
	v_add_nc_u32_e32 v20, 1, v31
	v_xor_b32_e32 v15, v15, v17
	v_cndmask_b32_e32 v25, v34, v25, vcc_lo
	v_cndmask_b32_e32 v18, v18, v30, vcc_lo
	v_cmp_le_u32_e32 vcc_lo, s43, v11
	s_delay_alu instid0(VALU_DEP_3) | instskip(NEXT) | instid1(VALU_DEP_3)
	v_add_nc_u32_e32 v30, 1, v25
	v_cmp_le_u32_e64 s0, s43, v18
	v_cndmask_b32_e32 v20, v31, v20, vcc_lo
	v_subrev_nc_u32_e32 v31, s43, v11
	v_add_nc_u32_e32 v10, v1, v10
	s_delay_alu instid0(VALU_DEP_4) | instskip(SKIP_1) | instid1(VALU_DEP_4)
	v_cndmask_b32_e64 v18, v25, v30, s0
	v_sub_nc_u32_e32 v25, v15, v17
	v_cndmask_b32_e32 v11, v11, v31, vcc_lo
	v_add_nc_u32_e32 v17, 1, v20
	v_mul_lo_u32 v10, v10, s29
	v_sub_nc_u32_e32 v15, v21, v29
	v_xor_b32_e32 v18, v18, v26
	v_cmp_le_u32_e32 vcc_lo, s43, v11
	v_mul_lo_u32 v21, v25, s33
	s_delay_alu instid0(VALU_DEP_3) | instskip(SKIP_3) | instid1(VALU_DEP_3)
	v_sub_nc_u32_e32 v26, v18, v26
	v_cndmask_b32_e32 v11, v20, v17, vcc_lo
	v_add_co_u32 v7, vcc_lo, s18, v7
	v_add_co_ci_u32_e32 v8, vcc_lo, s19, v8, vcc_lo
	v_mad_u64_u32 v[17:18], null, v27, s28, v[10:11]
	v_bfi_b32 v27, 0x7fffffff, v16, v14
	v_add_nc_u32_e32 v14, v1, v15
	v_xor_b32_e32 v10, v11, v28
	v_sub_nc_u32_e32 v15, v23, v21
	v_mul_lo_u32 v11, v26, s33
	v_sub_f32_e32 v16, v9, v27
	v_ashrrev_i32_e32 v18, 31, v17
	v_sub_nc_u32_e32 v23, v10, v28
	v_mul_lo_u32 v10, v14, s29
	v_add_nc_u32_e32 v14, v1, v15
	s_delay_alu instid0(VALU_DEP_3) | instskip(SKIP_1) | instid1(VALU_DEP_3)
	v_mul_lo_u32 v21, v23, s33
	v_sub_nc_u32_e32 v20, v24, v11
	v_mul_lo_u32 v11, v14, s29
	v_fma_f32 v24, v22, v16, v27
	v_lshlrev_b64 v[14:15], 2, v[17:18]
	s_delay_alu instid0(VALU_DEP_4)
	v_add_nc_u32_e32 v20, v1, v20
	v_sub_nc_u32_e32 v21, v19, v21
	global_store_b32 v[7:8], v24, off
	v_mad_u64_u32 v[16:17], null, v33, s28, v[10:11]
	v_mad_u64_u32 v[18:19], null, v25, s28, v[11:12]
	v_add_nc_u32_e32 v11, v1, v21
	v_add_nc_u32_e32 v1, s37, v1
	v_mul_lo_u32 v10, v20, s29
	v_add_co_u32 v14, vcc_lo, s20, v14
	s_delay_alu instid0(VALU_DEP_4)
	v_mul_lo_u32 v11, v11, s29
	v_add_co_ci_u32_e32 v15, vcc_lo, s21, v15, vcc_lo
	v_ashrrev_i32_e32 v17, 31, v16
	v_ashrrev_i32_e32 v19, 31, v18
	global_store_b32 v[14:15], v13, off
	v_mad_u64_u32 v[20:21], null, v26, s28, v[10:11]
	v_mad_u64_u32 v[13:14], null, v23, s28, v[11:12]
	v_lshlrev_b64 v[7:8], 2, v[16:17]
	v_lshlrev_b64 v[10:11], 2, v[18:19]
	s_delay_alu instid0(VALU_DEP_4) | instskip(NEXT) | instid1(VALU_DEP_4)
	v_ashrrev_i32_e32 v21, 31, v20
	v_ashrrev_i32_e32 v14, 31, v13
	s_delay_alu instid0(VALU_DEP_4) | instskip(NEXT) | instid1(VALU_DEP_3)
	v_add_co_u32 v7, vcc_lo, s20, v7
	v_lshlrev_b64 v[15:16], 2, v[20:21]
	v_add_co_ci_u32_e32 v8, vcc_lo, s21, v8, vcc_lo
	v_add_co_u32 v10, vcc_lo, s20, v10
	v_lshlrev_b64 v[13:14], 2, v[13:14]
	v_add_co_ci_u32_e32 v11, vcc_lo, s21, v11, vcc_lo
	v_add_co_u32 v15, vcc_lo, s20, v15
	v_add_co_ci_u32_e32 v16, vcc_lo, s21, v16, vcc_lo
	v_cmp_le_i32_e32 vcc_lo, s5, v1
	v_add_co_u32 v13, s0, s20, v13
	s_delay_alu instid0(VALU_DEP_1)
	v_add_co_ci_u32_e64 v14, s0, s21, v14, s0
	s_or_b32 s44, vcc_lo, s44
	s_clause 0x3
	global_store_b32 v[7:8], v22, off
	global_store_b32 v[10:11], v27, off
	;; [unrolled: 1-line block ×4, first 2 shown]
	s_and_not1_b32 exec_lo, exec_lo, s44
	s_cbranch_execz .LBB37_9
.LBB37_3:                               ; =>This Inner Loop Header: Depth=1
	v_sub_nc_u32_e32 v7, 0, v1
	s_delay_alu instid0(VALU_DEP_1) | instskip(NEXT) | instid1(VALU_DEP_1)
	v_max_i32_e32 v7, v1, v7
	v_mul_hi_u32 v8, v7, v0
	v_mul_hi_u32 v13, v7, v4
	s_delay_alu instid0(VALU_DEP_2) | instskip(NEXT) | instid1(VALU_DEP_2)
	v_mul_lo_u32 v9, v8, s36
	v_add_nc_u32_e32 v16, 1, v13
	s_delay_alu instid0(VALU_DEP_2) | instskip(NEXT) | instid1(VALU_DEP_1)
	v_sub_nc_u32_e32 v9, v7, v9
	v_subrev_nc_u32_e32 v11, s36, v9
	v_cmp_le_u32_e32 vcc_lo, s36, v9
	s_delay_alu instid0(VALU_DEP_2) | instskip(NEXT) | instid1(VALU_DEP_1)
	v_dual_cndmask_b32 v9, v9, v11 :: v_dual_add_nc_u32 v10, 1, v8
	v_cndmask_b32_e32 v12, v8, v10, vcc_lo
	v_ashrrev_i32_e32 v8, 31, v1
	s_delay_alu instid0(VALU_DEP_3) | instskip(NEXT) | instid1(VALU_DEP_3)
	v_cmp_le_u32_e32 vcc_lo, s36, v9
	v_add_nc_u32_e32 v11, 1, v12
	s_delay_alu instid0(VALU_DEP_3) | instskip(SKIP_1) | instid1(VALU_DEP_3)
	v_xor_b32_e32 v10, s38, v8
	v_xor_b32_e32 v19, s47, v8
	v_cndmask_b32_e32 v9, v12, v11, vcc_lo
	v_mul_lo_u32 v12, v13, s41
	s_delay_alu instid0(VALU_DEP_2) | instskip(NEXT) | instid1(VALU_DEP_2)
	v_xor_b32_e32 v11, v9, v10
	v_sub_nc_u32_e32 v12, v7, v12
	s_delay_alu instid0(VALU_DEP_2) | instskip(NEXT) | instid1(VALU_DEP_2)
	v_sub_nc_u32_e32 v15, v11, v10
	v_cmp_le_u32_e32 vcc_lo, s41, v12
	s_delay_alu instid0(VALU_DEP_2) | instskip(SKIP_1) | instid1(VALU_DEP_1)
	v_mul_lo_u32 v18, s50, v15
	v_subrev_nc_u32_e32 v17, s41, v12
	v_dual_cndmask_b32 v13, v13, v16 :: v_dual_cndmask_b32 v12, v12, v17
	s_delay_alu instid0(VALU_DEP_3) | instskip(NEXT) | instid1(VALU_DEP_2)
	v_add_nc_u32_e32 v16, v1, v18
	v_add_nc_u32_e32 v17, 1, v13
	s_delay_alu instid0(VALU_DEP_3) | instskip(SKIP_1) | instid1(VALU_DEP_4)
	v_cmp_le_u32_e32 vcc_lo, s41, v12
	v_lshlrev_b32_e32 v14, 1, v11
	v_ashrrev_i32_e32 v16, 31, v16
	s_delay_alu instid0(VALU_DEP_1) | instskip(SKIP_1) | instid1(VALU_DEP_2)
	v_add3_u32 v12, v16, v18, v1
	v_xor_b32_e32 v21, s45, v16
	v_xor_b32_e32 v12, v12, v16
	;; [unrolled: 1-line block ×3, first 2 shown]
	s_delay_alu instid0(VALU_DEP_2) | instskip(SKIP_1) | instid1(VALU_DEP_2)
	v_mul_hi_u32 v22, v12, v2
	v_mul_hi_u32 v25, v12, v3
	v_add_nc_u32_e32 v31, 1, v22
	v_lshlrev_b32_e32 v9, 1, v10
	s_delay_alu instid0(VALU_DEP_3) | instskip(SKIP_1) | instid1(VALU_DEP_3)
	v_mul_lo_u32 v29, v25, s40
	v_add_nc_u32_e32 v33, 1, v25
	v_sub_nc_u32_e32 v9, v14, v9
	s_delay_alu instid0(VALU_DEP_1) | instskip(SKIP_1) | instid1(VALU_DEP_2)
	v_or_b32_e32 v14, 1, v9
	v_add_nc_u32_e32 v9, 2, v9
	v_mul_lo_u32 v14, s4, v14
	s_delay_alu instid0(VALU_DEP_2) | instskip(SKIP_1) | instid1(VALU_DEP_1)
	v_mul_lo_u32 v20, s4, v9
	v_cndmask_b32_e32 v9, v13, v17, vcc_lo
	v_xor_b32_e32 v9, v9, v19
	s_delay_alu instid0(VALU_DEP_4) | instskip(NEXT) | instid1(VALU_DEP_4)
	v_add_nc_u32_e32 v13, v1, v14
	v_add_nc_u32_e32 v17, v1, v20
	s_delay_alu instid0(VALU_DEP_2) | instskip(NEXT) | instid1(VALU_DEP_2)
	v_ashrrev_i32_e32 v13, 31, v13
	v_ashrrev_i32_e32 v17, 31, v17
	s_delay_alu instid0(VALU_DEP_2) | instskip(NEXT) | instid1(VALU_DEP_2)
	v_add3_u32 v24, v13, v14, v1
	v_add3_u32 v26, v17, v20, v1
	v_xor_b32_e32 v23, s45, v13
	v_xor_b32_e32 v27, s45, v17
	v_xor_b32_e32 v28, s46, v13
	v_xor_b32_e32 v13, v24, v13
	v_xor_b32_e32 v24, s46, v17
	v_xor_b32_e32 v17, v26, v17
	v_mul_lo_u32 v26, v22, s39
	s_delay_alu instid0(VALU_DEP_4) | instskip(SKIP_1) | instid1(VALU_DEP_4)
	v_mul_hi_u32 v30, v13, v2
	v_mul_hi_u32 v34, v13, v3
	;; [unrolled: 1-line block ×4, first 2 shown]
	v_sub_nc_u32_e32 v26, v12, v26
	v_sub_nc_u32_e32 v12, v12, v29
	v_mul_lo_u32 v29, v30, s39
	v_mul_lo_u32 v39, v34, s40
	;; [unrolled: 1-line block ×3, first 2 shown]
	v_cmp_le_u32_e32 vcc_lo, s39, v26
	v_cmp_le_u32_e64 s0, s40, v12
	v_mul_lo_u32 v41, v35, s40
	v_subrev_nc_u32_e32 v43, s39, v26
	v_add_nc_u32_e32 v40, 1, v34
	v_cndmask_b32_e32 v22, v22, v31, vcc_lo
	v_subrev_nc_u32_e32 v31, s40, v12
	v_cndmask_b32_e64 v25, v25, v33, s0
	v_sub_nc_u32_e32 v29, v13, v29
	v_sub_nc_u32_e32 v37, v17, v37
	;; [unrolled: 1-line block ×3, first 2 shown]
	v_cndmask_b32_e64 v12, v12, v31, s0
	v_add_nc_u32_e32 v31, 1, v25
	v_sub_nc_u32_e32 v17, v17, v41
	v_add_nc_u32_e32 v42, 1, v35
	v_cndmask_b32_e32 v26, v26, v43, vcc_lo
	v_cmp_le_u32_e64 s1, s40, v12
	v_add_nc_u32_e32 v33, 1, v22
	v_cmp_le_u32_e64 s2, s40, v17
	v_add_nc_u32_e32 v38, 1, v32
	v_cmp_le_u32_e32 vcc_lo, s39, v26
	v_cndmask_b32_e64 v12, v25, v31, s1
	v_cmp_le_u32_e64 s1, s40, v13
	v_cmp_le_u32_e64 s0, s39, v37
	v_subrev_nc_u32_e32 v31, s40, v13
	v_cndmask_b32_e32 v22, v22, v33, vcc_lo
	v_cmp_le_u32_e32 vcc_lo, s39, v29
	v_cndmask_b32_e64 v25, v34, v40, s1
	v_cndmask_b32_e64 v34, v35, v42, s2
	v_subrev_nc_u32_e32 v35, s40, v17
	v_subrev_nc_u32_e32 v33, s39, v37
	v_cndmask_b32_e64 v32, v32, v38, s0
	v_xor_b32_e32 v22, v22, v21
	v_cndmask_b32_e64 v13, v13, v31, s1
	v_cndmask_b32_e64 v17, v17, v35, s2
	v_add_nc_u32_e32 v35, 1, v34
	v_add_nc_u32_e32 v36, 1, v30
	v_cndmask_b32_e64 v33, v37, v33, s0
	v_sub_nc_u32_e32 v21, v22, v21
	v_xor_b32_e32 v12, v12, v16
	s_delay_alu instid0(VALU_DEP_4) | instskip(SKIP_1) | instid1(VALU_DEP_1)
	v_dual_cndmask_b32 v26, v30, v36 :: v_dual_add_nc_u32 v31, 1, v25
	v_subrev_nc_u32_e32 v30, s39, v29
	v_dual_cndmask_b32 v29, v29, v30 :: v_dual_add_nc_u32 v36, 1, v32
	s_delay_alu instid0(VALU_DEP_3) | instskip(NEXT) | instid1(VALU_DEP_2)
	v_add_nc_u32_e32 v30, 1, v26
	v_cmp_le_u32_e32 vcc_lo, s39, v29
	v_sub_nc_u32_e32 v29, v12, v16
	s_delay_alu instid0(VALU_DEP_3) | instskip(SKIP_2) | instid1(VALU_DEP_3)
	v_cndmask_b32_e32 v22, v26, v30, vcc_lo
	v_cmp_le_u32_e32 vcc_lo, s39, v33
	v_sub_nc_u32_e32 v30, v9, v19
	v_xor_b32_e32 v16, v22, v23
	v_cndmask_b32_e32 v26, v32, v36, vcc_lo
	v_cmp_le_u32_e32 vcc_lo, s40, v13
	s_delay_alu instid0(VALU_DEP_3) | instskip(NEXT) | instid1(VALU_DEP_3)
	v_sub_nc_u32_e32 v23, v16, v23
	v_xor_b32_e32 v22, v26, v27
	v_cndmask_b32_e32 v12, v25, v31, vcc_lo
	v_cmp_le_u32_e32 vcc_lo, s40, v17
	v_mul_lo_u32 v17, v21, s3
	v_mul_lo_u32 v25, v29, s30
	v_sub_nc_u32_e32 v22, v22, v27
	v_xor_b32_e32 v12, v12, v28
	v_cndmask_b32_e32 v13, v34, v35, vcc_lo
	v_mul_lo_u32 v16, v23, s3
	s_delay_alu instid0(VALU_DEP_3) | instskip(NEXT) | instid1(VALU_DEP_3)
	v_sub_nc_u32_e32 v26, v12, v28
	v_xor_b32_e32 v13, v13, v24
	v_sub_nc_u32_e32 v12, v18, v17
	v_mul_lo_u32 v17, v22, s3
	v_sub_nc_u32_e32 v16, v14, v16
	s_delay_alu instid0(VALU_DEP_4)
	v_sub_nc_u32_e32 v27, v13, v24
	v_sub_nc_u32_e32 v13, v18, v25
	v_mul_lo_u32 v18, v26, s30
	v_add_nc_u32_e32 v12, v1, v12
	v_add_nc_u32_e32 v16, v1, v16
	v_mul_lo_u32 v19, v27, s30
	v_sub_nc_u32_e32 v17, v20, v17
	v_add_nc_u32_e32 v13, v1, v13
	v_mul_lo_u32 v9, v12, s23
	v_sub_nc_u32_e32 v14, v14, v18
	s_delay_alu instid0(VALU_DEP_3)
	v_mul_lo_u32 v12, v13, s9
	v_sub_nc_u32_e32 v18, v20, v19
	v_add_nc_u32_e32 v19, v1, v17
	v_mul_lo_u32 v13, v16, s23
	v_add_nc_u32_e32 v14, v1, v14
	v_mad_u64_u32 v[16:17], null, v21, s22, v[9:10]
	s_delay_alu instid0(VALU_DEP_4) | instskip(SKIP_1) | instid1(VALU_DEP_4)
	v_mul_lo_u32 v9, v19, s23
	v_add_nc_u32_e32 v24, v1, v18
	v_mad_u64_u32 v[20:21], null, v23, s22, v[13:14]
	v_mad_u64_u32 v[18:19], null, v29, s8, v[12:13]
	v_mul_lo_u32 v12, v14, s9
	v_mad_u64_u32 v[13:14], null, v22, s22, v[9:10]
	v_ashrrev_i32_e32 v17, 31, v16
	v_mad_u64_u32 v[22:23], null, s53, v30, v[1:2]
	v_ashrrev_i32_e32 v21, 31, v20
	v_mul_lo_u32 v9, v24, s9
	s_delay_alu instid0(VALU_DEP_4)
	v_lshlrev_b64 v[16:17], 2, v[16:17]
	v_ashrrev_i32_e32 v14, 31, v13
	v_mad_u64_u32 v[23:24], null, v26, s8, v[12:13]
	v_lshlrev_b64 v[20:21], 2, v[20:21]
	v_ashrrev_i32_e32 v19, 31, v18
	v_add_co_u32 v16, vcc_lo, s10, v16
	v_lshlrev_b64 v[12:13], 2, v[13:14]
	v_mul_lo_u32 v14, v22, s17
	v_add_co_ci_u32_e32 v17, vcc_lo, s11, v17, vcc_lo
	v_add_co_u32 v20, vcc_lo, s10, v20
	v_add_co_ci_u32_e32 v21, vcc_lo, s11, v21, vcc_lo
	v_mad_u64_u32 v[25:26], null, v27, s8, v[9:10]
	v_add_co_u32 v27, vcc_lo, s10, v12
	v_add_co_ci_u32_e32 v28, vcc_lo, s11, v13, vcc_lo
	v_lshlrev_b64 v[12:13], 2, v[18:19]
	v_mad_u64_u32 v[18:19], null, v30, s16, v[14:15]
	v_ashrrev_i32_e32 v24, 31, v23
	v_ashrrev_i32_e32 v26, 31, v25
	s_delay_alu instid0(VALU_DEP_4) | instskip(NEXT) | instid1(VALU_DEP_3)
	v_add_co_u32 v29, vcc_lo, s24, v12
	v_lshlrev_b64 v[22:23], 2, v[23:24]
	v_ashrrev_i32_e32 v19, 31, v18
	v_add_co_ci_u32_e32 v30, vcc_lo, s25, v13, vcc_lo
	v_lshlrev_b64 v[12:13], 2, v[25:26]
	s_delay_alu instid0(VALU_DEP_4) | instskip(NEXT) | instid1(VALU_DEP_4)
	v_add_co_u32 v22, vcc_lo, s24, v22
	v_lshlrev_b64 v[18:19], 2, v[18:19]
	v_add_co_ci_u32_e32 v23, vcc_lo, s25, v23, vcc_lo
	s_delay_alu instid0(VALU_DEP_4) | instskip(SKIP_1) | instid1(VALU_DEP_4)
	v_add_co_u32 v24, vcc_lo, s24, v12
	v_add_co_ci_u32_e32 v25, vcc_lo, s25, v13, vcc_lo
	v_add_co_u32 v31, vcc_lo, s14, v18
	v_add_co_ci_u32_e32 v32, vcc_lo, s15, v19, vcc_lo
	s_clause 0x2
	global_load_b32 v13, v[16:17], off
	global_load_b32 v17, v[20:21], off
	;; [unrolled: 1-line block ×3, first 2 shown]
	s_clause 0x2
	global_load_b32 v14, v[29:30], off
	global_load_b32 v18, v[22:23], off
	;; [unrolled: 1-line block ×4, first 2 shown]
	v_dual_mov_b32 v24, 0 :: v_dual_mov_b32 v19, 0
	v_mov_b32_e32 v21, 0
	v_dual_mov_b32 v23, 0 :: v_dual_mov_b32 v20, 0
	v_mov_b32_e32 v22, 0
	s_and_not1_b32 vcc_lo, exec_lo, s35
	s_cbranch_vccnz .LBB37_5
; %bb.4:                                ;   in Loop: Header=BB37_3 Depth=1
	v_sub_nc_u32_e32 v21, v10, v11
	v_mad_u64_u32 v[19:20], null, s52, v15, v[1:2]
	s_delay_alu instid0(VALU_DEP_2) | instskip(SKIP_1) | instid1(VALU_DEP_3)
	v_mul_lo_u32 v23, s4, v21
	v_add_nc_u32_e32 v21, 2, v21
	v_mul_lo_u32 v20, v19, s34
	v_mul_lo_u32 v22, v19, s31
	s_delay_alu instid0(VALU_DEP_3) | instskip(SKIP_1) | instid1(VALU_DEP_4)
	v_mad_u64_u32 v[24:25], null, s4, v21, v[1:2]
	v_add3_u32 v26, v23, s4, v1
	v_ashrrev_i32_e32 v21, 31, v20
	s_delay_alu instid0(VALU_DEP_2) | instskip(NEXT) | instid1(VALU_DEP_4)
	v_mul_lo_u32 v19, v26, s34
	v_mul_lo_u32 v25, v24, s34
	v_ashrrev_i32_e32 v23, 31, v22
	v_mul_lo_u32 v27, v26, s31
	v_lshlrev_b64 v[31:32], 2, v[20:21]
	v_mul_lo_u32 v29, v24, s31
	s_delay_alu instid0(VALU_DEP_4) | instskip(SKIP_4) | instid1(VALU_DEP_4)
	v_lshlrev_b64 v[21:22], 2, v[22:23]
	v_ashrrev_i32_e32 v20, 31, v19
	v_ashrrev_i32_e32 v26, 31, v25
	v_add_co_u32 v23, vcc_lo, s6, v31
	v_add_co_ci_u32_e32 v24, vcc_lo, s7, v32, vcc_lo
	v_lshlrev_b64 v[19:20], 2, v[19:20]
	s_delay_alu instid0(VALU_DEP_4) | instskip(SKIP_2) | instid1(VALU_DEP_4)
	v_lshlrev_b64 v[25:26], 2, v[25:26]
	v_ashrrev_i32_e32 v28, 31, v27
	v_ashrrev_i32_e32 v30, 31, v29
	v_add_co_u32 v19, vcc_lo, s6, v19
	v_add_co_ci_u32_e32 v20, vcc_lo, s7, v20, vcc_lo
	v_add_co_u32 v25, vcc_lo, s6, v25
	v_lshlrev_b64 v[27:28], 2, v[27:28]
	v_add_co_ci_u32_e32 v26, vcc_lo, s7, v26, vcc_lo
	v_add_co_u32 v31, vcc_lo, s12, v21
	v_add_co_ci_u32_e32 v32, vcc_lo, s13, v22, vcc_lo
	v_lshlrev_b64 v[21:22], 2, v[29:30]
	v_add_co_u32 v27, vcc_lo, s12, v27
	v_add_co_ci_u32_e32 v28, vcc_lo, s13, v28, vcc_lo
	s_delay_alu instid0(VALU_DEP_3) | instskip(NEXT) | instid1(VALU_DEP_4)
	v_add_co_u32 v29, vcc_lo, s12, v21
	v_add_co_ci_u32_e32 v30, vcc_lo, s13, v22, vcc_lo
	s_clause 0x2
	global_load_b32 v24, v[23:24], off
	global_load_b32 v19, v[19:20], off
	;; [unrolled: 1-line block ×3, first 2 shown]
	s_clause 0x2
	global_load_b32 v23, v[31:32], off
	global_load_b32 v20, v[27:28], off
	;; [unrolled: 1-line block ×3, first 2 shown]
.LBB37_5:                               ;   in Loop: Header=BB37_3 Depth=1
	s_waitcnt vmcnt(3)
	v_add_f32_e32 v13, v13, v14
	s_delay_alu instid0(VALU_DEP_1) | instskip(SKIP_1) | instid1(VALU_DEP_1)
	v_add_f32_e32 v13, v13, v24
	s_waitcnt vmcnt(2)
	v_add_f32_e32 v13, v23, v13
	s_delay_alu instid0(VALU_DEP_1) | instskip(SKIP_1) | instid1(VALU_DEP_2)
	v_mul_f32_e32 v14, 0xbfb8aa3b, v13
	v_cmp_nlt_f32_e32 vcc_lo, 0x42ce8ed0, v13
	v_fma_f32 v23, 0xbfb8aa3b, v13, -v14
	v_rndne_f32_e32 v24, v14
	s_delay_alu instid0(VALU_DEP_1) | instskip(NEXT) | instid1(VALU_DEP_1)
	v_dual_fmac_f32 v23, 0xb2a5705f, v13 :: v_dual_sub_f32 v14, v14, v24
	v_add_f32_e32 v14, v14, v23
	v_cvt_i32_f32_e32 v23, v24
	s_delay_alu instid0(VALU_DEP_2) | instskip(SKIP_2) | instid1(VALU_DEP_1)
	v_exp_f32_e32 v14, v14
	s_waitcnt_depctr 0xfff
	v_ldexp_f32 v14, v14, v23
	v_cndmask_b32_e32 v14, 0, v14, vcc_lo
	v_cmp_ngt_f32_e32 vcc_lo, 0xc2b17218, v13
	s_delay_alu instid0(VALU_DEP_2) | instskip(NEXT) | instid1(VALU_DEP_1)
	v_cndmask_b32_e32 v13, 0x7f800000, v14, vcc_lo
	v_add_f32_e32 v13, 1.0, v13
	s_delay_alu instid0(VALU_DEP_1) | instskip(SKIP_1) | instid1(VALU_DEP_2)
	v_div_scale_f32 v14, null, v13, v13, 1.0
	v_div_scale_f32 v25, vcc_lo, 1.0, v13, 1.0
	v_rcp_f32_e32 v23, v14
	s_waitcnt_depctr 0xfff
	v_fma_f32 v24, -v14, v23, 1.0
	s_delay_alu instid0(VALU_DEP_1) | instskip(NEXT) | instid1(VALU_DEP_1)
	v_fmac_f32_e32 v23, v24, v23
	v_mul_f32_e32 v24, v25, v23
	s_delay_alu instid0(VALU_DEP_1) | instskip(NEXT) | instid1(VALU_DEP_1)
	v_fma_f32 v26, -v14, v24, v25
	v_fmac_f32_e32 v24, v26, v23
	s_delay_alu instid0(VALU_DEP_1) | instskip(NEXT) | instid1(VALU_DEP_1)
	v_fma_f32 v14, -v14, v24, v25
	v_div_fmas_f32 v23, v14, v23, v24
	v_add_f32_e32 v14, v12, v21
	s_waitcnt vmcnt(0)
	v_add_f32_e32 v12, v16, v22
                                        ; implicit-def: $vgpr16
	s_delay_alu instid0(VALU_DEP_3) | instskip(NEXT) | instid1(VALU_DEP_1)
	v_div_fixup_f32 v13, v23, v13, 1.0
	v_fmac_f32_e32 v14, v12, v13
	s_delay_alu instid0(VALU_DEP_1) | instskip(NEXT) | instid1(VALU_DEP_1)
	v_cmp_ngt_f32_e64 s0, 0x3f200000, |v14|
	s_and_saveexec_b32 s1, s0
	s_delay_alu instid0(SALU_CYCLE_1)
	s_xor_b32 s0, exec_lo, s1
	s_cbranch_execz .LBB37_7
; %bb.6:                                ;   in Loop: Header=BB37_3 Depth=1
	v_add_f32_e64 v16, |v14|, |v14|
	s_delay_alu instid0(VALU_DEP_1) | instskip(SKIP_1) | instid1(VALU_DEP_2)
	v_mul_f32_e32 v21, 0x3fb8aa3b, v16
	v_cmp_ngt_f32_e32 vcc_lo, 0xc2ce8ed0, v16
	v_rndne_f32_e32 v22, v21
	v_fma_f32 v23, 0x3fb8aa3b, v16, -v21
	s_delay_alu instid0(VALU_DEP_2) | instskip(NEXT) | instid1(VALU_DEP_2)
	v_sub_f32_e32 v21, v21, v22
	v_fmac_f32_e32 v23, 0x32a5705f, v16
	v_cvt_i32_f32_e32 v22, v22
	s_delay_alu instid0(VALU_DEP_2) | instskip(NEXT) | instid1(VALU_DEP_1)
	v_add_f32_e32 v21, v21, v23
	v_exp_f32_e32 v21, v21
	s_waitcnt_depctr 0xfff
	v_ldexp_f32 v21, v21, v22
	s_delay_alu instid0(VALU_DEP_1) | instskip(SKIP_1) | instid1(VALU_DEP_2)
	v_cndmask_b32_e32 v21, 0, v21, vcc_lo
	v_cmp_nlt_f32_e32 vcc_lo, 0x42b17218, v16
	v_cndmask_b32_e32 v16, 0x7f800000, v21, vcc_lo
	s_delay_alu instid0(VALU_DEP_1) | instskip(NEXT) | instid1(VALU_DEP_1)
	v_add_f32_e32 v16, 1.0, v16
	v_rcp_f32_e32 v16, v16
	s_waitcnt_depctr 0xfff
	v_fma_f32 v16, v16, -2.0, 1.0
.LBB37_7:                               ;   in Loop: Header=BB37_3 Depth=1
	s_and_not1_saveexec_b32 s0, s0
	s_cbranch_execz .LBB37_2
; %bb.8:                                ;   in Loop: Header=BB37_3 Depth=1
	v_mul_f32_e32 v16, v14, v14
	s_delay_alu instid0(VALU_DEP_1) | instskip(NEXT) | instid1(VALU_DEP_1)
	v_fmaak_f32 v21, s55, v16, 0x3ca908c9
	v_fmaak_f32 v21, v16, v21, 0xbd5c1c4e
	s_delay_alu instid0(VALU_DEP_1) | instskip(NEXT) | instid1(VALU_DEP_1)
	v_fmaak_f32 v21, v16, v21, 0x3e088382
	v_fmaak_f32 v21, v16, v21, 0xbeaaaa99
	s_delay_alu instid0(VALU_DEP_1) | instskip(NEXT) | instid1(VALU_DEP_1)
	v_mul_f32_e64 v21, |v14|, v21
	v_fma_f32 v16, v16, v21, |v14|
	s_branch .LBB37_2
.LBB37_9:
	s_nop 0
	s_sendmsg sendmsg(MSG_DEALLOC_VGPRS)
	s_endpgm
	.section	.rodata,"a",@progbits
	.p2align	6, 0x0
	.amdhsa_kernel _ZN2at6native12_GLOBAL__N_16kernel16gru_cell_forwardIffiLi2EEEvNS_4cuda6detail10TensorInfoIT_T1_EES9_S9_S9_S9_S9_S9_S8_S8_
		.amdhsa_group_segment_fixed_size 0
		.amdhsa_private_segment_fixed_size 0
		.amdhsa_kernarg_size 1776
		.amdhsa_user_sgpr_count 15
		.amdhsa_user_sgpr_dispatch_ptr 0
		.amdhsa_user_sgpr_queue_ptr 0
		.amdhsa_user_sgpr_kernarg_segment_ptr 1
		.amdhsa_user_sgpr_dispatch_id 0
		.amdhsa_user_sgpr_private_segment_size 0
		.amdhsa_wavefront_size32 1
		.amdhsa_uses_dynamic_stack 0
		.amdhsa_enable_private_segment 0
		.amdhsa_system_sgpr_workgroup_id_x 1
		.amdhsa_system_sgpr_workgroup_id_y 0
		.amdhsa_system_sgpr_workgroup_id_z 0
		.amdhsa_system_sgpr_workgroup_info 0
		.amdhsa_system_vgpr_workitem_id 0
		.amdhsa_next_free_vgpr 44
		.amdhsa_next_free_sgpr 56
		.amdhsa_reserve_vcc 1
		.amdhsa_float_round_mode_32 0
		.amdhsa_float_round_mode_16_64 0
		.amdhsa_float_denorm_mode_32 3
		.amdhsa_float_denorm_mode_16_64 3
		.amdhsa_dx10_clamp 1
		.amdhsa_ieee_mode 1
		.amdhsa_fp16_overflow 0
		.amdhsa_workgroup_processor_mode 1
		.amdhsa_memory_ordered 1
		.amdhsa_forward_progress 0
		.amdhsa_shared_vgpr_count 0
		.amdhsa_exception_fp_ieee_invalid_op 0
		.amdhsa_exception_fp_denorm_src 0
		.amdhsa_exception_fp_ieee_div_zero 0
		.amdhsa_exception_fp_ieee_overflow 0
		.amdhsa_exception_fp_ieee_underflow 0
		.amdhsa_exception_fp_ieee_inexact 0
		.amdhsa_exception_int_div_zero 0
	.end_amdhsa_kernel
	.section	.text._ZN2at6native12_GLOBAL__N_16kernel16gru_cell_forwardIffiLi2EEEvNS_4cuda6detail10TensorInfoIT_T1_EES9_S9_S9_S9_S9_S9_S8_S8_,"axG",@progbits,_ZN2at6native12_GLOBAL__N_16kernel16gru_cell_forwardIffiLi2EEEvNS_4cuda6detail10TensorInfoIT_T1_EES9_S9_S9_S9_S9_S9_S8_S8_,comdat
.Lfunc_end37:
	.size	_ZN2at6native12_GLOBAL__N_16kernel16gru_cell_forwardIffiLi2EEEvNS_4cuda6detail10TensorInfoIT_T1_EES9_S9_S9_S9_S9_S9_S8_S8_, .Lfunc_end37-_ZN2at6native12_GLOBAL__N_16kernel16gru_cell_forwardIffiLi2EEEvNS_4cuda6detail10TensorInfoIT_T1_EES9_S9_S9_S9_S9_S9_S8_S8_
                                        ; -- End function
	.section	.AMDGPU.csdata,"",@progbits
; Kernel info:
; codeLenInByte = 4028
; NumSgprs: 58
; NumVgprs: 44
; ScratchSize: 0
; MemoryBound: 0
; FloatMode: 240
; IeeeMode: 1
; LDSByteSize: 0 bytes/workgroup (compile time only)
; SGPRBlocks: 7
; VGPRBlocks: 5
; NumSGPRsForWavesPerEU: 58
; NumVGPRsForWavesPerEU: 44
; Occupancy: 16
; WaveLimiterHint : 1
; COMPUTE_PGM_RSRC2:SCRATCH_EN: 0
; COMPUTE_PGM_RSRC2:USER_SGPR: 15
; COMPUTE_PGM_RSRC2:TRAP_HANDLER: 0
; COMPUTE_PGM_RSRC2:TGID_X_EN: 1
; COMPUTE_PGM_RSRC2:TGID_Y_EN: 0
; COMPUTE_PGM_RSRC2:TGID_Z_EN: 0
; COMPUTE_PGM_RSRC2:TIDIG_COMP_CNT: 0
	.section	.text._ZN2at6native12_GLOBAL__N_16kernel16gru_cell_forwardIfflLi1EEEvNS_4cuda6detail10TensorInfoIT_T1_EES9_S9_S9_S9_S9_S9_S8_S8_,"axG",@progbits,_ZN2at6native12_GLOBAL__N_16kernel16gru_cell_forwardIfflLi1EEEvNS_4cuda6detail10TensorInfoIT_T1_EES9_S9_S9_S9_S9_S9_S8_S8_,comdat
	.globl	_ZN2at6native12_GLOBAL__N_16kernel16gru_cell_forwardIfflLi1EEEvNS_4cuda6detail10TensorInfoIT_T1_EES9_S9_S9_S9_S9_S9_S8_S8_ ; -- Begin function _ZN2at6native12_GLOBAL__N_16kernel16gru_cell_forwardIfflLi1EEEvNS_4cuda6detail10TensorInfoIT_T1_EES9_S9_S9_S9_S9_S9_S8_S8_
	.p2align	8
	.type	_ZN2at6native12_GLOBAL__N_16kernel16gru_cell_forwardIfflLi1EEEvNS_4cuda6detail10TensorInfoIT_T1_EES9_S9_S9_S9_S9_S9_S8_S8_,@function
_ZN2at6native12_GLOBAL__N_16kernel16gru_cell_forwardIfflLi1EEEvNS_4cuda6detail10TensorInfoIT_T1_EES9_S9_S9_S9_S9_S9_S8_S8_: ; @_ZN2at6native12_GLOBAL__N_16kernel16gru_cell_forwardIfflLi1EEEvNS_4cuda6detail10TensorInfoIT_T1_EES9_S9_S9_S9_S9_S9_S8_S8_
; %bb.0:
	s_clause 0x1
	s_load_b32 s2, s[0:1], 0xb7c
	s_load_b128 s[4:7], s[0:1], 0xb60
	v_mov_b32_e32 v1, 0
	s_add_u32 s8, s0, 0xb70
	s_addc_u32 s9, s1, 0
	s_waitcnt lgkmcnt(0)
	s_and_b32 s26, s2, 0xffff
	s_mov_b32 s2, exec_lo
	v_mad_u64_u32 v[3:4], null, s15, s26, v[0:1]
	v_mov_b32_e32 v4, v1
	s_delay_alu instid0(VALU_DEP_1)
	v_cmpx_gt_i64_e64 s[6:7], v[3:4]
	s_cbranch_execz .LBB38_13
; %bb.1:
	s_clause 0x2
	s_load_b64 s[30:31], s[0:1], 0x750
	s_load_b64 s[34:35], s[0:1], 0x680
	;; [unrolled: 1-line block ×3, first 2 shown]
	s_load_b32 s27, s[8:9], 0x0
	s_clause 0x5
	s_load_b64 s[36:37], s[0:1], 0x8f0
	s_load_b64 s[38:39], s[0:1], 0x820
	;; [unrolled: 1-line block ×6, first 2 shown]
	v_cvt_f32_u32_e32 v0, s4
	s_clause 0x4
	s_load_b64 s[16:17], s[0:1], 0x410
	s_load_b64 s[18:19], s[0:1], 0x4e0
	;; [unrolled: 1-line block ×5, first 2 shown]
	s_mov_b32 s1, 0
	v_rcp_iflag_f32_e32 v0, v0
	s_waitcnt lgkmcnt(0)
	v_mul_lo_u32 v2, 0, s30
	v_mul_lo_u32 v7, v3, s31
	v_mad_u64_u32 v[5:6], null, v3, s30, 0
	v_mul_lo_u32 v9, 0, s36
	s_waitcnt_depctr 0xfff
	v_mul_f32_e32 v0, 0x4f7ffffe, v0
	s_cmp_lg_u64 s[2:3], 0
	s_mul_i32 s33, s27, s26
	s_cselect_b32 s40, -1, 0
	s_lshl_b64 s[26:27], s[4:5], 1
	v_add3_u32 v6, v6, v7, v2
	v_mul_lo_u32 v2, v3, s37
	v_mad_u64_u32 v[7:8], null, v3, s36, 0
	v_cvt_u32_f32_e32 v0, v0
	s_lshl_b64 s[28:29], s[4:5], 2
	s_sub_u32 s41, 0, s4
	s_subb_u32 s42, 0, s5
	s_sub_i32 s43, 0, s4
	v_lshlrev_b64 v[5:6], 2, v[5:6]
	s_delay_alu instid0(VALU_DEP_3)
	v_add3_u32 v8, v8, v2, v9
	v_mul_lo_u32 v2, s43, v0
	s_mul_i32 s0, s33, s31
	s_mul_hi_u32 s31, s33, s30
	s_mul_i32 s30, s33, s30
	v_lshlrev_b64 v[7:8], 2, v[7:8]
	v_add_co_u32 v5, vcc_lo, s34, v5
	v_add_co_ci_u32_e32 v6, vcc_lo, s35, v6, vcc_lo
	s_delay_alu instid0(VALU_DEP_4) | instskip(NEXT) | instid1(VALU_DEP_4)
	v_mul_hi_u32 v2, v0, v2
	v_add_co_u32 v7, vcc_lo, s38, v7
	s_add_i32 s31, s31, s0
	s_mul_i32 s0, s33, s37
	s_mul_hi_u32 s34, s33, s36
	v_add_co_ci_u32_e32 v8, vcc_lo, s39, v8, vcc_lo
	s_delay_alu instid0(VALU_DEP_3)
	v_add_nc_u32_e32 v0, v0, v2
	s_add_i32 s35, s34, s0
	s_mul_i32 s34, s33, s36
	s_lshl_b64 s[30:31], s[30:31], 2
	s_lshl_b64 s[34:35], s[34:35], 2
	s_ashr_i32 s36, s5, 31
	s_mov_b32 s43, 0xbbbac73d
	s_branch .LBB38_3
.LBB38_2:                               ;   in Loop: Header=BB38_3 Depth=1
	s_or_b32 exec_lo, exec_lo, s0
	s_waitcnt_depctr 0xfff
	v_bfi_b32 v23, 0x7fffffff, v15, v16
	v_add_f32_e32 v13, v13, v14
	v_mul_lo_u32 v19, s29, v9
	v_add_co_u32 v5, vcc_lo, v5, s30
	s_delay_alu instid0(VALU_DEP_3) | instskip(SKIP_1) | instid1(VALU_DEP_2)
	v_dual_sub_f32 v24, v2, v23 :: v_dual_add_f32 v13, v13, v17
	v_add_co_ci_u32_e32 v6, vcc_lo, s31, v6, vcc_lo
	v_add_f32_e32 v21, v13, v18
	v_mad_u64_u32 v[13:14], null, s28, v9, v[3:4]
	v_mul_lo_u32 v18, s28, v10
	v_lshlrev_b64 v[9:10], 2, v[9:10]
	s_delay_alu instid0(VALU_DEP_4) | instskip(NEXT) | instid1(VALU_DEP_4)
	v_mul_f32_e32 v17, 0xbfb8aa3b, v21
	v_mul_lo_u32 v30, v13, s25
	s_delay_alu instid0(VALU_DEP_2) | instskip(SKIP_3) | instid1(VALU_DEP_4)
	v_fma_f32 v15, 0xbfb8aa3b, v21, -v17
	v_rndne_f32_e32 v16, v17
	v_add3_u32 v29, v19, v14, v18
	v_add_co_u32 v27, vcc_lo, v9, 4
	v_fmac_f32_e32 v15, 0xb2a5705f, v21
	s_delay_alu instid0(VALU_DEP_4) | instskip(SKIP_3) | instid1(VALU_DEP_4)
	v_sub_f32_e32 v17, v17, v16
	v_cvt_i32_f32_e32 v18, v16
	v_add_co_ci_u32_e32 v28, vcc_lo, 0, v10, vcc_lo
	v_or_b32_e32 v22, 2, v9
	v_add_f32_e32 v15, v17, v15
	v_cmp_nlt_f32_e32 vcc_lo, 0x42ce8ed0, v21
	v_or_b32_e32 v20, 1, v9
	v_or_b32_e32 v26, 3, v9
	v_mul_lo_u32 v32, s5, v22
	v_exp_f32_e32 v17, v15
	v_mad_u64_u32 v[15:16], null, s4, v22, v[3:4]
	v_mul_lo_u32 v25, s4, v10
	v_mad_u64_u32 v[9:10], null, v13, s24, 0
	v_mul_lo_u32 v31, s5, v20
	;; [unrolled: 2-line block ×3, first 2 shown]
	s_delay_alu instid0(TRANS32_DEP_1) | instskip(SKIP_3) | instid1(VALU_DEP_4)
	v_ldexp_f32 v19, v17, v18
	v_mad_u64_u32 v[17:18], null, s4, v26, v[3:4]
	v_mul_lo_u32 v26, s4, v28
	v_mul_lo_u32 v28, s5, v27
	v_cndmask_b32_e32 v22, 0, v19, vcc_lo
	v_cmp_ngt_f32_e32 vcc_lo, 0xc2b17218, v21
	v_mad_u64_u32 v[19:20], null, s4, v27, v[3:4]
	v_mul_lo_u32 v29, v29, s24
	v_add3_u32 v31, v31, v14, v25
	v_cndmask_b32_e32 v21, 0x7f800000, v22, vcc_lo
	v_mul_lo_u32 v34, v13, s25
	v_add3_u32 v32, v32, v16, v25
	v_mul_lo_u32 v36, v15, s25
	v_add3_u32 v25, v33, v18, v25
	v_add_f32_e32 v27, 1.0, v21
	v_mad_u64_u32 v[21:22], null, v13, s24, 0
	v_mad_u64_u32 v[13:14], null, v15, s24, 0
	s_delay_alu instid0(VALU_DEP_3) | instskip(SKIP_2) | instid1(VALU_DEP_3)
	v_div_scale_f32 v35, null, v27, v27, 1.0
	v_mul_lo_u32 v33, v17, s25
	v_mad_u64_u32 v[15:16], null, v17, s24, 0
	v_rcp_f32_e32 v37, v35
	v_add3_u32 v20, v28, v20, v26
	v_mul_lo_u32 v26, v19, s25
	v_mad_u64_u32 v[17:18], null, v19, s24, 0
	v_add_co_u32 v3, vcc_lo, v3, s33
	v_add_co_ci_u32_e32 v4, vcc_lo, 0, v4, vcc_lo
	v_add3_u32 v10, v10, v30, v29
	s_delay_alu instid0(TRANS32_DEP_1) | instskip(SKIP_3) | instid1(VALU_DEP_4)
	v_fma_f32 v19, -v35, v37, 1.0
	v_div_scale_f32 v29, vcc_lo, 1.0, v27, 1.0
	v_mul_lo_u32 v28, v31, s24
	v_mul_lo_u32 v20, v20, s24
	v_fmac_f32_e32 v37, v19, v37
	v_mul_lo_u32 v19, v32, s24
	v_mul_lo_u32 v25, v25, s24
	v_lshlrev_b64 v[9:10], 2, v[9:10]
	s_delay_alu instid0(VALU_DEP_4) | instskip(SKIP_3) | instid1(VALU_DEP_4)
	v_mul_f32_e32 v30, v29, v37
	v_add3_u32 v22, v22, v34, v28
	v_add3_u32 v18, v18, v26, v20
	;; [unrolled: 1-line block ×3, first 2 shown]
	v_fma_f32 v31, -v35, v30, v29
	s_delay_alu instid0(VALU_DEP_4)
	v_lshlrev_b64 v[19:20], 2, v[21:22]
	v_add3_u32 v16, v16, v33, v25
	v_lshlrev_b64 v[17:18], 2, v[17:18]
	v_lshlrev_b64 v[13:14], 2, v[13:14]
	v_fmac_f32_e32 v30, v31, v37
	v_add_co_u32 v9, s0, s22, v9
	v_lshlrev_b64 v[15:16], 2, v[15:16]
	v_add_co_ci_u32_e64 v10, s0, s23, v10, s0
	s_delay_alu instid0(VALU_DEP_4) | instskip(SKIP_1) | instid1(VALU_DEP_1)
	v_fma_f32 v21, -v35, v30, v29
	v_add_co_u32 v19, s0, s22, v19
	v_add_co_ci_u32_e64 v20, s0, s23, v20, s0
	s_delay_alu instid0(VALU_DEP_3) | instskip(SKIP_2) | instid1(VALU_DEP_3)
	v_div_fmas_f32 v21, v21, v37, v30
	v_add_co_u32 v13, vcc_lo, s22, v13
	v_add_co_ci_u32_e32 v14, vcc_lo, s23, v14, vcc_lo
	v_div_fixup_f32 v21, v21, v27, 1.0
	v_add_co_u32 v15, vcc_lo, s22, v15
	v_add_co_ci_u32_e32 v16, vcc_lo, s23, v16, vcc_lo
	s_delay_alu instid0(VALU_DEP_3)
	v_fma_f32 v22, v21, v24, v23
	v_add_co_u32 v17, vcc_lo, s22, v17
	v_add_co_ci_u32_e32 v18, vcc_lo, s23, v18, vcc_lo
	v_cmp_le_i64_e32 vcc_lo, s[6:7], v[3:4]
	global_store_b32 v[7:8], v22, off
	s_clause 0x1
	global_store_b32 v[9:10], v12, off
	global_store_b32 v[19:20], v21, off
	v_add_co_u32 v7, s0, v7, s34
	s_delay_alu instid0(VALU_DEP_1)
	v_add_co_ci_u32_e64 v8, s0, s35, v8, s0
	s_or_b32 s1, vcc_lo, s1
	s_clause 0x2
	global_store_b32 v[13:14], v23, off
	global_store_b32 v[15:16], v2, off
	;; [unrolled: 1-line block ×3, first 2 shown]
	s_and_not1_b32 exec_lo, exec_lo, s1
	s_cbranch_execz .LBB38_13
.LBB38_3:                               ; =>This Inner Loop Header: Depth=1
	v_or_b32_e32 v2, s5, v4
                                        ; implicit-def: $vgpr9_vgpr10
	s_mov_b32 s0, exec_lo
	s_delay_alu instid0(VALU_DEP_1)
	v_cmpx_ne_u64_e32 0, v[1:2]
	s_xor_b32 s44, exec_lo, s0
	s_cbranch_execz .LBB38_5
; %bb.4:                                ;   in Loop: Header=BB38_3 Depth=1
	s_add_u32 s38, s4, s36
	s_mov_b32 s37, s36
	s_addc_u32 s39, s5, s36
	s_delay_alu instid0(SALU_CYCLE_1) | instskip(NEXT) | instid1(SALU_CYCLE_1)
	s_xor_b64 s[38:39], s[38:39], s[36:37]
	v_cvt_f32_u32_e32 v2, s38
	v_cvt_f32_u32_e32 v9, s39
	s_sub_u32 s0, 0, s38
	s_subb_u32 s37, 0, s39
	s_delay_alu instid0(VALU_DEP_1) | instskip(NEXT) | instid1(VALU_DEP_1)
	v_fmac_f32_e32 v2, 0x4f800000, v9
	v_rcp_f32_e32 v2, v2
	s_waitcnt_depctr 0xfff
	v_mul_f32_e32 v2, 0x5f7ffffc, v2
	s_delay_alu instid0(VALU_DEP_1) | instskip(NEXT) | instid1(VALU_DEP_1)
	v_mul_f32_e32 v9, 0x2f800000, v2
	v_trunc_f32_e32 v9, v9
	s_delay_alu instid0(VALU_DEP_1) | instskip(SKIP_1) | instid1(VALU_DEP_2)
	v_fmac_f32_e32 v2, 0xcf800000, v9
	v_cvt_u32_f32_e32 v9, v9
	v_cvt_u32_f32_e32 v2, v2
	s_delay_alu instid0(VALU_DEP_2) | instskip(NEXT) | instid1(VALU_DEP_2)
	v_mul_lo_u32 v10, s0, v9
	v_mul_hi_u32 v11, s0, v2
	v_mul_lo_u32 v12, s37, v2
	s_delay_alu instid0(VALU_DEP_2) | instskip(SKIP_1) | instid1(VALU_DEP_2)
	v_add_nc_u32_e32 v10, v11, v10
	v_mul_lo_u32 v11, s0, v2
	v_add_nc_u32_e32 v10, v10, v12
	s_delay_alu instid0(VALU_DEP_2) | instskip(NEXT) | instid1(VALU_DEP_2)
	v_mul_hi_u32 v12, v2, v11
	v_mul_lo_u32 v13, v2, v10
	v_mul_hi_u32 v14, v2, v10
	v_mul_hi_u32 v15, v9, v11
	v_mul_lo_u32 v11, v9, v11
	v_mul_hi_u32 v16, v9, v10
	v_mul_lo_u32 v10, v9, v10
	v_add_co_u32 v12, vcc_lo, v12, v13
	v_add_co_ci_u32_e32 v13, vcc_lo, 0, v14, vcc_lo
	s_delay_alu instid0(VALU_DEP_2) | instskip(NEXT) | instid1(VALU_DEP_2)
	v_add_co_u32 v11, vcc_lo, v12, v11
	v_add_co_ci_u32_e32 v11, vcc_lo, v13, v15, vcc_lo
	v_add_co_ci_u32_e32 v12, vcc_lo, 0, v16, vcc_lo
	v_ashrrev_i32_e32 v15, 31, v4
	s_delay_alu instid0(VALU_DEP_3) | instskip(NEXT) | instid1(VALU_DEP_3)
	v_add_co_u32 v10, vcc_lo, v11, v10
	v_add_co_ci_u32_e32 v11, vcc_lo, 0, v12, vcc_lo
	s_delay_alu instid0(VALU_DEP_2) | instskip(NEXT) | instid1(VALU_DEP_2)
	v_add_co_u32 v2, vcc_lo, v2, v10
	v_add_co_ci_u32_e32 v9, vcc_lo, v9, v11, vcc_lo
	s_delay_alu instid0(VALU_DEP_2) | instskip(SKIP_1) | instid1(VALU_DEP_3)
	v_mul_hi_u32 v10, s0, v2
	v_mul_lo_u32 v12, s37, v2
	v_mul_lo_u32 v11, s0, v9
	s_delay_alu instid0(VALU_DEP_1) | instskip(SKIP_1) | instid1(VALU_DEP_2)
	v_add_nc_u32_e32 v10, v10, v11
	v_mul_lo_u32 v11, s0, v2
	v_add_nc_u32_e32 v10, v10, v12
	s_delay_alu instid0(VALU_DEP_2) | instskip(NEXT) | instid1(VALU_DEP_2)
	v_mul_hi_u32 v12, v2, v11
	v_mul_lo_u32 v13, v2, v10
	v_mul_hi_u32 v14, v2, v10
	v_mul_hi_u32 v16, v9, v11
	v_mul_lo_u32 v11, v9, v11
	v_mul_hi_u32 v17, v9, v10
	v_mul_lo_u32 v10, v9, v10
	v_add_co_u32 v12, vcc_lo, v12, v13
	v_add_co_ci_u32_e32 v13, vcc_lo, 0, v14, vcc_lo
	s_delay_alu instid0(VALU_DEP_2) | instskip(NEXT) | instid1(VALU_DEP_2)
	v_add_co_u32 v11, vcc_lo, v12, v11
	v_add_co_ci_u32_e32 v11, vcc_lo, v13, v16, vcc_lo
	v_add_co_ci_u32_e32 v12, vcc_lo, 0, v17, vcc_lo
	v_add_co_u32 v13, vcc_lo, v3, v15
	v_add_co_ci_u32_e32 v14, vcc_lo, v4, v15, vcc_lo
	s_delay_alu instid0(VALU_DEP_4) | instskip(NEXT) | instid1(VALU_DEP_4)
	v_add_co_u32 v10, vcc_lo, v11, v10
	v_add_co_ci_u32_e32 v11, vcc_lo, 0, v12, vcc_lo
	s_delay_alu instid0(VALU_DEP_4) | instskip(NEXT) | instid1(VALU_DEP_3)
	v_xor_b32_e32 v16, v13, v15
	v_add_co_u32 v2, vcc_lo, v2, v10
	s_delay_alu instid0(VALU_DEP_3) | instskip(SKIP_1) | instid1(VALU_DEP_3)
	v_add_co_ci_u32_e32 v17, vcc_lo, v9, v11, vcc_lo
	v_xor_b32_e32 v18, v14, v15
	v_mul_hi_u32 v19, v16, v2
	s_delay_alu instid0(VALU_DEP_3) | instskip(NEXT) | instid1(VALU_DEP_3)
	v_mad_u64_u32 v[9:10], null, v16, v17, 0
	v_mad_u64_u32 v[11:12], null, v18, v2, 0
	;; [unrolled: 1-line block ×3, first 2 shown]
	s_delay_alu instid0(VALU_DEP_3) | instskip(NEXT) | instid1(VALU_DEP_4)
	v_add_co_u32 v2, vcc_lo, v19, v9
	v_add_co_ci_u32_e32 v9, vcc_lo, 0, v10, vcc_lo
	s_delay_alu instid0(VALU_DEP_2) | instskip(NEXT) | instid1(VALU_DEP_2)
	v_add_co_u32 v2, vcc_lo, v2, v11
	v_add_co_ci_u32_e32 v2, vcc_lo, v9, v12, vcc_lo
	v_add_co_ci_u32_e32 v9, vcc_lo, 0, v14, vcc_lo
	s_delay_alu instid0(VALU_DEP_2) | instskip(NEXT) | instid1(VALU_DEP_2)
	v_add_co_u32 v2, vcc_lo, v2, v13
	v_add_co_ci_u32_e32 v11, vcc_lo, 0, v9, vcc_lo
	s_delay_alu instid0(VALU_DEP_2) | instskip(SKIP_1) | instid1(VALU_DEP_3)
	v_mul_lo_u32 v12, s39, v2
	v_mad_u64_u32 v[9:10], null, s38, v2, 0
	v_mul_lo_u32 v13, s38, v11
	s_delay_alu instid0(VALU_DEP_2) | instskip(NEXT) | instid1(VALU_DEP_2)
	v_sub_co_u32 v9, vcc_lo, v16, v9
	v_add3_u32 v10, v10, v13, v12
	s_delay_alu instid0(VALU_DEP_1) | instskip(NEXT) | instid1(VALU_DEP_1)
	v_sub_nc_u32_e32 v12, v18, v10
	v_subrev_co_ci_u32_e64 v12, s0, s39, v12, vcc_lo
	v_add_co_u32 v13, s0, v2, 2
	s_delay_alu instid0(VALU_DEP_1) | instskip(SKIP_3) | instid1(VALU_DEP_3)
	v_add_co_ci_u32_e64 v14, s0, 0, v11, s0
	v_sub_co_u32 v16, s0, v9, s38
	v_sub_co_ci_u32_e32 v10, vcc_lo, v18, v10, vcc_lo
	v_subrev_co_ci_u32_e64 v12, s0, 0, v12, s0
	v_cmp_le_u32_e32 vcc_lo, s38, v16
	s_delay_alu instid0(VALU_DEP_3) | instskip(SKIP_1) | instid1(VALU_DEP_4)
	v_cmp_eq_u32_e64 s0, s39, v10
	v_cndmask_b32_e64 v16, 0, -1, vcc_lo
	v_cmp_le_u32_e32 vcc_lo, s39, v12
	v_cndmask_b32_e64 v17, 0, -1, vcc_lo
	v_cmp_le_u32_e32 vcc_lo, s38, v9
	;; [unrolled: 2-line block ×3, first 2 shown]
	v_cndmask_b32_e64 v18, 0, -1, vcc_lo
	v_cmp_eq_u32_e32 vcc_lo, s39, v12
	s_delay_alu instid0(VALU_DEP_2) | instskip(SKIP_3) | instid1(VALU_DEP_3)
	v_cndmask_b32_e64 v9, v18, v9, s0
	v_cndmask_b32_e32 v12, v17, v16, vcc_lo
	v_add_co_u32 v16, vcc_lo, v2, 1
	v_add_co_ci_u32_e32 v17, vcc_lo, 0, v11, vcc_lo
	v_cmp_ne_u32_e32 vcc_lo, 0, v12
	s_delay_alu instid0(VALU_DEP_2) | instskip(NEXT) | instid1(VALU_DEP_4)
	v_cndmask_b32_e32 v10, v17, v14, vcc_lo
	v_cndmask_b32_e32 v12, v16, v13, vcc_lo
	v_cmp_ne_u32_e32 vcc_lo, 0, v9
	v_xor_b32_e32 v13, s36, v15
	s_delay_alu instid0(VALU_DEP_3) | instskip(NEXT) | instid1(VALU_DEP_1)
	v_dual_cndmask_b32 v2, v2, v12 :: v_dual_cndmask_b32 v9, v11, v10
	v_xor_b32_e32 v2, v2, v13
	s_delay_alu instid0(VALU_DEP_2) | instskip(NEXT) | instid1(VALU_DEP_2)
	v_xor_b32_e32 v10, v9, v13
	v_sub_co_u32 v9, vcc_lo, v2, v13
	s_delay_alu instid0(VALU_DEP_2)
	v_sub_co_ci_u32_e32 v10, vcc_lo, v10, v13, vcc_lo
.LBB38_5:                               ;   in Loop: Header=BB38_3 Depth=1
	s_and_not1_saveexec_b32 s0, s44
; %bb.6:                                ;   in Loop: Header=BB38_3 Depth=1
	v_mul_hi_u32 v2, v3, v0
	s_delay_alu instid0(VALU_DEP_1) | instskip(NEXT) | instid1(VALU_DEP_1)
	v_mul_lo_u32 v9, v2, s4
	v_sub_nc_u32_e32 v9, v3, v9
	s_delay_alu instid0(VALU_DEP_1) | instskip(SKIP_1) | instid1(VALU_DEP_2)
	v_subrev_nc_u32_e32 v11, s4, v9
	v_cmp_le_u32_e32 vcc_lo, s4, v9
	v_dual_cndmask_b32 v9, v9, v11 :: v_dual_add_nc_u32 v10, 1, v2
	s_delay_alu instid0(VALU_DEP_1) | instskip(NEXT) | instid1(VALU_DEP_2)
	v_cndmask_b32_e32 v2, v2, v10, vcc_lo
	v_cmp_le_u32_e32 vcc_lo, s4, v9
	s_delay_alu instid0(VALU_DEP_2) | instskip(NEXT) | instid1(VALU_DEP_1)
	v_add_nc_u32_e32 v10, 1, v2
	v_dual_cndmask_b32 v9, v2, v10 :: v_dual_mov_b32 v10, v1
; %bb.7:                                ;   in Loop: Header=BB38_3 Depth=1
	s_or_b32 exec_lo, exec_lo, s0
	s_delay_alu instid0(VALU_DEP_1) | instskip(SKIP_3) | instid1(VALU_DEP_4)
	v_lshlrev_b64 v[13:14], 1, v[9:10]
	v_mad_u64_u32 v[11:12], null, s26, v9, v[3:4]
	v_mul_lo_u32 v2, s26, v10
	v_mul_lo_u32 v15, s27, v9
	v_or_b32_e32 v17, 1, v13
	v_mul_lo_u32 v18, s4, v14
	v_add_co_u32 v21, vcc_lo, v13, 2
	v_mul_lo_u32 v19, v11, s11
	s_delay_alu instid0(VALU_DEP_4) | instskip(SKIP_3) | instid1(VALU_DEP_3)
	v_mul_lo_u32 v20, s5, v17
	v_add3_u32 v2, v15, v12, v2
	v_mad_u64_u32 v[15:16], null, s4, v17, v[3:4]
	v_mad_u64_u32 v[12:13], null, v11, s10, 0
	v_mul_lo_u32 v22, v2, s10
	v_add_co_ci_u32_e32 v14, vcc_lo, 0, v14, vcc_lo
	v_mul_lo_u32 v26, v11, s15
	v_add3_u32 v23, v20, v16, v18
	v_mul_lo_u32 v20, s5, v21
	s_delay_alu instid0(VALU_DEP_4)
	v_mul_lo_u32 v14, s4, v14
	v_mad_u64_u32 v[16:17], null, s4, v21, v[3:4]
	v_add3_u32 v13, v13, v19, v22
	v_mul_lo_u32 v21, v23, s10
	v_mul_lo_u32 v22, v15, s11
	v_mad_u64_u32 v[18:19], null, v15, s10, 0
	v_mul_lo_u32 v2, v2, s14
	v_add3_u32 v25, v20, v17, v14
	v_mul_lo_u32 v24, v16, s11
	v_mul_lo_u32 v27, v15, s15
	v_lshlrev_b64 v[12:13], 2, v[12:13]
	v_add3_u32 v19, v19, v22, v21
	v_mul_lo_u32 v14, v25, s10
	v_mad_u64_u32 v[21:22], null, v11, s14, 0
	v_mul_lo_u32 v11, v23, s14
	s_delay_alu instid0(VALU_DEP_4)
	v_lshlrev_b64 v[17:18], 2, v[18:19]
	v_mad_u64_u32 v[19:20], null, v16, s10, 0
	v_add_co_u32 v12, vcc_lo, s8, v12
	v_add3_u32 v22, v22, v26, v2
	v_mul_lo_u32 v2, v25, s14
	v_mul_lo_u32 v25, v16, s15
	v_add_co_ci_u32_e32 v13, vcc_lo, s9, v13, vcc_lo
	v_add3_u32 v20, v20, v24, v14
	v_mad_u64_u32 v[23:24], null, v15, s14, 0
	v_add_co_u32 v17, vcc_lo, s8, v17
	s_delay_alu instid0(VALU_DEP_3)
	v_lshlrev_b64 v[14:15], 2, v[19:20]
	v_mad_u64_u32 v[19:20], null, v16, s14, 0
	v_lshlrev_b64 v[21:22], 2, v[21:22]
	v_add3_u32 v24, v24, v27, v11
	v_add_co_ci_u32_e32 v18, vcc_lo, s9, v18, vcc_lo
	v_add_co_u32 v14, vcc_lo, s8, v14
	v_add3_u32 v20, v20, v25, v2
	s_delay_alu instid0(VALU_DEP_4) | instskip(SKIP_2) | instid1(VALU_DEP_4)
	v_lshlrev_b64 v[23:24], 2, v[23:24]
	v_add_co_ci_u32_e32 v15, vcc_lo, s9, v15, vcc_lo
	v_add_co_u32 v21, vcc_lo, s12, v21
	v_lshlrev_b64 v[19:20], 2, v[19:20]
	v_add_co_ci_u32_e32 v22, vcc_lo, s13, v22, vcc_lo
	v_add_co_u32 v23, vcc_lo, s12, v23
	v_add_co_ci_u32_e32 v24, vcc_lo, s13, v24, vcc_lo
	s_delay_alu instid0(VALU_DEP_4)
	v_add_co_u32 v19, vcc_lo, s12, v19
	v_add_co_ci_u32_e32 v20, vcc_lo, s13, v20, vcc_lo
	s_clause 0x2
	global_load_b32 v12, v[12:13], off
	global_load_b32 v13, v[17:18], off
	;; [unrolled: 1-line block ×3, first 2 shown]
	s_clause 0x2
	global_load_b32 v16, v[21:22], off
	global_load_b32 v14, v[23:24], off
	;; [unrolled: 1-line block ×4, first 2 shown]
	v_dual_mov_b32 v17, 0 :: v_dual_mov_b32 v18, 0
	v_dual_mov_b32 v19, 0 :: v_dual_mov_b32 v20, 0
	v_dual_mov_b32 v21, 0 :: v_dual_mov_b32 v22, 0
	s_and_not1_b32 vcc_lo, exec_lo, s40
	s_cbranch_vccnz .LBB38_9
; %bb.8:                                ;   in Loop: Header=BB38_3 Depth=1
	v_mad_u64_u32 v[17:18], null, s41, v9, v[3:4]
	v_mul_lo_u32 v19, s41, v10
	v_mul_lo_u32 v20, s42, v9
	v_sub_co_u32 v22, vcc_lo, 1, v9
	v_sub_co_ci_u32_e32 v21, vcc_lo, 0, v10, vcc_lo
	v_mul_lo_u32 v23, v17, s17
	s_delay_alu instid0(VALU_DEP_3)
	v_mul_lo_u32 v25, s5, v22
	v_mul_lo_u32 v34, v17, s21
	v_add3_u32 v26, v20, v18, v19
	v_mul_lo_u32 v24, s4, v21
	v_mad_u64_u32 v[20:21], null, s4, v22, v[3:4]
	v_mad_u64_u32 v[18:19], null, v17, s16, 0
	s_delay_alu instid0(VALU_DEP_4) | instskip(SKIP_1) | instid1(VALU_DEP_4)
	v_mul_lo_u32 v22, v26, s16
	v_mul_lo_u32 v35, v26, s20
	v_add3_u32 v30, v25, v21, v24
	v_sub_co_u32 v25, vcc_lo, 2, v9
	v_mul_lo_u32 v28, v20, s17
	v_add3_u32 v19, v19, v23, v22
	v_sub_co_ci_u32_e32 v23, vcc_lo, 0, v10, vcc_lo
	v_mul_lo_u32 v27, v30, s16
	v_mad_u64_u32 v[21:22], null, v20, s16, 0
	s_delay_alu instid0(VALU_DEP_3)
	v_mul_lo_u32 v29, s4, v23
	v_mul_lo_u32 v31, s5, v25
	v_mad_u64_u32 v[23:24], null, s4, v25, v[3:4]
	v_lshlrev_b64 v[18:19], 2, v[18:19]
	v_add3_u32 v22, v22, v28, v27
	v_mad_u64_u32 v[26:27], null, v17, s20, 0
	v_mul_lo_u32 v17, v30, s20
	v_add3_u32 v31, v31, v24, v29
	s_delay_alu instid0(VALU_DEP_4) | instskip(SKIP_2) | instid1(VALU_DEP_4)
	v_lshlrev_b64 v[21:22], 2, v[21:22]
	v_mul_lo_u32 v33, v23, s17
	v_mad_u64_u32 v[24:25], null, v23, s16, 0
	v_mul_lo_u32 v32, v31, s16
	v_add_co_u32 v18, vcc_lo, s2, v18
	v_add_co_ci_u32_e32 v19, vcc_lo, s3, v19, vcc_lo
	v_add_co_u32 v28, vcc_lo, s2, v21
	v_add_co_ci_u32_e32 v29, vcc_lo, s3, v22, vcc_lo
	v_add3_u32 v25, v25, v33, v32
	v_mul_lo_u32 v32, v20, s21
	v_mad_u64_u32 v[21:22], null, v20, s20, 0
	v_add3_u32 v27, v27, v34, v35
	v_mul_lo_u32 v33, v31, s20
	v_mul_lo_u32 v34, v23, s21
	v_mad_u64_u32 v[30:31], null, v23, s20, 0
	v_lshlrev_b64 v[24:25], 2, v[24:25]
	v_add3_u32 v22, v22, v32, v17
	v_lshlrev_b64 v[26:27], 2, v[26:27]
	s_delay_alu instid0(VALU_DEP_4) | instskip(NEXT) | instid1(VALU_DEP_4)
	v_add3_u32 v31, v31, v34, v33
	v_add_co_u32 v23, vcc_lo, s2, v24
	s_delay_alu instid0(VALU_DEP_4)
	v_lshlrev_b64 v[20:21], 2, v[21:22]
	v_add_co_ci_u32_e32 v24, vcc_lo, s3, v25, vcc_lo
	v_add_co_u32 v25, vcc_lo, s18, v26
	v_lshlrev_b64 v[30:31], 2, v[30:31]
	v_add_co_ci_u32_e32 v26, vcc_lo, s19, v27, vcc_lo
	v_add_co_u32 v32, vcc_lo, s18, v20
	v_add_co_ci_u32_e32 v33, vcc_lo, s19, v21, vcc_lo
	s_delay_alu instid0(VALU_DEP_4)
	v_add_co_u32 v30, vcc_lo, s18, v30
	v_add_co_ci_u32_e32 v31, vcc_lo, s19, v31, vcc_lo
	s_clause 0x2
	global_load_b32 v22, v[18:19], off
	global_load_b32 v17, v[28:29], off
	;; [unrolled: 1-line block ×3, first 2 shown]
	s_clause 0x2
	global_load_b32 v21, v[25:26], off
	global_load_b32 v18, v[32:33], off
	;; [unrolled: 1-line block ×3, first 2 shown]
.LBB38_9:                               ;   in Loop: Header=BB38_3 Depth=1
	s_waitcnt vmcnt(3)
	v_add_f32_e32 v12, v12, v16
	s_delay_alu instid0(VALU_DEP_1) | instskip(SKIP_1) | instid1(VALU_DEP_1)
	v_add_f32_e32 v12, v12, v22
	s_waitcnt vmcnt(2)
	v_add_f32_e32 v12, v21, v12
	s_delay_alu instid0(VALU_DEP_1) | instskip(SKIP_1) | instid1(VALU_DEP_2)
	v_mul_f32_e32 v16, 0xbfb8aa3b, v12
	v_cmp_nlt_f32_e32 vcc_lo, 0x42ce8ed0, v12
	v_fma_f32 v21, 0xbfb8aa3b, v12, -v16
	v_rndne_f32_e32 v22, v16
	s_delay_alu instid0(VALU_DEP_1) | instskip(NEXT) | instid1(VALU_DEP_1)
	v_dual_fmac_f32 v21, 0xb2a5705f, v12 :: v_dual_sub_f32 v16, v16, v22
	v_add_f32_e32 v16, v16, v21
	v_cvt_i32_f32_e32 v21, v22
	s_delay_alu instid0(VALU_DEP_2) | instskip(SKIP_2) | instid1(VALU_DEP_1)
	v_exp_f32_e32 v16, v16
	s_waitcnt_depctr 0xfff
	v_ldexp_f32 v16, v16, v21
	v_cndmask_b32_e32 v16, 0, v16, vcc_lo
	v_cmp_ngt_f32_e32 vcc_lo, 0xc2b17218, v12
	s_delay_alu instid0(VALU_DEP_2) | instskip(NEXT) | instid1(VALU_DEP_1)
	v_cndmask_b32_e32 v12, 0x7f800000, v16, vcc_lo
	v_add_f32_e32 v12, 1.0, v12
	s_delay_alu instid0(VALU_DEP_1) | instskip(SKIP_1) | instid1(VALU_DEP_2)
	v_div_scale_f32 v16, null, v12, v12, 1.0
	v_div_scale_f32 v23, vcc_lo, 1.0, v12, 1.0
	v_rcp_f32_e32 v21, v16
	s_waitcnt_depctr 0xfff
	v_fma_f32 v22, -v16, v21, 1.0
	s_delay_alu instid0(VALU_DEP_1) | instskip(NEXT) | instid1(VALU_DEP_1)
	v_fmac_f32_e32 v21, v22, v21
	v_mul_f32_e32 v22, v23, v21
	s_delay_alu instid0(VALU_DEP_1) | instskip(NEXT) | instid1(VALU_DEP_1)
	v_fma_f32 v24, -v16, v22, v23
	v_fmac_f32_e32 v22, v24, v21
	s_delay_alu instid0(VALU_DEP_1) | instskip(NEXT) | instid1(VALU_DEP_1)
	v_fma_f32 v16, -v16, v22, v23
	v_div_fmas_f32 v21, v16, v21, v22
	v_add_f32_e32 v16, v11, v19
	s_waitcnt vmcnt(0)
	v_add_f32_e32 v11, v15, v20
                                        ; implicit-def: $vgpr15
	s_delay_alu instid0(VALU_DEP_3) | instskip(NEXT) | instid1(VALU_DEP_1)
	v_div_fixup_f32 v12, v21, v12, 1.0
	v_fmac_f32_e32 v16, v11, v12
	s_delay_alu instid0(VALU_DEP_1) | instskip(NEXT) | instid1(VALU_DEP_1)
	v_cmp_ngt_f32_e64 s0, 0x3f200000, |v16|
	s_and_saveexec_b32 s37, s0
	s_delay_alu instid0(SALU_CYCLE_1)
	s_xor_b32 s0, exec_lo, s37
	s_cbranch_execz .LBB38_11
; %bb.10:                               ;   in Loop: Header=BB38_3 Depth=1
	v_add_f32_e64 v15, |v16|, |v16|
	s_delay_alu instid0(VALU_DEP_1) | instskip(SKIP_1) | instid1(VALU_DEP_2)
	v_mul_f32_e32 v19, 0x3fb8aa3b, v15
	v_cmp_ngt_f32_e32 vcc_lo, 0xc2ce8ed0, v15
	v_rndne_f32_e32 v20, v19
	v_fma_f32 v21, 0x3fb8aa3b, v15, -v19
	s_delay_alu instid0(VALU_DEP_2) | instskip(NEXT) | instid1(VALU_DEP_2)
	v_sub_f32_e32 v19, v19, v20
	v_fmac_f32_e32 v21, 0x32a5705f, v15
	v_cvt_i32_f32_e32 v20, v20
	s_delay_alu instid0(VALU_DEP_2) | instskip(NEXT) | instid1(VALU_DEP_1)
	v_add_f32_e32 v19, v19, v21
	v_exp_f32_e32 v19, v19
	s_waitcnt_depctr 0xfff
	v_ldexp_f32 v19, v19, v20
	s_delay_alu instid0(VALU_DEP_1) | instskip(SKIP_1) | instid1(VALU_DEP_2)
	v_cndmask_b32_e32 v19, 0, v19, vcc_lo
	v_cmp_nlt_f32_e32 vcc_lo, 0x42b17218, v15
	v_cndmask_b32_e32 v15, 0x7f800000, v19, vcc_lo
	s_delay_alu instid0(VALU_DEP_1) | instskip(NEXT) | instid1(VALU_DEP_1)
	v_add_f32_e32 v15, 1.0, v15
	v_rcp_f32_e32 v15, v15
	s_waitcnt_depctr 0xfff
	v_fma_f32 v15, v15, -2.0, 1.0
.LBB38_11:                              ;   in Loop: Header=BB38_3 Depth=1
	s_and_not1_saveexec_b32 s0, s0
	s_cbranch_execz .LBB38_2
; %bb.12:                               ;   in Loop: Header=BB38_3 Depth=1
	v_mul_f32_e32 v15, v16, v16
	s_delay_alu instid0(VALU_DEP_1) | instskip(NEXT) | instid1(VALU_DEP_1)
	v_fmaak_f32 v19, s43, v15, 0x3ca908c9
	v_fmaak_f32 v19, v15, v19, 0xbd5c1c4e
	s_delay_alu instid0(VALU_DEP_1) | instskip(NEXT) | instid1(VALU_DEP_1)
	v_fmaak_f32 v19, v15, v19, 0x3e088382
	v_fmaak_f32 v19, v15, v19, 0xbeaaaa99
	s_delay_alu instid0(VALU_DEP_1) | instskip(NEXT) | instid1(VALU_DEP_1)
	v_mul_f32_e64 v19, |v16|, v19
	v_fma_f32 v15, v15, v19, |v16|
	s_branch .LBB38_2
.LBB38_13:
	s_nop 0
	s_sendmsg sendmsg(MSG_DEALLOC_VGPRS)
	s_endpgm
	.section	.rodata,"a",@progbits
	.p2align	6, 0x0
	.amdhsa_kernel _ZN2at6native12_GLOBAL__N_16kernel16gru_cell_forwardIfflLi1EEEvNS_4cuda6detail10TensorInfoIT_T1_EES9_S9_S9_S9_S9_S9_S8_S8_
		.amdhsa_group_segment_fixed_size 0
		.amdhsa_private_segment_fixed_size 0
		.amdhsa_kernarg_size 3184
		.amdhsa_user_sgpr_count 15
		.amdhsa_user_sgpr_dispatch_ptr 0
		.amdhsa_user_sgpr_queue_ptr 0
		.amdhsa_user_sgpr_kernarg_segment_ptr 1
		.amdhsa_user_sgpr_dispatch_id 0
		.amdhsa_user_sgpr_private_segment_size 0
		.amdhsa_wavefront_size32 1
		.amdhsa_uses_dynamic_stack 0
		.amdhsa_enable_private_segment 0
		.amdhsa_system_sgpr_workgroup_id_x 1
		.amdhsa_system_sgpr_workgroup_id_y 0
		.amdhsa_system_sgpr_workgroup_id_z 0
		.amdhsa_system_sgpr_workgroup_info 0
		.amdhsa_system_vgpr_workitem_id 0
		.amdhsa_next_free_vgpr 38
		.amdhsa_next_free_sgpr 45
		.amdhsa_reserve_vcc 1
		.amdhsa_float_round_mode_32 0
		.amdhsa_float_round_mode_16_64 0
		.amdhsa_float_denorm_mode_32 3
		.amdhsa_float_denorm_mode_16_64 3
		.amdhsa_dx10_clamp 1
		.amdhsa_ieee_mode 1
		.amdhsa_fp16_overflow 0
		.amdhsa_workgroup_processor_mode 1
		.amdhsa_memory_ordered 1
		.amdhsa_forward_progress 0
		.amdhsa_shared_vgpr_count 0
		.amdhsa_exception_fp_ieee_invalid_op 0
		.amdhsa_exception_fp_denorm_src 0
		.amdhsa_exception_fp_ieee_div_zero 0
		.amdhsa_exception_fp_ieee_overflow 0
		.amdhsa_exception_fp_ieee_underflow 0
		.amdhsa_exception_fp_ieee_inexact 0
		.amdhsa_exception_int_div_zero 0
	.end_amdhsa_kernel
	.section	.text._ZN2at6native12_GLOBAL__N_16kernel16gru_cell_forwardIfflLi1EEEvNS_4cuda6detail10TensorInfoIT_T1_EES9_S9_S9_S9_S9_S9_S8_S8_,"axG",@progbits,_ZN2at6native12_GLOBAL__N_16kernel16gru_cell_forwardIfflLi1EEEvNS_4cuda6detail10TensorInfoIT_T1_EES9_S9_S9_S9_S9_S9_S8_S8_,comdat
.Lfunc_end38:
	.size	_ZN2at6native12_GLOBAL__N_16kernel16gru_cell_forwardIfflLi1EEEvNS_4cuda6detail10TensorInfoIT_T1_EES9_S9_S9_S9_S9_S9_S8_S8_, .Lfunc_end38-_ZN2at6native12_GLOBAL__N_16kernel16gru_cell_forwardIfflLi1EEEvNS_4cuda6detail10TensorInfoIT_T1_EES9_S9_S9_S9_S9_S9_S8_S8_
                                        ; -- End function
	.section	.AMDGPU.csdata,"",@progbits
; Kernel info:
; codeLenInByte = 3776
; NumSgprs: 47
; NumVgprs: 38
; ScratchSize: 0
; MemoryBound: 0
; FloatMode: 240
; IeeeMode: 1
; LDSByteSize: 0 bytes/workgroup (compile time only)
; SGPRBlocks: 5
; VGPRBlocks: 4
; NumSGPRsForWavesPerEU: 47
; NumVGPRsForWavesPerEU: 38
; Occupancy: 16
; WaveLimiterHint : 1
; COMPUTE_PGM_RSRC2:SCRATCH_EN: 0
; COMPUTE_PGM_RSRC2:USER_SGPR: 15
; COMPUTE_PGM_RSRC2:TRAP_HANDLER: 0
; COMPUTE_PGM_RSRC2:TGID_X_EN: 1
; COMPUTE_PGM_RSRC2:TGID_Y_EN: 0
; COMPUTE_PGM_RSRC2:TGID_Z_EN: 0
; COMPUTE_PGM_RSRC2:TIDIG_COMP_CNT: 0
	.section	.text._ZN2at6native12_GLOBAL__N_16kernel16gru_cell_forwardIfflLi2EEEvNS_4cuda6detail10TensorInfoIT_T1_EES9_S9_S9_S9_S9_S9_S8_S8_,"axG",@progbits,_ZN2at6native12_GLOBAL__N_16kernel16gru_cell_forwardIfflLi2EEEvNS_4cuda6detail10TensorInfoIT_T1_EES9_S9_S9_S9_S9_S9_S8_S8_,comdat
	.globl	_ZN2at6native12_GLOBAL__N_16kernel16gru_cell_forwardIfflLi2EEEvNS_4cuda6detail10TensorInfoIT_T1_EES9_S9_S9_S9_S9_S9_S8_S8_ ; -- Begin function _ZN2at6native12_GLOBAL__N_16kernel16gru_cell_forwardIfflLi2EEEvNS_4cuda6detail10TensorInfoIT_T1_EES9_S9_S9_S9_S9_S9_S8_S8_
	.p2align	8
	.type	_ZN2at6native12_GLOBAL__N_16kernel16gru_cell_forwardIfflLi2EEEvNS_4cuda6detail10TensorInfoIT_T1_EES9_S9_S9_S9_S9_S9_S8_S8_,@function
_ZN2at6native12_GLOBAL__N_16kernel16gru_cell_forwardIfflLi2EEEvNS_4cuda6detail10TensorInfoIT_T1_EES9_S9_S9_S9_S9_S9_S8_S8_: ; @_ZN2at6native12_GLOBAL__N_16kernel16gru_cell_forwardIfflLi2EEEvNS_4cuda6detail10TensorInfoIT_T1_EES9_S9_S9_S9_S9_S9_S8_S8_
; %bb.0:
	s_clause 0x1
	s_load_b32 s2, s[0:1], 0xb7c
	s_load_b128 s[4:7], s[0:1], 0xb60
	v_mov_b32_e32 v1, 0
	s_add_u32 s16, s0, 0xb70
	s_addc_u32 s17, s1, 0
	s_waitcnt lgkmcnt(0)
	s_and_b32 s33, s2, 0xffff
	s_mov_b32 s2, exec_lo
	v_mad_u64_u32 v[3:4], null, s15, s33, v[0:1]
	v_mov_b32_e32 v4, v1
	s_delay_alu instid0(VALU_DEP_1)
	v_cmpx_gt_i64_e64 s[6:7], v[3:4]
	s_cbranch_execz .LBB39_65
; %bb.1:
	v_cvt_f32_u32_e32 v0, s4
	s_clause 0x6
	s_load_b64 s[2:3], s[0:1], 0x0
	s_load_b64 s[28:29], s[0:1], 0x10
	s_load_b128 s[8:11], s[0:1], 0xd0
	s_load_b64 s[30:31], s[0:1], 0x1a0
	s_load_b64 s[34:35], s[0:1], 0x340
	;; [unrolled: 1-line block ×3, first 2 shown]
	s_load_b128 s[12:15], s[0:1], 0x270
	s_load_b32 s56, s[16:17], 0x0
	s_clause 0xb
	s_load_b64 s[38:39], s[0:1], 0x410
	s_load_b64 s[40:41], s[0:1], 0x4e0
	;; [unrolled: 1-line block ×5, first 2 shown]
	s_load_b128 s[16:19], s[0:1], 0x750
	s_load_b64 s[48:49], s[0:1], 0x820
	s_load_b64 s[50:51], s[0:1], 0x830
	s_load_b128 s[20:23], s[0:1], 0x8f0
	s_load_b64 s[52:53], s[0:1], 0x9c0
	s_load_b64 s[54:55], s[0:1], 0x9d0
	s_load_b128 s[24:27], s[0:1], 0xa90
	s_mov_b32 s64, 0
	s_mov_b32 s71, 0xbbbac73d
	v_rcp_iflag_f32_e32 v0, v0
	s_waitcnt lgkmcnt(0)
	s_cmp_lg_u64 s[34:35], 0
	s_cselect_b32 s1, -1, 0
	s_mul_i32 s33, s56, s33
	s_waitcnt_depctr 0xfff
	v_mul_f32_e32 v0, 0x4f7ffffe, v0
	s_lshl_b64 s[56:57], s[4:5], 1
	s_lshl_b64 s[58:59], s[4:5], 2
	s_sub_u32 s65, 0, s4
	s_subb_u32 s66, 0, s5
	s_sub_u32 s67, 0, s46
	v_cvt_u32_f32_e32 v0, v0
	s_subb_u32 s68, 0, s47
	s_sub_u32 s69, 0, s50
	s_subb_u32 s70, 0, s51
	s_branch .LBB39_3
.LBB39_2:                               ;   in Loop: Header=BB39_3 Depth=1
	s_or_b32 exec_lo, exec_lo, s0
	s_delay_alu instid0(VALU_DEP_1) | instskip(NEXT) | instid1(VALU_DEP_2)
	v_mul_lo_u32 v2, v8, s54
	v_mul_lo_u32 v11, v7, s55
	v_mad_u64_u32 v[9:10], null, v7, s54, 0
	v_mul_lo_u32 v12, v8, s24
	s_delay_alu instid0(VALU_DEP_2) | instskip(NEXT) | instid1(VALU_DEP_3)
	v_add3_u32 v2, v10, v11, v2
	v_sub_co_u32 v5, vcc_lo, v5, v9
	v_mul_lo_u32 v9, v7, s25
	s_delay_alu instid0(VALU_DEP_3) | instskip(NEXT) | instid1(VALU_DEP_3)
	v_sub_co_ci_u32_e32 v2, vcc_lo, v6, v2, vcc_lo
	v_add_co_u32 v10, vcc_lo, v3, v5
	v_mad_u64_u32 v[5:6], null, v7, s24, 0
	s_delay_alu instid0(VALU_DEP_3) | instskip(NEXT) | instid1(VALU_DEP_3)
	v_add_co_ci_u32_e32 v2, vcc_lo, v4, v2, vcc_lo
	v_mul_lo_u32 v11, v10, s27
	v_mad_u64_u32 v[7:8], null, v10, s26, 0
	s_delay_alu instid0(VALU_DEP_3) | instskip(SKIP_3) | instid1(VALU_DEP_3)
	v_mul_lo_u32 v2, v2, s26
	v_add3_u32 v6, v6, v9, v12
	v_add_co_u32 v3, vcc_lo, v3, s33
	v_add_co_ci_u32_e32 v4, vcc_lo, 0, v4, vcc_lo
	v_lshlrev_b64 v[5:6], 2, v[5:6]
	v_add3_u32 v8, v8, v11, v2
	s_delay_alu instid0(VALU_DEP_2) | instskip(NEXT) | instid1(VALU_DEP_2)
	v_add_co_u32 v2, vcc_lo, s52, v5
	v_lshlrev_b64 v[7:8], 2, v[7:8]
	s_delay_alu instid0(VALU_DEP_4) | instskip(SKIP_1) | instid1(VALU_DEP_3)
	v_add_co_ci_u32_e32 v6, vcc_lo, s53, v6, vcc_lo
	v_cmp_le_i64_e32 vcc_lo, s[6:7], v[3:4]
	v_add_co_u32 v5, s0, v2, v7
	s_delay_alu instid0(VALU_DEP_1)
	v_add_co_ci_u32_e64 v6, s0, v6, v8, s0
	s_or_b32 s64, vcc_lo, s64
	global_store_b32 v[5:6], v14, off
	s_and_not1_b32 exec_lo, exec_lo, s64
	s_cbranch_execz .LBB39_65
.LBB39_3:                               ; =>This Inner Loop Header: Depth=1
	v_or_b32_e32 v2, s5, v4
	v_ashrrev_i32_e32 v15, 31, v4
                                        ; implicit-def: $vgpr5_vgpr6
	s_mov_b32 s0, exec_lo
	s_delay_alu instid0(VALU_DEP_2)
	v_cmpx_ne_u64_e32 0, v[1:2]
	s_xor_b32 s72, exec_lo, s0
	s_cbranch_execz .LBB39_5
; %bb.4:                                ;   in Loop: Header=BB39_3 Depth=1
	s_ashr_i32 s60, s5, 31
	s_delay_alu instid0(SALU_CYCLE_1) | instskip(SKIP_2) | instid1(SALU_CYCLE_1)
	s_add_u32 s62, s4, s60
	s_mov_b32 s61, s60
	s_addc_u32 s63, s5, s60
	s_xor_b64 s[62:63], s[62:63], s[60:61]
	s_delay_alu instid0(SALU_CYCLE_1) | instskip(SKIP_3) | instid1(VALU_DEP_1)
	v_cvt_f32_u32_e32 v2, s62
	v_cvt_f32_u32_e32 v5, s63
	s_sub_u32 s0, 0, s62
	s_subb_u32 s61, 0, s63
	v_fmac_f32_e32 v2, 0x4f800000, v5
	s_delay_alu instid0(VALU_DEP_1) | instskip(SKIP_2) | instid1(VALU_DEP_1)
	v_rcp_f32_e32 v2, v2
	s_waitcnt_depctr 0xfff
	v_mul_f32_e32 v2, 0x5f7ffffc, v2
	v_mul_f32_e32 v5, 0x2f800000, v2
	s_delay_alu instid0(VALU_DEP_1) | instskip(NEXT) | instid1(VALU_DEP_1)
	v_trunc_f32_e32 v5, v5
	v_fmac_f32_e32 v2, 0xcf800000, v5
	v_cvt_u32_f32_e32 v5, v5
	s_delay_alu instid0(VALU_DEP_2) | instskip(NEXT) | instid1(VALU_DEP_2)
	v_cvt_u32_f32_e32 v2, v2
	v_mul_lo_u32 v6, s0, v5
	s_delay_alu instid0(VALU_DEP_2) | instskip(SKIP_1) | instid1(VALU_DEP_2)
	v_mul_hi_u32 v7, s0, v2
	v_mul_lo_u32 v8, s61, v2
	v_add_nc_u32_e32 v6, v7, v6
	v_mul_lo_u32 v7, s0, v2
	s_delay_alu instid0(VALU_DEP_2) | instskip(NEXT) | instid1(VALU_DEP_2)
	v_add_nc_u32_e32 v6, v6, v8
	v_mul_hi_u32 v8, v2, v7
	s_delay_alu instid0(VALU_DEP_2)
	v_mul_lo_u32 v9, v2, v6
	v_mul_hi_u32 v10, v2, v6
	v_mul_hi_u32 v11, v5, v7
	v_mul_lo_u32 v7, v5, v7
	v_mul_hi_u32 v12, v5, v6
	v_mul_lo_u32 v6, v5, v6
	v_add_co_u32 v8, vcc_lo, v8, v9
	v_add_co_ci_u32_e32 v9, vcc_lo, 0, v10, vcc_lo
	s_delay_alu instid0(VALU_DEP_2) | instskip(NEXT) | instid1(VALU_DEP_2)
	v_add_co_u32 v7, vcc_lo, v8, v7
	v_add_co_ci_u32_e32 v7, vcc_lo, v9, v11, vcc_lo
	v_add_co_ci_u32_e32 v8, vcc_lo, 0, v12, vcc_lo
	s_delay_alu instid0(VALU_DEP_2) | instskip(NEXT) | instid1(VALU_DEP_2)
	v_add_co_u32 v6, vcc_lo, v7, v6
	v_add_co_ci_u32_e32 v7, vcc_lo, 0, v8, vcc_lo
	s_delay_alu instid0(VALU_DEP_2) | instskip(NEXT) | instid1(VALU_DEP_2)
	v_add_co_u32 v2, vcc_lo, v2, v6
	v_add_co_ci_u32_e32 v5, vcc_lo, v5, v7, vcc_lo
	s_delay_alu instid0(VALU_DEP_2) | instskip(SKIP_1) | instid1(VALU_DEP_3)
	v_mul_hi_u32 v6, s0, v2
	v_mul_lo_u32 v8, s61, v2
	v_mul_lo_u32 v7, s0, v5
	s_delay_alu instid0(VALU_DEP_1) | instskip(SKIP_1) | instid1(VALU_DEP_2)
	v_add_nc_u32_e32 v6, v6, v7
	v_mul_lo_u32 v7, s0, v2
	v_add_nc_u32_e32 v6, v6, v8
	s_delay_alu instid0(VALU_DEP_2) | instskip(NEXT) | instid1(VALU_DEP_2)
	v_mul_hi_u32 v8, v2, v7
	v_mul_lo_u32 v9, v2, v6
	v_mul_hi_u32 v10, v2, v6
	v_mul_hi_u32 v11, v5, v7
	v_mul_lo_u32 v7, v5, v7
	v_mul_hi_u32 v12, v5, v6
	v_mul_lo_u32 v6, v5, v6
	v_add_co_u32 v8, vcc_lo, v8, v9
	v_add_co_ci_u32_e32 v9, vcc_lo, 0, v10, vcc_lo
	s_delay_alu instid0(VALU_DEP_2) | instskip(NEXT) | instid1(VALU_DEP_2)
	v_add_co_u32 v7, vcc_lo, v8, v7
	v_add_co_ci_u32_e32 v7, vcc_lo, v9, v11, vcc_lo
	v_add_co_ci_u32_e32 v8, vcc_lo, 0, v12, vcc_lo
	v_add_co_u32 v9, vcc_lo, v3, v15
	v_add_co_ci_u32_e32 v10, vcc_lo, v4, v15, vcc_lo
	s_delay_alu instid0(VALU_DEP_4) | instskip(NEXT) | instid1(VALU_DEP_4)
	v_add_co_u32 v6, vcc_lo, v7, v6
	v_add_co_ci_u32_e32 v7, vcc_lo, 0, v8, vcc_lo
	s_delay_alu instid0(VALU_DEP_4) | instskip(NEXT) | instid1(VALU_DEP_3)
	v_xor_b32_e32 v11, v9, v15
	v_add_co_u32 v2, vcc_lo, v2, v6
	s_delay_alu instid0(VALU_DEP_3) | instskip(SKIP_1) | instid1(VALU_DEP_3)
	v_add_co_ci_u32_e32 v12, vcc_lo, v5, v7, vcc_lo
	v_xor_b32_e32 v13, v10, v15
	v_mul_hi_u32 v14, v11, v2
	s_delay_alu instid0(VALU_DEP_3) | instskip(NEXT) | instid1(VALU_DEP_3)
	v_mad_u64_u32 v[5:6], null, v11, v12, 0
	v_mad_u64_u32 v[7:8], null, v13, v2, 0
	v_mad_u64_u32 v[9:10], null, v13, v12, 0
	s_delay_alu instid0(VALU_DEP_3) | instskip(NEXT) | instid1(VALU_DEP_4)
	v_add_co_u32 v2, vcc_lo, v14, v5
	v_add_co_ci_u32_e32 v5, vcc_lo, 0, v6, vcc_lo
	s_delay_alu instid0(VALU_DEP_2) | instskip(NEXT) | instid1(VALU_DEP_2)
	v_add_co_u32 v2, vcc_lo, v2, v7
	v_add_co_ci_u32_e32 v2, vcc_lo, v5, v8, vcc_lo
	v_add_co_ci_u32_e32 v5, vcc_lo, 0, v10, vcc_lo
	s_delay_alu instid0(VALU_DEP_2) | instskip(NEXT) | instid1(VALU_DEP_2)
	v_add_co_u32 v2, vcc_lo, v2, v9
	v_add_co_ci_u32_e32 v7, vcc_lo, 0, v5, vcc_lo
	s_delay_alu instid0(VALU_DEP_2) | instskip(SKIP_1) | instid1(VALU_DEP_3)
	v_mul_lo_u32 v8, s63, v2
	v_mad_u64_u32 v[5:6], null, s62, v2, 0
	v_mul_lo_u32 v9, s62, v7
	s_delay_alu instid0(VALU_DEP_2) | instskip(NEXT) | instid1(VALU_DEP_2)
	v_sub_co_u32 v5, vcc_lo, v11, v5
	v_add3_u32 v6, v6, v9, v8
	s_delay_alu instid0(VALU_DEP_1) | instskip(NEXT) | instid1(VALU_DEP_1)
	v_sub_nc_u32_e32 v8, v13, v6
	v_subrev_co_ci_u32_e64 v8, s0, s63, v8, vcc_lo
	v_add_co_u32 v9, s0, v2, 2
	s_delay_alu instid0(VALU_DEP_1) | instskip(SKIP_3) | instid1(VALU_DEP_3)
	v_add_co_ci_u32_e64 v10, s0, 0, v7, s0
	v_sub_co_u32 v11, s0, v5, s62
	v_sub_co_ci_u32_e32 v6, vcc_lo, v13, v6, vcc_lo
	v_subrev_co_ci_u32_e64 v8, s0, 0, v8, s0
	v_cmp_le_u32_e32 vcc_lo, s62, v11
	s_delay_alu instid0(VALU_DEP_3) | instskip(SKIP_1) | instid1(VALU_DEP_4)
	v_cmp_eq_u32_e64 s0, s63, v6
	v_cndmask_b32_e64 v11, 0, -1, vcc_lo
	v_cmp_le_u32_e32 vcc_lo, s63, v8
	v_cndmask_b32_e64 v12, 0, -1, vcc_lo
	v_cmp_le_u32_e32 vcc_lo, s62, v5
	;; [unrolled: 2-line block ×3, first 2 shown]
	v_cndmask_b32_e64 v13, 0, -1, vcc_lo
	v_cmp_eq_u32_e32 vcc_lo, s63, v8
	s_delay_alu instid0(VALU_DEP_2) | instskip(SKIP_3) | instid1(VALU_DEP_3)
	v_cndmask_b32_e64 v5, v13, v5, s0
	v_cndmask_b32_e32 v8, v12, v11, vcc_lo
	v_add_co_u32 v11, vcc_lo, v2, 1
	v_add_co_ci_u32_e32 v12, vcc_lo, 0, v7, vcc_lo
	v_cmp_ne_u32_e32 vcc_lo, 0, v8
	s_delay_alu instid0(VALU_DEP_2) | instskip(NEXT) | instid1(VALU_DEP_4)
	v_cndmask_b32_e32 v6, v12, v10, vcc_lo
	v_cndmask_b32_e32 v8, v11, v9, vcc_lo
	v_cmp_ne_u32_e32 vcc_lo, 0, v5
	v_xor_b32_e32 v9, s60, v15
	s_delay_alu instid0(VALU_DEP_3) | instskip(NEXT) | instid1(VALU_DEP_1)
	v_dual_cndmask_b32 v2, v2, v8 :: v_dual_cndmask_b32 v5, v7, v6
	v_xor_b32_e32 v2, v2, v9
	s_delay_alu instid0(VALU_DEP_2) | instskip(NEXT) | instid1(VALU_DEP_2)
	v_xor_b32_e32 v6, v5, v9
	v_sub_co_u32 v5, vcc_lo, v2, v9
	s_delay_alu instid0(VALU_DEP_2)
	v_sub_co_ci_u32_e32 v6, vcc_lo, v6, v9, vcc_lo
.LBB39_5:                               ;   in Loop: Header=BB39_3 Depth=1
	s_and_not1_saveexec_b32 s0, s72
	s_cbranch_execz .LBB39_7
; %bb.6:                                ;   in Loop: Header=BB39_3 Depth=1
	s_sub_i32 s60, 0, s4
	s_delay_alu instid0(SALU_CYCLE_1) | instskip(NEXT) | instid1(VALU_DEP_1)
	v_mul_lo_u32 v2, s60, v0
	v_mul_hi_u32 v2, v0, v2
	s_delay_alu instid0(VALU_DEP_1) | instskip(NEXT) | instid1(VALU_DEP_1)
	v_add_nc_u32_e32 v2, v0, v2
	v_mul_hi_u32 v2, v3, v2
	s_delay_alu instid0(VALU_DEP_1) | instskip(SKIP_1) | instid1(VALU_DEP_2)
	v_mul_lo_u32 v5, v2, s4
	v_add_nc_u32_e32 v6, 1, v2
	v_sub_nc_u32_e32 v5, v3, v5
	s_delay_alu instid0(VALU_DEP_1) | instskip(SKIP_1) | instid1(VALU_DEP_2)
	v_subrev_nc_u32_e32 v7, s4, v5
	v_cmp_le_u32_e32 vcc_lo, s4, v5
	v_dual_cndmask_b32 v5, v5, v7 :: v_dual_cndmask_b32 v2, v2, v6
	s_delay_alu instid0(VALU_DEP_1) | instskip(NEXT) | instid1(VALU_DEP_2)
	v_cmp_le_u32_e32 vcc_lo, s4, v5
	v_add_nc_u32_e32 v6, 1, v2
	s_delay_alu instid0(VALU_DEP_1)
	v_dual_cndmask_b32 v5, v2, v6 :: v_dual_mov_b32 v6, v1
.LBB39_7:                               ;   in Loop: Header=BB39_3 Depth=1
	s_or_b32 exec_lo, exec_lo, s0
	s_delay_alu instid0(VALU_DEP_1) | instskip(NEXT) | instid1(VALU_DEP_2)
	v_mul_lo_u32 v2, s57, v5
	v_mul_lo_u32 v9, s56, v6
	v_mad_u64_u32 v[7:8], null, s56, v5, 0
	s_mov_b32 s0, exec_lo
	s_delay_alu instid0(VALU_DEP_1) | instskip(NEXT) | instid1(VALU_DEP_2)
	v_add3_u32 v8, v8, v9, v2
	v_add_co_u32 v22, vcc_lo, v3, v7
                                        ; implicit-def: $vgpr9_vgpr10
	s_delay_alu instid0(VALU_DEP_2) | instskip(NEXT) | instid1(VALU_DEP_1)
	v_add_co_ci_u32_e32 v25, vcc_lo, v4, v8, vcc_lo
	v_or_b32_e32 v2, s29, v25
	v_ashrrev_i32_e32 v19, 31, v25
	s_delay_alu instid0(VALU_DEP_2)
	v_cmpx_ne_u64_e32 0, v[1:2]
	s_xor_b32 s72, exec_lo, s0
	s_cbranch_execz .LBB39_9
; %bb.8:                                ;   in Loop: Header=BB39_3 Depth=1
	s_ashr_i32 s60, s29, 31
	s_delay_alu instid0(SALU_CYCLE_1) | instskip(SKIP_2) | instid1(SALU_CYCLE_1)
	s_add_u32 s62, s28, s60
	s_mov_b32 s61, s60
	s_addc_u32 s63, s29, s60
	s_xor_b64 s[62:63], s[62:63], s[60:61]
	s_delay_alu instid0(SALU_CYCLE_1) | instskip(SKIP_3) | instid1(VALU_DEP_1)
	v_cvt_f32_u32_e32 v2, s62
	v_cvt_f32_u32_e32 v9, s63
	s_sub_u32 s0, 0, s62
	s_subb_u32 s61, 0, s63
	v_fmac_f32_e32 v2, 0x4f800000, v9
	s_delay_alu instid0(VALU_DEP_1) | instskip(SKIP_2) | instid1(VALU_DEP_1)
	v_rcp_f32_e32 v2, v2
	s_waitcnt_depctr 0xfff
	v_mul_f32_e32 v2, 0x5f7ffffc, v2
	v_mul_f32_e32 v9, 0x2f800000, v2
	s_delay_alu instid0(VALU_DEP_1) | instskip(NEXT) | instid1(VALU_DEP_1)
	v_trunc_f32_e32 v9, v9
	v_fmac_f32_e32 v2, 0xcf800000, v9
	v_cvt_u32_f32_e32 v9, v9
	s_delay_alu instid0(VALU_DEP_2) | instskip(NEXT) | instid1(VALU_DEP_2)
	v_cvt_u32_f32_e32 v2, v2
	v_mul_lo_u32 v10, s0, v9
	s_delay_alu instid0(VALU_DEP_2) | instskip(SKIP_1) | instid1(VALU_DEP_2)
	v_mul_hi_u32 v11, s0, v2
	v_mul_lo_u32 v12, s61, v2
	v_add_nc_u32_e32 v10, v11, v10
	v_mul_lo_u32 v11, s0, v2
	s_delay_alu instid0(VALU_DEP_2) | instskip(NEXT) | instid1(VALU_DEP_2)
	v_add_nc_u32_e32 v10, v10, v12
	v_mul_hi_u32 v12, v2, v11
	s_delay_alu instid0(VALU_DEP_2)
	v_mul_lo_u32 v13, v2, v10
	v_mul_hi_u32 v14, v2, v10
	v_mul_hi_u32 v16, v9, v11
	v_mul_lo_u32 v11, v9, v11
	v_mul_hi_u32 v17, v9, v10
	v_mul_lo_u32 v10, v9, v10
	v_add_co_u32 v12, vcc_lo, v12, v13
	v_add_co_ci_u32_e32 v13, vcc_lo, 0, v14, vcc_lo
	s_delay_alu instid0(VALU_DEP_2) | instskip(NEXT) | instid1(VALU_DEP_2)
	v_add_co_u32 v11, vcc_lo, v12, v11
	v_add_co_ci_u32_e32 v11, vcc_lo, v13, v16, vcc_lo
	v_add_co_ci_u32_e32 v12, vcc_lo, 0, v17, vcc_lo
	s_delay_alu instid0(VALU_DEP_2) | instskip(NEXT) | instid1(VALU_DEP_2)
	v_add_co_u32 v10, vcc_lo, v11, v10
	v_add_co_ci_u32_e32 v11, vcc_lo, 0, v12, vcc_lo
	s_delay_alu instid0(VALU_DEP_2) | instskip(NEXT) | instid1(VALU_DEP_2)
	v_add_co_u32 v2, vcc_lo, v2, v10
	v_add_co_ci_u32_e32 v9, vcc_lo, v9, v11, vcc_lo
	s_delay_alu instid0(VALU_DEP_2) | instskip(SKIP_1) | instid1(VALU_DEP_3)
	v_mul_hi_u32 v10, s0, v2
	v_mul_lo_u32 v12, s61, v2
	v_mul_lo_u32 v11, s0, v9
	s_delay_alu instid0(VALU_DEP_1) | instskip(SKIP_1) | instid1(VALU_DEP_2)
	v_add_nc_u32_e32 v10, v10, v11
	v_mul_lo_u32 v11, s0, v2
	v_add_nc_u32_e32 v10, v10, v12
	s_delay_alu instid0(VALU_DEP_2) | instskip(NEXT) | instid1(VALU_DEP_2)
	v_mul_hi_u32 v12, v2, v11
	v_mul_lo_u32 v13, v2, v10
	v_mul_hi_u32 v14, v2, v10
	v_mul_hi_u32 v16, v9, v11
	v_mul_lo_u32 v11, v9, v11
	v_mul_hi_u32 v17, v9, v10
	v_mul_lo_u32 v10, v9, v10
	v_add_co_u32 v12, vcc_lo, v12, v13
	v_add_co_ci_u32_e32 v13, vcc_lo, 0, v14, vcc_lo
	s_delay_alu instid0(VALU_DEP_2) | instskip(NEXT) | instid1(VALU_DEP_2)
	v_add_co_u32 v11, vcc_lo, v12, v11
	v_add_co_ci_u32_e32 v11, vcc_lo, v13, v16, vcc_lo
	v_add_co_ci_u32_e32 v12, vcc_lo, 0, v17, vcc_lo
	v_add_co_u32 v13, vcc_lo, v22, v19
	v_add_co_ci_u32_e32 v14, vcc_lo, v25, v19, vcc_lo
	s_delay_alu instid0(VALU_DEP_4) | instskip(NEXT) | instid1(VALU_DEP_4)
	v_add_co_u32 v10, vcc_lo, v11, v10
	v_add_co_ci_u32_e32 v11, vcc_lo, 0, v12, vcc_lo
	s_delay_alu instid0(VALU_DEP_4) | instskip(NEXT) | instid1(VALU_DEP_3)
	v_xor_b32_e32 v16, v13, v19
	v_add_co_u32 v2, vcc_lo, v2, v10
	s_delay_alu instid0(VALU_DEP_3) | instskip(SKIP_1) | instid1(VALU_DEP_3)
	v_add_co_ci_u32_e32 v17, vcc_lo, v9, v11, vcc_lo
	v_xor_b32_e32 v18, v14, v19
	v_mul_hi_u32 v20, v16, v2
	s_delay_alu instid0(VALU_DEP_3) | instskip(NEXT) | instid1(VALU_DEP_3)
	v_mad_u64_u32 v[9:10], null, v16, v17, 0
	v_mad_u64_u32 v[11:12], null, v18, v2, 0
	;; [unrolled: 1-line block ×3, first 2 shown]
	s_delay_alu instid0(VALU_DEP_3) | instskip(NEXT) | instid1(VALU_DEP_4)
	v_add_co_u32 v2, vcc_lo, v20, v9
	v_add_co_ci_u32_e32 v9, vcc_lo, 0, v10, vcc_lo
	s_delay_alu instid0(VALU_DEP_2) | instskip(NEXT) | instid1(VALU_DEP_2)
	v_add_co_u32 v2, vcc_lo, v2, v11
	v_add_co_ci_u32_e32 v2, vcc_lo, v9, v12, vcc_lo
	v_add_co_ci_u32_e32 v9, vcc_lo, 0, v14, vcc_lo
	s_delay_alu instid0(VALU_DEP_2) | instskip(NEXT) | instid1(VALU_DEP_2)
	v_add_co_u32 v2, vcc_lo, v2, v13
	v_add_co_ci_u32_e32 v11, vcc_lo, 0, v9, vcc_lo
	s_delay_alu instid0(VALU_DEP_2) | instskip(SKIP_1) | instid1(VALU_DEP_3)
	v_mul_lo_u32 v12, s63, v2
	v_mad_u64_u32 v[9:10], null, s62, v2, 0
	v_mul_lo_u32 v13, s62, v11
	s_delay_alu instid0(VALU_DEP_2) | instskip(NEXT) | instid1(VALU_DEP_2)
	v_sub_co_u32 v9, vcc_lo, v16, v9
	v_add3_u32 v10, v10, v13, v12
	s_delay_alu instid0(VALU_DEP_1) | instskip(NEXT) | instid1(VALU_DEP_1)
	v_sub_nc_u32_e32 v12, v18, v10
	v_subrev_co_ci_u32_e64 v12, s0, s63, v12, vcc_lo
	v_add_co_u32 v13, s0, v2, 2
	s_delay_alu instid0(VALU_DEP_1) | instskip(SKIP_3) | instid1(VALU_DEP_3)
	v_add_co_ci_u32_e64 v14, s0, 0, v11, s0
	v_sub_co_u32 v16, s0, v9, s62
	v_sub_co_ci_u32_e32 v10, vcc_lo, v18, v10, vcc_lo
	v_subrev_co_ci_u32_e64 v12, s0, 0, v12, s0
	v_cmp_le_u32_e32 vcc_lo, s62, v16
	s_delay_alu instid0(VALU_DEP_3) | instskip(SKIP_1) | instid1(VALU_DEP_4)
	v_cmp_eq_u32_e64 s0, s63, v10
	v_cndmask_b32_e64 v16, 0, -1, vcc_lo
	v_cmp_le_u32_e32 vcc_lo, s63, v12
	v_cndmask_b32_e64 v17, 0, -1, vcc_lo
	v_cmp_le_u32_e32 vcc_lo, s62, v9
	;; [unrolled: 2-line block ×3, first 2 shown]
	v_cndmask_b32_e64 v18, 0, -1, vcc_lo
	v_cmp_eq_u32_e32 vcc_lo, s63, v12
	s_delay_alu instid0(VALU_DEP_2) | instskip(SKIP_3) | instid1(VALU_DEP_3)
	v_cndmask_b32_e64 v9, v18, v9, s0
	v_cndmask_b32_e32 v12, v17, v16, vcc_lo
	v_add_co_u32 v16, vcc_lo, v2, 1
	v_add_co_ci_u32_e32 v17, vcc_lo, 0, v11, vcc_lo
	v_cmp_ne_u32_e32 vcc_lo, 0, v12
	s_delay_alu instid0(VALU_DEP_2) | instskip(NEXT) | instid1(VALU_DEP_4)
	v_cndmask_b32_e32 v10, v17, v14, vcc_lo
	v_cndmask_b32_e32 v12, v16, v13, vcc_lo
	v_cmp_ne_u32_e32 vcc_lo, 0, v9
	v_xor_b32_e32 v13, s60, v19
	s_delay_alu instid0(VALU_DEP_3) | instskip(NEXT) | instid1(VALU_DEP_1)
	v_dual_cndmask_b32 v2, v2, v12 :: v_dual_cndmask_b32 v9, v11, v10
	v_xor_b32_e32 v2, v2, v13
	s_delay_alu instid0(VALU_DEP_2) | instskip(NEXT) | instid1(VALU_DEP_2)
	v_xor_b32_e32 v10, v9, v13
	v_sub_co_u32 v9, vcc_lo, v2, v13
	s_delay_alu instid0(VALU_DEP_2)
	v_sub_co_ci_u32_e32 v10, vcc_lo, v10, v13, vcc_lo
.LBB39_9:                               ;   in Loop: Header=BB39_3 Depth=1
	s_or_saveexec_b32 s0, s72
	v_cvt_f32_u32_e32 v18, s28
	s_xor_b32 exec_lo, exec_lo, s0
	s_cbranch_execz .LBB39_11
; %bb.10:                               ;   in Loop: Header=BB39_3 Depth=1
	s_delay_alu instid0(VALU_DEP_1) | instskip(SKIP_3) | instid1(VALU_DEP_1)
	v_rcp_iflag_f32_e32 v2, v18
	s_sub_i32 s60, 0, s28
	s_waitcnt_depctr 0xfff
	v_mul_f32_e32 v2, 0x4f7ffffe, v2
	v_cvt_u32_f32_e32 v2, v2
	s_delay_alu instid0(VALU_DEP_1) | instskip(NEXT) | instid1(VALU_DEP_1)
	v_mul_lo_u32 v9, s60, v2
	v_mul_hi_u32 v9, v2, v9
	s_delay_alu instid0(VALU_DEP_1) | instskip(NEXT) | instid1(VALU_DEP_1)
	v_add_nc_u32_e32 v2, v2, v9
	v_mul_hi_u32 v2, v22, v2
	s_delay_alu instid0(VALU_DEP_1) | instskip(SKIP_1) | instid1(VALU_DEP_2)
	v_mul_lo_u32 v9, v2, s28
	v_add_nc_u32_e32 v10, 1, v2
	v_sub_nc_u32_e32 v9, v22, v9
	s_delay_alu instid0(VALU_DEP_1) | instskip(SKIP_1) | instid1(VALU_DEP_2)
	v_subrev_nc_u32_e32 v11, s28, v9
	v_cmp_le_u32_e32 vcc_lo, s28, v9
	v_dual_cndmask_b32 v9, v9, v11 :: v_dual_cndmask_b32 v2, v2, v10
	s_delay_alu instid0(VALU_DEP_1) | instskip(NEXT) | instid1(VALU_DEP_2)
	v_cmp_le_u32_e32 vcc_lo, s28, v9
	v_add_nc_u32_e32 v10, 1, v2
	s_delay_alu instid0(VALU_DEP_1)
	v_dual_cndmask_b32 v9, v2, v10 :: v_dual_mov_b32 v10, v1
.LBB39_11:                              ;   in Loop: Header=BB39_3 Depth=1
	s_or_b32 exec_lo, exec_lo, s0
	s_delay_alu instid0(VALU_DEP_1) | instskip(NEXT) | instid1(VALU_DEP_2)
	v_mul_lo_u32 v2, v10, s28
	v_mul_lo_u32 v13, v9, s29
	v_mad_u64_u32 v[11:12], null, v9, s28, 0
	v_mul_lo_u32 v14, v10, s8
	v_mul_lo_u32 v16, v9, s9
	s_mov_b32 s0, exec_lo
	s_delay_alu instid0(VALU_DEP_3) | instskip(NEXT) | instid1(VALU_DEP_4)
	v_add3_u32 v2, v12, v13, v2
	v_sub_co_u32 v10, vcc_lo, v7, v11
	s_delay_alu instid0(VALU_DEP_2) | instskip(NEXT) | instid1(VALU_DEP_2)
	v_sub_co_ci_u32_e32 v2, vcc_lo, v8, v2, vcc_lo
	v_add_co_u32 v17, vcc_lo, v3, v10
	v_mad_u64_u32 v[10:11], null, v9, s8, 0
	s_delay_alu instid0(VALU_DEP_3) | instskip(NEXT) | instid1(VALU_DEP_3)
	v_add_co_ci_u32_e32 v2, vcc_lo, v4, v2, vcc_lo
	v_mul_lo_u32 v9, v17, s11
	v_mad_u64_u32 v[12:13], null, v17, s10, 0
	s_delay_alu instid0(VALU_DEP_3) | instskip(SKIP_1) | instid1(VALU_DEP_2)
	v_mul_lo_u32 v2, v2, s10
	v_add3_u32 v11, v11, v16, v14
	v_add3_u32 v13, v13, v9, v2
	s_delay_alu instid0(VALU_DEP_2) | instskip(NEXT) | instid1(VALU_DEP_2)
	v_lshlrev_b64 v[9:10], 2, v[10:11]
	v_lshlrev_b64 v[11:12], 2, v[12:13]
	s_delay_alu instid0(VALU_DEP_2) | instskip(NEXT) | instid1(VALU_DEP_3)
	v_add_co_u32 v2, vcc_lo, s2, v9
	v_add_co_ci_u32_e32 v10, vcc_lo, s3, v10, vcc_lo
	s_delay_alu instid0(VALU_DEP_2) | instskip(NEXT) | instid1(VALU_DEP_2)
	v_add_co_u32 v9, vcc_lo, v2, v11
	v_add_co_ci_u32_e32 v10, vcc_lo, v10, v12, vcc_lo
	v_lshlrev_b64 v[11:12], 1, v[5:6]
	v_alignbit_b32 v2, v6, v5, 31
	global_load_b32 v16, v[9:10], off
	v_mul_lo_u32 v2, s4, v2
	v_mul_lo_u32 v13, s5, v11
	v_mad_u64_u32 v[9:10], null, s4, v11, s[4:5]
	s_delay_alu instid0(VALU_DEP_1) | instskip(NEXT) | instid1(VALU_DEP_2)
	v_add3_u32 v10, v13, v10, v2
	v_add_co_u32 v23, vcc_lo, v3, v9
                                        ; implicit-def: $vgpr13_vgpr14
	s_delay_alu instid0(VALU_DEP_2) | instskip(NEXT) | instid1(VALU_DEP_1)
	v_add_co_ci_u32_e32 v26, vcc_lo, v4, v10, vcc_lo
	v_or_b32_e32 v2, s29, v26
	v_ashrrev_i32_e32 v20, 31, v26
	s_delay_alu instid0(VALU_DEP_2)
	v_cmpx_ne_u64_e32 0, v[1:2]
	s_xor_b32 s72, exec_lo, s0
	s_cbranch_execz .LBB39_13
; %bb.12:                               ;   in Loop: Header=BB39_3 Depth=1
	s_ashr_i32 s60, s29, 31
	s_delay_alu instid0(SALU_CYCLE_1) | instskip(SKIP_2) | instid1(SALU_CYCLE_1)
	s_add_u32 s62, s28, s60
	s_mov_b32 s61, s60
	s_addc_u32 s63, s29, s60
	s_xor_b64 s[62:63], s[62:63], s[60:61]
	s_delay_alu instid0(SALU_CYCLE_1) | instskip(SKIP_3) | instid1(VALU_DEP_1)
	v_cvt_f32_u32_e32 v2, s62
	v_cvt_f32_u32_e32 v13, s63
	s_sub_u32 s0, 0, s62
	s_subb_u32 s61, 0, s63
	v_fmac_f32_e32 v2, 0x4f800000, v13
	s_delay_alu instid0(VALU_DEP_1) | instskip(SKIP_2) | instid1(VALU_DEP_1)
	v_rcp_f32_e32 v2, v2
	s_waitcnt_depctr 0xfff
	v_mul_f32_e32 v2, 0x5f7ffffc, v2
	v_mul_f32_e32 v13, 0x2f800000, v2
	s_delay_alu instid0(VALU_DEP_1) | instskip(NEXT) | instid1(VALU_DEP_1)
	v_trunc_f32_e32 v13, v13
	v_fmac_f32_e32 v2, 0xcf800000, v13
	v_cvt_u32_f32_e32 v13, v13
	s_delay_alu instid0(VALU_DEP_2) | instskip(NEXT) | instid1(VALU_DEP_2)
	v_cvt_u32_f32_e32 v2, v2
	v_mul_lo_u32 v14, s0, v13
	s_delay_alu instid0(VALU_DEP_2) | instskip(SKIP_1) | instid1(VALU_DEP_2)
	v_mul_hi_u32 v17, s0, v2
	v_mul_lo_u32 v21, s61, v2
	v_add_nc_u32_e32 v14, v17, v14
	v_mul_lo_u32 v17, s0, v2
	s_delay_alu instid0(VALU_DEP_2) | instskip(NEXT) | instid1(VALU_DEP_2)
	v_add_nc_u32_e32 v14, v14, v21
	v_mul_hi_u32 v21, v2, v17
	s_delay_alu instid0(VALU_DEP_2)
	v_mul_lo_u32 v24, v2, v14
	v_mul_hi_u32 v27, v2, v14
	v_mul_hi_u32 v28, v13, v17
	v_mul_lo_u32 v17, v13, v17
	v_mul_hi_u32 v29, v13, v14
	v_mul_lo_u32 v14, v13, v14
	v_add_co_u32 v21, vcc_lo, v21, v24
	v_add_co_ci_u32_e32 v24, vcc_lo, 0, v27, vcc_lo
	s_delay_alu instid0(VALU_DEP_2) | instskip(NEXT) | instid1(VALU_DEP_2)
	v_add_co_u32 v17, vcc_lo, v21, v17
	v_add_co_ci_u32_e32 v17, vcc_lo, v24, v28, vcc_lo
	v_add_co_ci_u32_e32 v21, vcc_lo, 0, v29, vcc_lo
	s_delay_alu instid0(VALU_DEP_2) | instskip(NEXT) | instid1(VALU_DEP_2)
	v_add_co_u32 v14, vcc_lo, v17, v14
	v_add_co_ci_u32_e32 v17, vcc_lo, 0, v21, vcc_lo
	s_delay_alu instid0(VALU_DEP_2) | instskip(NEXT) | instid1(VALU_DEP_2)
	v_add_co_u32 v2, vcc_lo, v2, v14
	v_add_co_ci_u32_e32 v13, vcc_lo, v13, v17, vcc_lo
	s_delay_alu instid0(VALU_DEP_2) | instskip(SKIP_1) | instid1(VALU_DEP_3)
	v_mul_hi_u32 v14, s0, v2
	v_mul_lo_u32 v21, s61, v2
	v_mul_lo_u32 v17, s0, v13
	s_delay_alu instid0(VALU_DEP_1) | instskip(SKIP_1) | instid1(VALU_DEP_2)
	v_add_nc_u32_e32 v14, v14, v17
	v_mul_lo_u32 v17, s0, v2
	v_add_nc_u32_e32 v14, v14, v21
	s_delay_alu instid0(VALU_DEP_2) | instskip(NEXT) | instid1(VALU_DEP_2)
	v_mul_hi_u32 v21, v2, v17
	v_mul_lo_u32 v24, v2, v14
	v_mul_hi_u32 v27, v2, v14
	v_mul_hi_u32 v28, v13, v17
	v_mul_lo_u32 v17, v13, v17
	v_mul_hi_u32 v29, v13, v14
	v_mul_lo_u32 v14, v13, v14
	v_add_co_u32 v21, vcc_lo, v21, v24
	v_add_co_ci_u32_e32 v24, vcc_lo, 0, v27, vcc_lo
	s_delay_alu instid0(VALU_DEP_2) | instskip(NEXT) | instid1(VALU_DEP_2)
	v_add_co_u32 v17, vcc_lo, v21, v17
	v_add_co_ci_u32_e32 v17, vcc_lo, v24, v28, vcc_lo
	v_add_co_ci_u32_e32 v21, vcc_lo, 0, v29, vcc_lo
	v_add_co_u32 v24, vcc_lo, v23, v20
	v_add_co_ci_u32_e32 v27, vcc_lo, v26, v20, vcc_lo
	s_delay_alu instid0(VALU_DEP_4) | instskip(NEXT) | instid1(VALU_DEP_4)
	v_add_co_u32 v14, vcc_lo, v17, v14
	v_add_co_ci_u32_e32 v17, vcc_lo, 0, v21, vcc_lo
	s_delay_alu instid0(VALU_DEP_4) | instskip(NEXT) | instid1(VALU_DEP_3)
	v_xor_b32_e32 v21, v24, v20
	v_add_co_u32 v2, vcc_lo, v2, v14
	s_delay_alu instid0(VALU_DEP_3) | instskip(SKIP_1) | instid1(VALU_DEP_3)
	v_add_co_ci_u32_e32 v17, vcc_lo, v13, v17, vcc_lo
	v_xor_b32_e32 v24, v27, v20
	v_mul_hi_u32 v31, v21, v2
	s_delay_alu instid0(VALU_DEP_3) | instskip(NEXT) | instid1(VALU_DEP_3)
	v_mad_u64_u32 v[13:14], null, v21, v17, 0
	v_mad_u64_u32 v[27:28], null, v24, v2, 0
	;; [unrolled: 1-line block ×3, first 2 shown]
	s_delay_alu instid0(VALU_DEP_3) | instskip(NEXT) | instid1(VALU_DEP_4)
	v_add_co_u32 v2, vcc_lo, v31, v13
	v_add_co_ci_u32_e32 v13, vcc_lo, 0, v14, vcc_lo
	s_delay_alu instid0(VALU_DEP_2) | instskip(NEXT) | instid1(VALU_DEP_2)
	v_add_co_u32 v2, vcc_lo, v2, v27
	v_add_co_ci_u32_e32 v2, vcc_lo, v13, v28, vcc_lo
	v_add_co_ci_u32_e32 v13, vcc_lo, 0, v30, vcc_lo
	s_delay_alu instid0(VALU_DEP_2) | instskip(NEXT) | instid1(VALU_DEP_2)
	v_add_co_u32 v2, vcc_lo, v2, v29
	v_add_co_ci_u32_e32 v17, vcc_lo, 0, v13, vcc_lo
	s_delay_alu instid0(VALU_DEP_2) | instskip(SKIP_1) | instid1(VALU_DEP_3)
	v_mul_lo_u32 v27, s63, v2
	v_mad_u64_u32 v[13:14], null, s62, v2, 0
	v_mul_lo_u32 v28, s62, v17
	s_delay_alu instid0(VALU_DEP_2) | instskip(NEXT) | instid1(VALU_DEP_2)
	v_sub_co_u32 v13, vcc_lo, v21, v13
	v_add3_u32 v14, v14, v28, v27
	s_delay_alu instid0(VALU_DEP_1) | instskip(NEXT) | instid1(VALU_DEP_1)
	v_sub_nc_u32_e32 v27, v24, v14
	v_subrev_co_ci_u32_e64 v21, s0, s63, v27, vcc_lo
	v_add_co_u32 v27, s0, v2, 2
	s_delay_alu instid0(VALU_DEP_1) | instskip(SKIP_3) | instid1(VALU_DEP_3)
	v_add_co_ci_u32_e64 v28, s0, 0, v17, s0
	v_sub_co_u32 v29, s0, v13, s62
	v_sub_co_ci_u32_e32 v14, vcc_lo, v24, v14, vcc_lo
	v_subrev_co_ci_u32_e64 v21, s0, 0, v21, s0
	v_cmp_le_u32_e32 vcc_lo, s62, v29
	s_delay_alu instid0(VALU_DEP_3) | instskip(SKIP_1) | instid1(VALU_DEP_4)
	v_cmp_eq_u32_e64 s0, s63, v14
	v_cndmask_b32_e64 v24, 0, -1, vcc_lo
	v_cmp_le_u32_e32 vcc_lo, s63, v21
	v_cndmask_b32_e64 v29, 0, -1, vcc_lo
	v_cmp_le_u32_e32 vcc_lo, s62, v13
	;; [unrolled: 2-line block ×3, first 2 shown]
	v_cndmask_b32_e64 v30, 0, -1, vcc_lo
	v_cmp_eq_u32_e32 vcc_lo, s63, v21
	s_delay_alu instid0(VALU_DEP_2) | instskip(SKIP_3) | instid1(VALU_DEP_3)
	v_cndmask_b32_e64 v13, v30, v13, s0
	v_cndmask_b32_e32 v21, v29, v24, vcc_lo
	v_add_co_u32 v24, vcc_lo, v2, 1
	v_add_co_ci_u32_e32 v29, vcc_lo, 0, v17, vcc_lo
	v_cmp_ne_u32_e32 vcc_lo, 0, v21
	s_delay_alu instid0(VALU_DEP_2) | instskip(SKIP_2) | instid1(VALU_DEP_3)
	v_dual_cndmask_b32 v14, v29, v28 :: v_dual_cndmask_b32 v21, v24, v27
	v_cmp_ne_u32_e32 vcc_lo, 0, v13
	v_xor_b32_e32 v24, s60, v20
	v_dual_cndmask_b32 v13, v17, v14 :: v_dual_cndmask_b32 v2, v2, v21
	s_delay_alu instid0(VALU_DEP_1) | instskip(NEXT) | instid1(VALU_DEP_2)
	v_xor_b32_e32 v14, v13, v24
	v_xor_b32_e32 v2, v2, v24
	s_delay_alu instid0(VALU_DEP_1) | instskip(NEXT) | instid1(VALU_DEP_3)
	v_sub_co_u32 v13, vcc_lo, v2, v24
	v_sub_co_ci_u32_e32 v14, vcc_lo, v14, v24, vcc_lo
.LBB39_13:                              ;   in Loop: Header=BB39_3 Depth=1
	s_and_not1_saveexec_b32 s0, s72
	s_cbranch_execz .LBB39_15
; %bb.14:                               ;   in Loop: Header=BB39_3 Depth=1
	v_rcp_iflag_f32_e32 v2, v18
	s_sub_i32 s60, 0, s28
	s_waitcnt_depctr 0xfff
	v_mul_f32_e32 v2, 0x4f7ffffe, v2
	s_delay_alu instid0(VALU_DEP_1) | instskip(NEXT) | instid1(VALU_DEP_1)
	v_cvt_u32_f32_e32 v2, v2
	v_mul_lo_u32 v13, s60, v2
	s_delay_alu instid0(VALU_DEP_1) | instskip(NEXT) | instid1(VALU_DEP_1)
	v_mul_hi_u32 v13, v2, v13
	v_add_nc_u32_e32 v2, v2, v13
	s_delay_alu instid0(VALU_DEP_1) | instskip(NEXT) | instid1(VALU_DEP_1)
	v_mul_hi_u32 v2, v23, v2
	v_mul_lo_u32 v13, v2, s28
	v_add_nc_u32_e32 v14, 1, v2
	s_delay_alu instid0(VALU_DEP_2) | instskip(NEXT) | instid1(VALU_DEP_1)
	v_sub_nc_u32_e32 v13, v23, v13
	v_subrev_nc_u32_e32 v17, s28, v13
	v_cmp_le_u32_e32 vcc_lo, s28, v13
	s_delay_alu instid0(VALU_DEP_2) | instskip(NEXT) | instid1(VALU_DEP_1)
	v_dual_cndmask_b32 v13, v13, v17 :: v_dual_cndmask_b32 v2, v2, v14
	v_cmp_le_u32_e32 vcc_lo, s28, v13
	s_delay_alu instid0(VALU_DEP_2) | instskip(NEXT) | instid1(VALU_DEP_1)
	v_add_nc_u32_e32 v14, 1, v2
	v_dual_cndmask_b32 v13, v2, v14 :: v_dual_mov_b32 v14, v1
.LBB39_15:                              ;   in Loop: Header=BB39_3 Depth=1
	s_or_b32 exec_lo, exec_lo, s0
	s_delay_alu instid0(VALU_DEP_1) | instskip(NEXT) | instid1(VALU_DEP_2)
	v_mul_lo_u32 v2, v14, s28
	v_mul_lo_u32 v17, v13, s29
	v_mad_u64_u32 v[27:28], null, v13, s28, 0
	v_mul_lo_u32 v21, v13, s9
	s_mov_b32 s0, exec_lo
	s_delay_alu instid0(VALU_DEP_2) | instskip(SKIP_1) | instid1(VALU_DEP_4)
	v_add3_u32 v2, v28, v17, v2
	v_mul_lo_u32 v17, v14, s8
	v_sub_co_u32 v14, vcc_lo, v9, v27
	v_mad_u64_u32 v[27:28], null, v13, s8, 0
	s_delay_alu instid0(VALU_DEP_4) | instskip(NEXT) | instid1(VALU_DEP_3)
	v_sub_co_ci_u32_e32 v2, vcc_lo, v10, v2, vcc_lo
	v_add_co_u32 v24, vcc_lo, v3, v14
	s_delay_alu instid0(VALU_DEP_2) | instskip(NEXT) | instid1(VALU_DEP_2)
	v_add_co_ci_u32_e32 v2, vcc_lo, v4, v2, vcc_lo
	v_mul_lo_u32 v29, v24, s11
	v_mad_u64_u32 v[13:14], null, v24, s10, 0
	s_delay_alu instid0(VALU_DEP_3) | instskip(SKIP_1) | instid1(VALU_DEP_1)
	v_mul_lo_u32 v2, v2, s10
	v_add3_u32 v28, v28, v21, v17
	v_lshlrev_b64 v[27:28], 2, v[27:28]
	s_delay_alu instid0(VALU_DEP_3) | instskip(NEXT) | instid1(VALU_DEP_2)
	v_add3_u32 v14, v14, v29, v2
	v_add_co_u32 v2, vcc_lo, s2, v27
	s_delay_alu instid0(VALU_DEP_2) | instskip(NEXT) | instid1(VALU_DEP_4)
	v_lshlrev_b64 v[13:14], 2, v[13:14]
	v_add_co_ci_u32_e32 v17, vcc_lo, s3, v28, vcc_lo
	s_delay_alu instid0(VALU_DEP_2) | instskip(NEXT) | instid1(VALU_DEP_2)
	v_add_co_u32 v13, vcc_lo, v2, v13
	v_add_co_ci_u32_e32 v14, vcc_lo, v17, v14, vcc_lo
	v_add_co_u32 v2, vcc_lo, v11, 2
	v_add_co_ci_u32_e32 v11, vcc_lo, 0, v12, vcc_lo
	global_load_b32 v17, v[13:14], off
	v_mul_lo_u32 v13, s5, v2
	v_mul_lo_u32 v14, s4, v11
	v_mad_u64_u32 v[11:12], null, s4, v2, 0
	s_delay_alu instid0(VALU_DEP_1) | instskip(NEXT) | instid1(VALU_DEP_2)
	v_add3_u32 v12, v12, v14, v13
	v_add_co_u32 v24, vcc_lo, v3, v11
                                        ; implicit-def: $vgpr13_vgpr14
	s_delay_alu instid0(VALU_DEP_2) | instskip(NEXT) | instid1(VALU_DEP_1)
	v_add_co_ci_u32_e32 v27, vcc_lo, v4, v12, vcc_lo
	v_or_b32_e32 v2, s29, v27
	v_ashrrev_i32_e32 v21, 31, v27
	s_delay_alu instid0(VALU_DEP_2)
	v_cmpx_ne_u64_e32 0, v[1:2]
	s_xor_b32 s72, exec_lo, s0
	s_cbranch_execz .LBB39_17
; %bb.16:                               ;   in Loop: Header=BB39_3 Depth=1
	s_ashr_i32 s60, s29, 31
	s_delay_alu instid0(SALU_CYCLE_1) | instskip(SKIP_2) | instid1(SALU_CYCLE_1)
	s_add_u32 s62, s28, s60
	s_mov_b32 s61, s60
	s_addc_u32 s63, s29, s60
	s_xor_b64 s[62:63], s[62:63], s[60:61]
	s_delay_alu instid0(SALU_CYCLE_1) | instskip(SKIP_3) | instid1(VALU_DEP_1)
	v_cvt_f32_u32_e32 v2, s62
	v_cvt_f32_u32_e32 v13, s63
	s_sub_u32 s0, 0, s62
	s_subb_u32 s61, 0, s63
	v_fmac_f32_e32 v2, 0x4f800000, v13
	s_delay_alu instid0(VALU_DEP_1) | instskip(SKIP_2) | instid1(VALU_DEP_1)
	v_rcp_f32_e32 v2, v2
	s_waitcnt_depctr 0xfff
	v_mul_f32_e32 v2, 0x5f7ffffc, v2
	v_mul_f32_e32 v13, 0x2f800000, v2
	s_delay_alu instid0(VALU_DEP_1) | instskip(NEXT) | instid1(VALU_DEP_1)
	v_trunc_f32_e32 v13, v13
	v_fmac_f32_e32 v2, 0xcf800000, v13
	v_cvt_u32_f32_e32 v13, v13
	s_delay_alu instid0(VALU_DEP_2) | instskip(NEXT) | instid1(VALU_DEP_2)
	v_cvt_u32_f32_e32 v2, v2
	v_mul_lo_u32 v14, s0, v13
	s_delay_alu instid0(VALU_DEP_2) | instskip(SKIP_1) | instid1(VALU_DEP_2)
	v_mul_hi_u32 v18, s0, v2
	v_mul_lo_u32 v28, s61, v2
	v_add_nc_u32_e32 v14, v18, v14
	v_mul_lo_u32 v18, s0, v2
	s_delay_alu instid0(VALU_DEP_2) | instskip(NEXT) | instid1(VALU_DEP_2)
	v_add_nc_u32_e32 v14, v14, v28
	v_mul_hi_u32 v28, v2, v18
	s_delay_alu instid0(VALU_DEP_2)
	v_mul_lo_u32 v29, v2, v14
	v_mul_hi_u32 v30, v2, v14
	v_mul_hi_u32 v31, v13, v18
	v_mul_lo_u32 v18, v13, v18
	v_mul_hi_u32 v32, v13, v14
	v_mul_lo_u32 v14, v13, v14
	v_add_co_u32 v28, vcc_lo, v28, v29
	v_add_co_ci_u32_e32 v29, vcc_lo, 0, v30, vcc_lo
	s_delay_alu instid0(VALU_DEP_2) | instskip(NEXT) | instid1(VALU_DEP_2)
	v_add_co_u32 v18, vcc_lo, v28, v18
	v_add_co_ci_u32_e32 v18, vcc_lo, v29, v31, vcc_lo
	v_add_co_ci_u32_e32 v28, vcc_lo, 0, v32, vcc_lo
	s_delay_alu instid0(VALU_DEP_2) | instskip(NEXT) | instid1(VALU_DEP_2)
	v_add_co_u32 v14, vcc_lo, v18, v14
	v_add_co_ci_u32_e32 v18, vcc_lo, 0, v28, vcc_lo
	s_delay_alu instid0(VALU_DEP_2) | instskip(NEXT) | instid1(VALU_DEP_2)
	v_add_co_u32 v2, vcc_lo, v2, v14
	v_add_co_ci_u32_e32 v13, vcc_lo, v13, v18, vcc_lo
	s_delay_alu instid0(VALU_DEP_2) | instskip(SKIP_1) | instid1(VALU_DEP_3)
	v_mul_hi_u32 v14, s0, v2
	v_mul_lo_u32 v28, s61, v2
	v_mul_lo_u32 v18, s0, v13
	s_delay_alu instid0(VALU_DEP_1) | instskip(SKIP_1) | instid1(VALU_DEP_2)
	v_add_nc_u32_e32 v14, v14, v18
	v_mul_lo_u32 v18, s0, v2
	v_add_nc_u32_e32 v14, v14, v28
	s_delay_alu instid0(VALU_DEP_2) | instskip(NEXT) | instid1(VALU_DEP_2)
	v_mul_hi_u32 v28, v2, v18
	v_mul_lo_u32 v29, v2, v14
	v_mul_hi_u32 v30, v2, v14
	v_mul_hi_u32 v31, v13, v18
	v_mul_lo_u32 v18, v13, v18
	v_mul_hi_u32 v32, v13, v14
	v_mul_lo_u32 v14, v13, v14
	v_add_co_u32 v28, vcc_lo, v28, v29
	v_add_co_ci_u32_e32 v29, vcc_lo, 0, v30, vcc_lo
	s_delay_alu instid0(VALU_DEP_2) | instskip(NEXT) | instid1(VALU_DEP_2)
	v_add_co_u32 v18, vcc_lo, v28, v18
	v_add_co_ci_u32_e32 v18, vcc_lo, v29, v31, vcc_lo
	v_add_co_ci_u32_e32 v28, vcc_lo, 0, v32, vcc_lo
	v_add_co_u32 v29, vcc_lo, v24, v21
	v_add_co_ci_u32_e32 v30, vcc_lo, v27, v21, vcc_lo
	s_delay_alu instid0(VALU_DEP_4) | instskip(NEXT) | instid1(VALU_DEP_4)
	v_add_co_u32 v14, vcc_lo, v18, v14
	v_add_co_ci_u32_e32 v18, vcc_lo, 0, v28, vcc_lo
	s_delay_alu instid0(VALU_DEP_4) | instskip(NEXT) | instid1(VALU_DEP_3)
	v_xor_b32_e32 v32, v29, v21
	v_add_co_u32 v2, vcc_lo, v2, v14
	s_delay_alu instid0(VALU_DEP_3) | instskip(SKIP_1) | instid1(VALU_DEP_3)
	v_add_co_ci_u32_e32 v18, vcc_lo, v13, v18, vcc_lo
	v_xor_b32_e32 v33, v30, v21
	v_mul_hi_u32 v34, v32, v2
	s_delay_alu instid0(VALU_DEP_3) | instskip(NEXT) | instid1(VALU_DEP_3)
	v_mad_u64_u32 v[13:14], null, v32, v18, 0
	v_mad_u64_u32 v[28:29], null, v33, v2, 0
	;; [unrolled: 1-line block ×3, first 2 shown]
	s_delay_alu instid0(VALU_DEP_3) | instskip(NEXT) | instid1(VALU_DEP_4)
	v_add_co_u32 v2, vcc_lo, v34, v13
	v_add_co_ci_u32_e32 v13, vcc_lo, 0, v14, vcc_lo
	s_delay_alu instid0(VALU_DEP_2) | instskip(NEXT) | instid1(VALU_DEP_2)
	v_add_co_u32 v2, vcc_lo, v2, v28
	v_add_co_ci_u32_e32 v2, vcc_lo, v13, v29, vcc_lo
	v_add_co_ci_u32_e32 v13, vcc_lo, 0, v31, vcc_lo
	s_delay_alu instid0(VALU_DEP_2) | instskip(NEXT) | instid1(VALU_DEP_2)
	v_add_co_u32 v2, vcc_lo, v2, v30
	v_add_co_ci_u32_e32 v18, vcc_lo, 0, v13, vcc_lo
	s_delay_alu instid0(VALU_DEP_2) | instskip(SKIP_1) | instid1(VALU_DEP_3)
	v_mul_lo_u32 v28, s63, v2
	v_mad_u64_u32 v[13:14], null, s62, v2, 0
	v_mul_lo_u32 v29, s62, v18
	s_delay_alu instid0(VALU_DEP_2) | instskip(NEXT) | instid1(VALU_DEP_2)
	v_sub_co_u32 v13, vcc_lo, v32, v13
	v_add3_u32 v14, v14, v29, v28
	s_delay_alu instid0(VALU_DEP_1) | instskip(NEXT) | instid1(VALU_DEP_1)
	v_sub_nc_u32_e32 v28, v33, v14
	v_subrev_co_ci_u32_e64 v28, s0, s63, v28, vcc_lo
	v_add_co_u32 v29, s0, v2, 2
	s_delay_alu instid0(VALU_DEP_1) | instskip(SKIP_3) | instid1(VALU_DEP_3)
	v_add_co_ci_u32_e64 v30, s0, 0, v18, s0
	v_sub_co_u32 v31, s0, v13, s62
	v_sub_co_ci_u32_e32 v14, vcc_lo, v33, v14, vcc_lo
	v_subrev_co_ci_u32_e64 v28, s0, 0, v28, s0
	v_cmp_le_u32_e32 vcc_lo, s62, v31
	s_delay_alu instid0(VALU_DEP_3) | instskip(SKIP_1) | instid1(VALU_DEP_4)
	v_cmp_eq_u32_e64 s0, s63, v14
	v_cndmask_b32_e64 v31, 0, -1, vcc_lo
	v_cmp_le_u32_e32 vcc_lo, s63, v28
	v_cndmask_b32_e64 v32, 0, -1, vcc_lo
	v_cmp_le_u32_e32 vcc_lo, s62, v13
	;; [unrolled: 2-line block ×3, first 2 shown]
	v_cndmask_b32_e64 v33, 0, -1, vcc_lo
	v_cmp_eq_u32_e32 vcc_lo, s63, v28
	s_delay_alu instid0(VALU_DEP_2) | instskip(SKIP_3) | instid1(VALU_DEP_3)
	v_cndmask_b32_e64 v13, v33, v13, s0
	v_cndmask_b32_e32 v28, v32, v31, vcc_lo
	v_add_co_u32 v31, vcc_lo, v2, 1
	v_add_co_ci_u32_e32 v32, vcc_lo, 0, v18, vcc_lo
	v_cmp_ne_u32_e32 vcc_lo, 0, v28
	s_delay_alu instid0(VALU_DEP_2) | instskip(NEXT) | instid1(VALU_DEP_4)
	v_cndmask_b32_e32 v14, v32, v30, vcc_lo
	v_cndmask_b32_e32 v28, v31, v29, vcc_lo
	v_cmp_ne_u32_e32 vcc_lo, 0, v13
	v_xor_b32_e32 v29, s60, v21
	s_delay_alu instid0(VALU_DEP_3) | instskip(SKIP_1) | instid1(VALU_DEP_2)
	v_cndmask_b32_e32 v2, v2, v28, vcc_lo
	v_cndmask_b32_e32 v13, v18, v14, vcc_lo
                                        ; implicit-def: $vgpr18
	v_xor_b32_e32 v2, v2, v29
	s_delay_alu instid0(VALU_DEP_2) | instskip(NEXT) | instid1(VALU_DEP_2)
	v_xor_b32_e32 v14, v13, v29
	v_sub_co_u32 v13, vcc_lo, v2, v29
	s_delay_alu instid0(VALU_DEP_2)
	v_sub_co_ci_u32_e32 v14, vcc_lo, v14, v29, vcc_lo
.LBB39_17:                              ;   in Loop: Header=BB39_3 Depth=1
	s_and_not1_saveexec_b32 s0, s72
	s_cbranch_execz .LBB39_19
; %bb.18:                               ;   in Loop: Header=BB39_3 Depth=1
	v_rcp_iflag_f32_e32 v2, v18
	s_sub_i32 s60, 0, s28
	s_waitcnt_depctr 0xfff
	v_mul_f32_e32 v2, 0x4f7ffffe, v2
	s_delay_alu instid0(VALU_DEP_1) | instskip(NEXT) | instid1(VALU_DEP_1)
	v_cvt_u32_f32_e32 v2, v2
	v_mul_lo_u32 v13, s60, v2
	s_delay_alu instid0(VALU_DEP_1) | instskip(NEXT) | instid1(VALU_DEP_1)
	v_mul_hi_u32 v13, v2, v13
	v_add_nc_u32_e32 v2, v2, v13
	s_delay_alu instid0(VALU_DEP_1) | instskip(NEXT) | instid1(VALU_DEP_1)
	v_mul_hi_u32 v2, v24, v2
	v_mul_lo_u32 v13, v2, s28
	v_add_nc_u32_e32 v14, 1, v2
	s_delay_alu instid0(VALU_DEP_2) | instskip(NEXT) | instid1(VALU_DEP_1)
	v_sub_nc_u32_e32 v13, v24, v13
	v_subrev_nc_u32_e32 v18, s28, v13
	v_cmp_le_u32_e32 vcc_lo, s28, v13
	s_delay_alu instid0(VALU_DEP_2) | instskip(SKIP_1) | instid1(VALU_DEP_2)
	v_cndmask_b32_e32 v13, v13, v18, vcc_lo
	v_cndmask_b32_e32 v2, v2, v14, vcc_lo
	v_cmp_le_u32_e32 vcc_lo, s28, v13
	s_delay_alu instid0(VALU_DEP_2) | instskip(NEXT) | instid1(VALU_DEP_1)
	v_add_nc_u32_e32 v14, 1, v2
	v_dual_cndmask_b32 v13, v2, v14 :: v_dual_mov_b32 v14, v1
.LBB39_19:                              ;   in Loop: Header=BB39_3 Depth=1
	s_or_b32 exec_lo, exec_lo, s0
	s_delay_alu instid0(VALU_DEP_1) | instskip(NEXT) | instid1(VALU_DEP_2)
	v_mul_lo_u32 v2, v14, s28
	v_mul_lo_u32 v18, v13, s29
	v_mad_u64_u32 v[28:29], null, v13, s28, 0
	v_mul_lo_u32 v30, v13, s9
	s_mov_b32 s0, exec_lo
	s_delay_alu instid0(VALU_DEP_2) | instskip(SKIP_1) | instid1(VALU_DEP_4)
	v_add3_u32 v2, v29, v18, v2
	v_mul_lo_u32 v18, v14, s8
	v_sub_co_u32 v14, vcc_lo, v11, v28
	v_mad_u64_u32 v[28:29], null, v13, s8, 0
	s_delay_alu instid0(VALU_DEP_4) | instskip(NEXT) | instid1(VALU_DEP_3)
	v_sub_co_ci_u32_e32 v2, vcc_lo, v12, v2, vcc_lo
	v_add_co_u32 v31, vcc_lo, v3, v14
	s_delay_alu instid0(VALU_DEP_2) | instskip(NEXT) | instid1(VALU_DEP_2)
	v_add_co_ci_u32_e32 v2, vcc_lo, v4, v2, vcc_lo
	v_mul_lo_u32 v32, v31, s11
	v_mad_u64_u32 v[13:14], null, v31, s10, 0
	s_delay_alu instid0(VALU_DEP_3) | instskip(SKIP_1) | instid1(VALU_DEP_1)
	v_mul_lo_u32 v2, v2, s10
	v_add3_u32 v29, v29, v30, v18
	v_lshlrev_b64 v[28:29], 2, v[28:29]
	s_delay_alu instid0(VALU_DEP_3) | instskip(NEXT) | instid1(VALU_DEP_2)
	v_add3_u32 v14, v14, v32, v2
	v_add_co_u32 v2, vcc_lo, s2, v28
	s_delay_alu instid0(VALU_DEP_2) | instskip(NEXT) | instid1(VALU_DEP_4)
	v_lshlrev_b64 v[13:14], 2, v[13:14]
	v_add_co_ci_u32_e32 v18, vcc_lo, s3, v29, vcc_lo
	s_delay_alu instid0(VALU_DEP_2) | instskip(NEXT) | instid1(VALU_DEP_2)
	v_add_co_u32 v13, vcc_lo, v2, v13
	v_add_co_ci_u32_e32 v14, vcc_lo, v18, v14, vcc_lo
	v_or_b32_e32 v2, s37, v25
	global_load_b32 v18, v[13:14], off
                                        ; implicit-def: $vgpr13_vgpr14
	v_cmpx_ne_u64_e32 0, v[1:2]
	s_xor_b32 s72, exec_lo, s0
	s_cbranch_execz .LBB39_21
; %bb.20:                               ;   in Loop: Header=BB39_3 Depth=1
	s_ashr_i32 s60, s37, 31
	s_delay_alu instid0(SALU_CYCLE_1) | instskip(SKIP_2) | instid1(SALU_CYCLE_1)
	s_add_u32 s62, s36, s60
	s_mov_b32 s61, s60
	s_addc_u32 s63, s37, s60
	s_xor_b64 s[62:63], s[62:63], s[60:61]
	s_delay_alu instid0(SALU_CYCLE_1) | instskip(SKIP_3) | instid1(VALU_DEP_1)
	v_cvt_f32_u32_e32 v2, s62
	v_cvt_f32_u32_e32 v13, s63
	s_sub_u32 s0, 0, s62
	s_subb_u32 s61, 0, s63
	v_fmac_f32_e32 v2, 0x4f800000, v13
	s_delay_alu instid0(VALU_DEP_1) | instskip(SKIP_2) | instid1(VALU_DEP_1)
	v_rcp_f32_e32 v2, v2
	s_waitcnt_depctr 0xfff
	v_mul_f32_e32 v2, 0x5f7ffffc, v2
	v_mul_f32_e32 v13, 0x2f800000, v2
	s_delay_alu instid0(VALU_DEP_1) | instskip(NEXT) | instid1(VALU_DEP_1)
	v_trunc_f32_e32 v13, v13
	v_fmac_f32_e32 v2, 0xcf800000, v13
	v_cvt_u32_f32_e32 v13, v13
	s_delay_alu instid0(VALU_DEP_2) | instskip(NEXT) | instid1(VALU_DEP_2)
	v_cvt_u32_f32_e32 v2, v2
	v_mul_lo_u32 v14, s0, v13
	s_delay_alu instid0(VALU_DEP_2) | instskip(SKIP_1) | instid1(VALU_DEP_2)
	v_mul_hi_u32 v28, s0, v2
	v_mul_lo_u32 v29, s61, v2
	v_add_nc_u32_e32 v14, v28, v14
	v_mul_lo_u32 v28, s0, v2
	s_delay_alu instid0(VALU_DEP_2) | instskip(NEXT) | instid1(VALU_DEP_2)
	v_add_nc_u32_e32 v14, v14, v29
	v_mul_hi_u32 v29, v2, v28
	s_delay_alu instid0(VALU_DEP_2)
	v_mul_lo_u32 v30, v2, v14
	v_mul_hi_u32 v31, v2, v14
	v_mul_hi_u32 v32, v13, v28
	v_mul_lo_u32 v28, v13, v28
	v_mul_hi_u32 v33, v13, v14
	v_mul_lo_u32 v14, v13, v14
	v_add_co_u32 v29, vcc_lo, v29, v30
	v_add_co_ci_u32_e32 v30, vcc_lo, 0, v31, vcc_lo
	s_delay_alu instid0(VALU_DEP_2) | instskip(NEXT) | instid1(VALU_DEP_2)
	v_add_co_u32 v28, vcc_lo, v29, v28
	v_add_co_ci_u32_e32 v28, vcc_lo, v30, v32, vcc_lo
	v_add_co_ci_u32_e32 v29, vcc_lo, 0, v33, vcc_lo
	s_delay_alu instid0(VALU_DEP_2) | instskip(NEXT) | instid1(VALU_DEP_2)
	v_add_co_u32 v14, vcc_lo, v28, v14
	v_add_co_ci_u32_e32 v28, vcc_lo, 0, v29, vcc_lo
	s_delay_alu instid0(VALU_DEP_2) | instskip(NEXT) | instid1(VALU_DEP_2)
	v_add_co_u32 v2, vcc_lo, v2, v14
	v_add_co_ci_u32_e32 v13, vcc_lo, v13, v28, vcc_lo
	s_delay_alu instid0(VALU_DEP_2) | instskip(SKIP_1) | instid1(VALU_DEP_3)
	v_mul_hi_u32 v14, s0, v2
	v_mul_lo_u32 v29, s61, v2
	v_mul_lo_u32 v28, s0, v13
	s_delay_alu instid0(VALU_DEP_1) | instskip(SKIP_1) | instid1(VALU_DEP_2)
	v_add_nc_u32_e32 v14, v14, v28
	v_mul_lo_u32 v28, s0, v2
	v_add_nc_u32_e32 v14, v14, v29
	s_delay_alu instid0(VALU_DEP_2) | instskip(NEXT) | instid1(VALU_DEP_2)
	v_mul_hi_u32 v29, v2, v28
	v_mul_lo_u32 v30, v2, v14
	v_mul_hi_u32 v31, v2, v14
	v_mul_hi_u32 v32, v13, v28
	v_mul_lo_u32 v28, v13, v28
	v_mul_hi_u32 v33, v13, v14
	v_mul_lo_u32 v14, v13, v14
	v_add_co_u32 v29, vcc_lo, v29, v30
	v_add_co_ci_u32_e32 v30, vcc_lo, 0, v31, vcc_lo
	s_delay_alu instid0(VALU_DEP_2) | instskip(NEXT) | instid1(VALU_DEP_2)
	v_add_co_u32 v28, vcc_lo, v29, v28
	v_add_co_ci_u32_e32 v28, vcc_lo, v30, v32, vcc_lo
	v_add_co_ci_u32_e32 v29, vcc_lo, 0, v33, vcc_lo
	v_add_co_u32 v22, vcc_lo, v22, v19
	v_add_co_ci_u32_e32 v25, vcc_lo, v25, v19, vcc_lo
	s_delay_alu instid0(VALU_DEP_4) | instskip(NEXT) | instid1(VALU_DEP_4)
	v_add_co_u32 v14, vcc_lo, v28, v14
	v_add_co_ci_u32_e32 v28, vcc_lo, 0, v29, vcc_lo
	s_delay_alu instid0(VALU_DEP_4) | instskip(NEXT) | instid1(VALU_DEP_3)
	v_xor_b32_e32 v22, v22, v19
	v_add_co_u32 v2, vcc_lo, v2, v14
	s_delay_alu instid0(VALU_DEP_3) | instskip(SKIP_1) | instid1(VALU_DEP_3)
	v_add_co_ci_u32_e32 v32, vcc_lo, v13, v28, vcc_lo
	v_xor_b32_e32 v25, v25, v19
	v_mul_hi_u32 v33, v22, v2
	v_xor_b32_e32 v19, s60, v19
	s_delay_alu instid0(VALU_DEP_4) | instskip(NEXT) | instid1(VALU_DEP_4)
	v_mad_u64_u32 v[13:14], null, v22, v32, 0
	v_mad_u64_u32 v[28:29], null, v25, v2, 0
	;; [unrolled: 1-line block ×3, first 2 shown]
	s_delay_alu instid0(VALU_DEP_3) | instskip(NEXT) | instid1(VALU_DEP_4)
	v_add_co_u32 v2, vcc_lo, v33, v13
	v_add_co_ci_u32_e32 v13, vcc_lo, 0, v14, vcc_lo
	s_delay_alu instid0(VALU_DEP_2) | instskip(NEXT) | instid1(VALU_DEP_2)
	v_add_co_u32 v2, vcc_lo, v2, v28
	v_add_co_ci_u32_e32 v2, vcc_lo, v13, v29, vcc_lo
	v_add_co_ci_u32_e32 v13, vcc_lo, 0, v31, vcc_lo
	s_delay_alu instid0(VALU_DEP_2) | instskip(NEXT) | instid1(VALU_DEP_2)
	v_add_co_u32 v2, vcc_lo, v2, v30
	v_add_co_ci_u32_e32 v28, vcc_lo, 0, v13, vcc_lo
	s_delay_alu instid0(VALU_DEP_2) | instskip(SKIP_1) | instid1(VALU_DEP_3)
	v_mul_lo_u32 v29, s63, v2
	v_mad_u64_u32 v[13:14], null, s62, v2, 0
	v_mul_lo_u32 v30, s62, v28
	s_delay_alu instid0(VALU_DEP_2) | instskip(NEXT) | instid1(VALU_DEP_2)
	v_sub_co_u32 v13, vcc_lo, v22, v13
	v_add3_u32 v14, v14, v30, v29
	s_delay_alu instid0(VALU_DEP_1) | instskip(NEXT) | instid1(VALU_DEP_1)
	v_sub_nc_u32_e32 v29, v25, v14
	v_subrev_co_ci_u32_e64 v22, s0, s63, v29, vcc_lo
	v_add_co_u32 v29, s0, v2, 2
	s_delay_alu instid0(VALU_DEP_1) | instskip(SKIP_3) | instid1(VALU_DEP_3)
	v_add_co_ci_u32_e64 v30, s0, 0, v28, s0
	v_sub_co_u32 v31, s0, v13, s62
	v_sub_co_ci_u32_e32 v14, vcc_lo, v25, v14, vcc_lo
	v_subrev_co_ci_u32_e64 v22, s0, 0, v22, s0
	v_cmp_le_u32_e32 vcc_lo, s62, v31
	s_delay_alu instid0(VALU_DEP_3) | instskip(SKIP_1) | instid1(VALU_DEP_4)
	v_cmp_eq_u32_e64 s0, s63, v14
	v_cndmask_b32_e64 v25, 0, -1, vcc_lo
	v_cmp_le_u32_e32 vcc_lo, s63, v22
	v_cndmask_b32_e64 v31, 0, -1, vcc_lo
	v_cmp_le_u32_e32 vcc_lo, s62, v13
	;; [unrolled: 2-line block ×3, first 2 shown]
	v_cndmask_b32_e64 v32, 0, -1, vcc_lo
	v_cmp_eq_u32_e32 vcc_lo, s63, v22
	s_delay_alu instid0(VALU_DEP_2) | instskip(SKIP_3) | instid1(VALU_DEP_3)
	v_cndmask_b32_e64 v13, v32, v13, s0
	v_cndmask_b32_e32 v22, v31, v25, vcc_lo
	v_add_co_u32 v25, vcc_lo, v2, 1
	v_add_co_ci_u32_e32 v31, vcc_lo, 0, v28, vcc_lo
	v_cmp_ne_u32_e32 vcc_lo, 0, v22
	s_delay_alu instid0(VALU_DEP_2) | instskip(NEXT) | instid1(VALU_DEP_4)
	v_cndmask_b32_e32 v14, v31, v30, vcc_lo
	v_cndmask_b32_e32 v22, v25, v29, vcc_lo
	v_cmp_ne_u32_e32 vcc_lo, 0, v13
	s_delay_alu instid0(VALU_DEP_2) | instskip(NEXT) | instid1(VALU_DEP_4)
	v_cndmask_b32_e32 v2, v2, v22, vcc_lo
	v_cndmask_b32_e32 v13, v28, v14, vcc_lo
                                        ; implicit-def: $vgpr22
	s_delay_alu instid0(VALU_DEP_2) | instskip(NEXT) | instid1(VALU_DEP_2)
	v_xor_b32_e32 v2, v2, v19
	v_xor_b32_e32 v14, v13, v19
	s_delay_alu instid0(VALU_DEP_2) | instskip(NEXT) | instid1(VALU_DEP_2)
	v_sub_co_u32 v13, vcc_lo, v2, v19
	v_sub_co_ci_u32_e32 v14, vcc_lo, v14, v19, vcc_lo
.LBB39_21:                              ;   in Loop: Header=BB39_3 Depth=1
	s_or_saveexec_b32 s0, s72
	v_cvt_f32_u32_e32 v19, s36
	s_xor_b32 exec_lo, exec_lo, s0
	s_cbranch_execz .LBB39_23
; %bb.22:                               ;   in Loop: Header=BB39_3 Depth=1
	s_delay_alu instid0(VALU_DEP_1) | instskip(SKIP_3) | instid1(VALU_DEP_1)
	v_rcp_iflag_f32_e32 v2, v19
	s_sub_i32 s60, 0, s36
	s_waitcnt_depctr 0xfff
	v_mul_f32_e32 v2, 0x4f7ffffe, v2
	v_cvt_u32_f32_e32 v2, v2
	s_delay_alu instid0(VALU_DEP_1) | instskip(NEXT) | instid1(VALU_DEP_1)
	v_mul_lo_u32 v13, s60, v2
	v_mul_hi_u32 v13, v2, v13
	s_delay_alu instid0(VALU_DEP_1) | instskip(NEXT) | instid1(VALU_DEP_1)
	v_add_nc_u32_e32 v2, v2, v13
	v_mul_hi_u32 v2, v22, v2
	s_delay_alu instid0(VALU_DEP_1) | instskip(SKIP_1) | instid1(VALU_DEP_2)
	v_mul_lo_u32 v13, v2, s36
	v_add_nc_u32_e32 v14, 1, v2
	v_sub_nc_u32_e32 v13, v22, v13
	s_delay_alu instid0(VALU_DEP_1) | instskip(SKIP_1) | instid1(VALU_DEP_2)
	v_subrev_nc_u32_e32 v22, s36, v13
	v_cmp_le_u32_e32 vcc_lo, s36, v13
	v_cndmask_b32_e32 v13, v13, v22, vcc_lo
	v_cndmask_b32_e32 v2, v2, v14, vcc_lo
	s_delay_alu instid0(VALU_DEP_2) | instskip(NEXT) | instid1(VALU_DEP_2)
	v_cmp_le_u32_e32 vcc_lo, s36, v13
	v_add_nc_u32_e32 v14, 1, v2
	s_delay_alu instid0(VALU_DEP_1)
	v_dual_cndmask_b32 v13, v2, v14 :: v_dual_mov_b32 v14, v1
.LBB39_23:                              ;   in Loop: Header=BB39_3 Depth=1
	s_or_b32 exec_lo, exec_lo, s0
	s_delay_alu instid0(VALU_DEP_1) | instskip(NEXT) | instid1(VALU_DEP_2)
	v_mul_lo_u32 v2, v14, s36
	v_mul_lo_u32 v22, v13, s37
	v_mad_u64_u32 v[28:29], null, v13, s36, 0
	v_mul_lo_u32 v25, v13, s13
	s_mov_b32 s0, exec_lo
	s_delay_alu instid0(VALU_DEP_2) | instskip(NEXT) | instid1(VALU_DEP_3)
	v_add3_u32 v2, v29, v22, v2
	v_sub_co_u32 v7, vcc_lo, v7, v28
	v_mul_lo_u32 v22, v14, s12
	s_delay_alu instid0(VALU_DEP_3) | instskip(NEXT) | instid1(VALU_DEP_3)
	v_sub_co_ci_u32_e32 v2, vcc_lo, v8, v2, vcc_lo
	v_add_co_u32 v28, vcc_lo, v3, v7
	v_mad_u64_u32 v[7:8], null, v13, s12, 0
	s_delay_alu instid0(VALU_DEP_3) | instskip(NEXT) | instid1(VALU_DEP_3)
	v_add_co_ci_u32_e32 v2, vcc_lo, v4, v2, vcc_lo
	v_mul_lo_u32 v29, v28, s15
	v_mad_u64_u32 v[13:14], null, v28, s14, 0
	s_delay_alu instid0(VALU_DEP_3) | instskip(SKIP_1) | instid1(VALU_DEP_1)
	v_mul_lo_u32 v2, v2, s14
	v_add3_u32 v8, v8, v25, v22
	v_lshlrev_b64 v[7:8], 2, v[7:8]
	s_delay_alu instid0(VALU_DEP_3) | instskip(NEXT) | instid1(VALU_DEP_2)
	v_add3_u32 v14, v14, v29, v2
	v_add_co_u32 v2, vcc_lo, s30, v7
	s_delay_alu instid0(VALU_DEP_2) | instskip(NEXT) | instid1(VALU_DEP_4)
	v_lshlrev_b64 v[13:14], 2, v[13:14]
	v_add_co_ci_u32_e32 v8, vcc_lo, s31, v8, vcc_lo
	s_delay_alu instid0(VALU_DEP_2) | instskip(NEXT) | instid1(VALU_DEP_2)
	v_add_co_u32 v7, vcc_lo, v2, v13
	v_add_co_ci_u32_e32 v8, vcc_lo, v8, v14, vcc_lo
	v_or_b32_e32 v2, s37, v26
	global_load_b32 v14, v[7:8], off
                                        ; implicit-def: $vgpr7_vgpr8
	v_cmpx_ne_u64_e32 0, v[1:2]
	s_xor_b32 s72, exec_lo, s0
	s_cbranch_execz .LBB39_25
; %bb.24:                               ;   in Loop: Header=BB39_3 Depth=1
	s_ashr_i32 s60, s37, 31
	s_delay_alu instid0(SALU_CYCLE_1) | instskip(SKIP_2) | instid1(SALU_CYCLE_1)
	s_add_u32 s62, s36, s60
	s_mov_b32 s61, s60
	s_addc_u32 s63, s37, s60
	s_xor_b64 s[62:63], s[62:63], s[60:61]
	s_delay_alu instid0(SALU_CYCLE_1) | instskip(SKIP_3) | instid1(VALU_DEP_1)
	v_cvt_f32_u32_e32 v2, s62
	v_cvt_f32_u32_e32 v7, s63
	s_sub_u32 s0, 0, s62
	s_subb_u32 s61, 0, s63
	v_fmac_f32_e32 v2, 0x4f800000, v7
	s_delay_alu instid0(VALU_DEP_1) | instskip(SKIP_2) | instid1(VALU_DEP_1)
	v_rcp_f32_e32 v2, v2
	s_waitcnt_depctr 0xfff
	v_mul_f32_e32 v2, 0x5f7ffffc, v2
	v_mul_f32_e32 v7, 0x2f800000, v2
	s_delay_alu instid0(VALU_DEP_1) | instskip(NEXT) | instid1(VALU_DEP_1)
	v_trunc_f32_e32 v7, v7
	v_fmac_f32_e32 v2, 0xcf800000, v7
	v_cvt_u32_f32_e32 v7, v7
	s_delay_alu instid0(VALU_DEP_2) | instskip(NEXT) | instid1(VALU_DEP_2)
	v_cvt_u32_f32_e32 v2, v2
	v_mul_lo_u32 v8, s0, v7
	s_delay_alu instid0(VALU_DEP_2) | instskip(SKIP_1) | instid1(VALU_DEP_2)
	v_mul_hi_u32 v13, s0, v2
	v_mul_lo_u32 v22, s61, v2
	v_add_nc_u32_e32 v8, v13, v8
	v_mul_lo_u32 v13, s0, v2
	s_delay_alu instid0(VALU_DEP_2) | instskip(NEXT) | instid1(VALU_DEP_2)
	v_add_nc_u32_e32 v8, v8, v22
	v_mul_hi_u32 v22, v2, v13
	s_delay_alu instid0(VALU_DEP_2)
	v_mul_lo_u32 v25, v2, v8
	v_mul_hi_u32 v28, v2, v8
	v_mul_hi_u32 v29, v7, v13
	v_mul_lo_u32 v13, v7, v13
	v_mul_hi_u32 v30, v7, v8
	v_mul_lo_u32 v8, v7, v8
	v_add_co_u32 v22, vcc_lo, v22, v25
	v_add_co_ci_u32_e32 v25, vcc_lo, 0, v28, vcc_lo
	s_delay_alu instid0(VALU_DEP_2) | instskip(NEXT) | instid1(VALU_DEP_2)
	v_add_co_u32 v13, vcc_lo, v22, v13
	v_add_co_ci_u32_e32 v13, vcc_lo, v25, v29, vcc_lo
	v_add_co_ci_u32_e32 v22, vcc_lo, 0, v30, vcc_lo
	s_delay_alu instid0(VALU_DEP_2) | instskip(NEXT) | instid1(VALU_DEP_2)
	v_add_co_u32 v8, vcc_lo, v13, v8
	v_add_co_ci_u32_e32 v13, vcc_lo, 0, v22, vcc_lo
	s_delay_alu instid0(VALU_DEP_2) | instskip(NEXT) | instid1(VALU_DEP_2)
	v_add_co_u32 v2, vcc_lo, v2, v8
	v_add_co_ci_u32_e32 v7, vcc_lo, v7, v13, vcc_lo
	s_delay_alu instid0(VALU_DEP_2) | instskip(SKIP_1) | instid1(VALU_DEP_3)
	v_mul_hi_u32 v8, s0, v2
	v_mul_lo_u32 v22, s61, v2
	v_mul_lo_u32 v13, s0, v7
	s_delay_alu instid0(VALU_DEP_1) | instskip(SKIP_1) | instid1(VALU_DEP_2)
	v_add_nc_u32_e32 v8, v8, v13
	v_mul_lo_u32 v13, s0, v2
	v_add_nc_u32_e32 v8, v8, v22
	s_delay_alu instid0(VALU_DEP_2) | instskip(NEXT) | instid1(VALU_DEP_2)
	v_mul_hi_u32 v22, v2, v13
	v_mul_lo_u32 v25, v2, v8
	v_mul_hi_u32 v28, v2, v8
	v_mul_hi_u32 v29, v7, v13
	v_mul_lo_u32 v13, v7, v13
	v_mul_hi_u32 v30, v7, v8
	v_mul_lo_u32 v8, v7, v8
	v_add_co_u32 v22, vcc_lo, v22, v25
	v_add_co_ci_u32_e32 v25, vcc_lo, 0, v28, vcc_lo
	s_delay_alu instid0(VALU_DEP_2) | instskip(NEXT) | instid1(VALU_DEP_2)
	v_add_co_u32 v13, vcc_lo, v22, v13
	v_add_co_ci_u32_e32 v13, vcc_lo, v25, v29, vcc_lo
	v_add_co_ci_u32_e32 v22, vcc_lo, 0, v30, vcc_lo
	v_add_co_u32 v23, vcc_lo, v23, v20
	v_add_co_ci_u32_e32 v25, vcc_lo, v26, v20, vcc_lo
	s_delay_alu instid0(VALU_DEP_4) | instskip(NEXT) | instid1(VALU_DEP_4)
	v_add_co_u32 v8, vcc_lo, v13, v8
	v_add_co_ci_u32_e32 v13, vcc_lo, 0, v22, vcc_lo
	s_delay_alu instid0(VALU_DEP_4) | instskip(NEXT) | instid1(VALU_DEP_3)
	v_xor_b32_e32 v28, v23, v20
	v_add_co_u32 v2, vcc_lo, v2, v8
	s_delay_alu instid0(VALU_DEP_3) | instskip(SKIP_1) | instid1(VALU_DEP_3)
	v_add_co_ci_u32_e32 v13, vcc_lo, v7, v13, vcc_lo
	v_xor_b32_e32 v29, v25, v20
	v_mul_hi_u32 v30, v28, v2
	v_xor_b32_e32 v20, s60, v20
	s_delay_alu instid0(VALU_DEP_4) | instskip(NEXT) | instid1(VALU_DEP_4)
	v_mad_u64_u32 v[7:8], null, v28, v13, 0
	v_mad_u64_u32 v[22:23], null, v29, v2, 0
	;; [unrolled: 1-line block ×3, first 2 shown]
	s_delay_alu instid0(VALU_DEP_3) | instskip(NEXT) | instid1(VALU_DEP_4)
	v_add_co_u32 v2, vcc_lo, v30, v7
	v_add_co_ci_u32_e32 v7, vcc_lo, 0, v8, vcc_lo
	s_delay_alu instid0(VALU_DEP_2) | instskip(NEXT) | instid1(VALU_DEP_2)
	v_add_co_u32 v2, vcc_lo, v2, v22
	v_add_co_ci_u32_e32 v2, vcc_lo, v7, v23, vcc_lo
	v_add_co_ci_u32_e32 v7, vcc_lo, 0, v26, vcc_lo
	s_delay_alu instid0(VALU_DEP_2) | instskip(NEXT) | instid1(VALU_DEP_2)
	v_add_co_u32 v2, vcc_lo, v2, v25
	v_add_co_ci_u32_e32 v13, vcc_lo, 0, v7, vcc_lo
	s_delay_alu instid0(VALU_DEP_2) | instskip(SKIP_1) | instid1(VALU_DEP_3)
	v_mul_lo_u32 v22, s63, v2
	v_mad_u64_u32 v[7:8], null, s62, v2, 0
	v_mul_lo_u32 v23, s62, v13
	s_delay_alu instid0(VALU_DEP_2) | instskip(NEXT) | instid1(VALU_DEP_2)
	v_sub_co_u32 v7, vcc_lo, v28, v7
	v_add3_u32 v8, v8, v23, v22
	s_delay_alu instid0(VALU_DEP_1) | instskip(NEXT) | instid1(VALU_DEP_1)
	v_sub_nc_u32_e32 v22, v29, v8
	v_subrev_co_ci_u32_e64 v22, s0, s63, v22, vcc_lo
	v_add_co_u32 v23, s0, v2, 2
	s_delay_alu instid0(VALU_DEP_1) | instskip(SKIP_3) | instid1(VALU_DEP_3)
	v_add_co_ci_u32_e64 v25, s0, 0, v13, s0
	v_sub_co_u32 v26, s0, v7, s62
	v_sub_co_ci_u32_e32 v8, vcc_lo, v29, v8, vcc_lo
	v_subrev_co_ci_u32_e64 v22, s0, 0, v22, s0
	v_cmp_le_u32_e32 vcc_lo, s62, v26
	s_delay_alu instid0(VALU_DEP_3) | instskip(SKIP_1) | instid1(VALU_DEP_4)
	v_cmp_eq_u32_e64 s0, s63, v8
	v_cndmask_b32_e64 v26, 0, -1, vcc_lo
	v_cmp_le_u32_e32 vcc_lo, s63, v22
	v_cndmask_b32_e64 v28, 0, -1, vcc_lo
	v_cmp_le_u32_e32 vcc_lo, s62, v7
	;; [unrolled: 2-line block ×3, first 2 shown]
	v_cndmask_b32_e64 v29, 0, -1, vcc_lo
	v_cmp_eq_u32_e32 vcc_lo, s63, v22
	s_delay_alu instid0(VALU_DEP_2) | instskip(SKIP_3) | instid1(VALU_DEP_3)
	v_cndmask_b32_e64 v7, v29, v7, s0
	v_cndmask_b32_e32 v22, v28, v26, vcc_lo
	v_add_co_u32 v26, vcc_lo, v2, 1
	v_add_co_ci_u32_e32 v28, vcc_lo, 0, v13, vcc_lo
	v_cmp_ne_u32_e32 vcc_lo, 0, v22
	s_delay_alu instid0(VALU_DEP_2) | instskip(NEXT) | instid1(VALU_DEP_4)
	v_cndmask_b32_e32 v8, v28, v25, vcc_lo
	v_cndmask_b32_e32 v22, v26, v23, vcc_lo
	v_cmp_ne_u32_e32 vcc_lo, 0, v7
                                        ; implicit-def: $vgpr23
	s_delay_alu instid0(VALU_DEP_2) | instskip(NEXT) | instid1(VALU_DEP_1)
	v_dual_cndmask_b32 v2, v2, v22 :: v_dual_cndmask_b32 v7, v13, v8
	v_xor_b32_e32 v2, v2, v20
	s_delay_alu instid0(VALU_DEP_2) | instskip(NEXT) | instid1(VALU_DEP_2)
	v_xor_b32_e32 v8, v7, v20
	v_sub_co_u32 v7, vcc_lo, v2, v20
	s_delay_alu instid0(VALU_DEP_2)
	v_sub_co_ci_u32_e32 v8, vcc_lo, v8, v20, vcc_lo
.LBB39_25:                              ;   in Loop: Header=BB39_3 Depth=1
	s_and_not1_saveexec_b32 s0, s72
	s_cbranch_execz .LBB39_27
; %bb.26:                               ;   in Loop: Header=BB39_3 Depth=1
	v_rcp_iflag_f32_e32 v2, v19
	s_sub_i32 s60, 0, s36
	s_waitcnt_depctr 0xfff
	v_mul_f32_e32 v2, 0x4f7ffffe, v2
	s_delay_alu instid0(VALU_DEP_1) | instskip(NEXT) | instid1(VALU_DEP_1)
	v_cvt_u32_f32_e32 v2, v2
	v_mul_lo_u32 v7, s60, v2
	s_delay_alu instid0(VALU_DEP_1) | instskip(NEXT) | instid1(VALU_DEP_1)
	v_mul_hi_u32 v7, v2, v7
	v_add_nc_u32_e32 v2, v2, v7
	s_delay_alu instid0(VALU_DEP_1) | instskip(NEXT) | instid1(VALU_DEP_1)
	v_mul_hi_u32 v2, v23, v2
	v_mul_lo_u32 v7, v2, s36
	v_add_nc_u32_e32 v8, 1, v2
	s_delay_alu instid0(VALU_DEP_2) | instskip(NEXT) | instid1(VALU_DEP_1)
	v_sub_nc_u32_e32 v7, v23, v7
	v_subrev_nc_u32_e32 v13, s36, v7
	v_cmp_le_u32_e32 vcc_lo, s36, v7
	s_delay_alu instid0(VALU_DEP_2) | instskip(NEXT) | instid1(VALU_DEP_1)
	v_dual_cndmask_b32 v7, v7, v13 :: v_dual_cndmask_b32 v2, v2, v8
	v_cmp_le_u32_e32 vcc_lo, s36, v7
	s_delay_alu instid0(VALU_DEP_2) | instskip(NEXT) | instid1(VALU_DEP_1)
	v_add_nc_u32_e32 v8, 1, v2
	v_dual_cndmask_b32 v7, v2, v8 :: v_dual_mov_b32 v8, v1
.LBB39_27:                              ;   in Loop: Header=BB39_3 Depth=1
	s_or_b32 exec_lo, exec_lo, s0
	s_delay_alu instid0(VALU_DEP_1) | instskip(NEXT) | instid1(VALU_DEP_2)
	v_mul_lo_u32 v2, v8, s36
	v_mul_lo_u32 v13, v7, s37
	v_mad_u64_u32 v[22:23], null, v7, s36, 0
	s_mov_b32 s0, exec_lo
	s_delay_alu instid0(VALU_DEP_1) | instskip(SKIP_1) | instid1(VALU_DEP_3)
	v_add3_u32 v2, v23, v13, v2
	v_mul_lo_u32 v13, v8, s12
	v_sub_co_u32 v8, vcc_lo, v9, v22
	s_delay_alu instid0(VALU_DEP_3) | instskip(NEXT) | instid1(VALU_DEP_2)
	v_sub_co_ci_u32_e32 v2, vcc_lo, v10, v2, vcc_lo
	v_add_co_u32 v20, vcc_lo, v3, v8
	v_mul_lo_u32 v10, v7, s13
	s_delay_alu instid0(VALU_DEP_3) | instskip(SKIP_1) | instid1(VALU_DEP_4)
	v_add_co_ci_u32_e32 v2, vcc_lo, v4, v2, vcc_lo
	v_mad_u64_u32 v[8:9], null, v7, s12, 0
	v_mul_lo_u32 v7, v20, s15
	v_mad_u64_u32 v[22:23], null, v20, s14, 0
	s_delay_alu instid0(VALU_DEP_4) | instskip(NEXT) | instid1(VALU_DEP_4)
	v_mul_lo_u32 v2, v2, s14
	v_add3_u32 v9, v9, v10, v13
	s_delay_alu instid0(VALU_DEP_2) | instskip(NEXT) | instid1(VALU_DEP_2)
	v_add3_u32 v23, v23, v7, v2
	v_lshlrev_b64 v[7:8], 2, v[8:9]
	s_delay_alu instid0(VALU_DEP_2) | instskip(NEXT) | instid1(VALU_DEP_2)
	v_lshlrev_b64 v[9:10], 2, v[22:23]
	v_add_co_u32 v2, vcc_lo, s30, v7
	s_delay_alu instid0(VALU_DEP_3) | instskip(NEXT) | instid1(VALU_DEP_2)
	v_add_co_ci_u32_e32 v8, vcc_lo, s31, v8, vcc_lo
	v_add_co_u32 v7, vcc_lo, v2, v9
	s_delay_alu instid0(VALU_DEP_2)
	v_add_co_ci_u32_e32 v8, vcc_lo, v8, v10, vcc_lo
	v_or_b32_e32 v2, s37, v27
	global_load_b32 v9, v[7:8], off
                                        ; implicit-def: $vgpr7_vgpr8
	v_cmpx_ne_u64_e32 0, v[1:2]
	s_xor_b32 s72, exec_lo, s0
	s_cbranch_execz .LBB39_29
; %bb.28:                               ;   in Loop: Header=BB39_3 Depth=1
	s_ashr_i32 s60, s37, 31
	s_delay_alu instid0(SALU_CYCLE_1) | instskip(SKIP_2) | instid1(SALU_CYCLE_1)
	s_add_u32 s62, s36, s60
	s_mov_b32 s61, s60
	s_addc_u32 s63, s37, s60
	s_xor_b64 s[62:63], s[62:63], s[60:61]
	s_delay_alu instid0(SALU_CYCLE_1) | instskip(SKIP_3) | instid1(VALU_DEP_1)
	v_cvt_f32_u32_e32 v2, s62
	v_cvt_f32_u32_e32 v7, s63
	s_sub_u32 s0, 0, s62
	s_subb_u32 s61, 0, s63
	v_fmac_f32_e32 v2, 0x4f800000, v7
	s_delay_alu instid0(VALU_DEP_1) | instskip(SKIP_2) | instid1(VALU_DEP_1)
	v_rcp_f32_e32 v2, v2
	s_waitcnt_depctr 0xfff
	v_mul_f32_e32 v2, 0x5f7ffffc, v2
	v_mul_f32_e32 v7, 0x2f800000, v2
	s_delay_alu instid0(VALU_DEP_1) | instskip(NEXT) | instid1(VALU_DEP_1)
	v_trunc_f32_e32 v7, v7
	v_fmac_f32_e32 v2, 0xcf800000, v7
	v_cvt_u32_f32_e32 v7, v7
	s_delay_alu instid0(VALU_DEP_2) | instskip(NEXT) | instid1(VALU_DEP_2)
	v_cvt_u32_f32_e32 v2, v2
	v_mul_lo_u32 v8, s0, v7
	s_delay_alu instid0(VALU_DEP_2) | instskip(SKIP_1) | instid1(VALU_DEP_2)
	v_mul_hi_u32 v10, s0, v2
	v_mul_lo_u32 v13, s61, v2
	v_add_nc_u32_e32 v8, v10, v8
	v_mul_lo_u32 v10, s0, v2
	s_delay_alu instid0(VALU_DEP_2) | instskip(NEXT) | instid1(VALU_DEP_2)
	v_add_nc_u32_e32 v8, v8, v13
	v_mul_hi_u32 v13, v2, v10
	s_delay_alu instid0(VALU_DEP_2)
	v_mul_lo_u32 v19, v2, v8
	v_mul_hi_u32 v20, v2, v8
	v_mul_hi_u32 v22, v7, v10
	v_mul_lo_u32 v10, v7, v10
	v_mul_hi_u32 v23, v7, v8
	v_mul_lo_u32 v8, v7, v8
	v_add_co_u32 v13, vcc_lo, v13, v19
	v_add_co_ci_u32_e32 v19, vcc_lo, 0, v20, vcc_lo
	s_delay_alu instid0(VALU_DEP_2) | instskip(NEXT) | instid1(VALU_DEP_2)
	v_add_co_u32 v10, vcc_lo, v13, v10
	v_add_co_ci_u32_e32 v10, vcc_lo, v19, v22, vcc_lo
	v_add_co_ci_u32_e32 v13, vcc_lo, 0, v23, vcc_lo
	s_delay_alu instid0(VALU_DEP_2) | instskip(NEXT) | instid1(VALU_DEP_2)
	v_add_co_u32 v8, vcc_lo, v10, v8
	v_add_co_ci_u32_e32 v10, vcc_lo, 0, v13, vcc_lo
	s_delay_alu instid0(VALU_DEP_2) | instskip(NEXT) | instid1(VALU_DEP_2)
	v_add_co_u32 v2, vcc_lo, v2, v8
	v_add_co_ci_u32_e32 v7, vcc_lo, v7, v10, vcc_lo
	s_delay_alu instid0(VALU_DEP_2) | instskip(SKIP_1) | instid1(VALU_DEP_3)
	v_mul_hi_u32 v8, s0, v2
	v_mul_lo_u32 v13, s61, v2
	v_mul_lo_u32 v10, s0, v7
	s_delay_alu instid0(VALU_DEP_1) | instskip(SKIP_1) | instid1(VALU_DEP_2)
	v_add_nc_u32_e32 v8, v8, v10
	v_mul_lo_u32 v10, s0, v2
	v_add_nc_u32_e32 v8, v8, v13
	s_delay_alu instid0(VALU_DEP_2) | instskip(NEXT) | instid1(VALU_DEP_2)
	v_mul_hi_u32 v13, v2, v10
	v_mul_lo_u32 v19, v2, v8
	v_mul_hi_u32 v20, v2, v8
	v_mul_hi_u32 v22, v7, v10
	v_mul_lo_u32 v10, v7, v10
	v_mul_hi_u32 v23, v7, v8
	v_mul_lo_u32 v8, v7, v8
	v_add_co_u32 v13, vcc_lo, v13, v19
	v_add_co_ci_u32_e32 v19, vcc_lo, 0, v20, vcc_lo
	s_delay_alu instid0(VALU_DEP_2) | instskip(NEXT) | instid1(VALU_DEP_2)
	v_add_co_u32 v10, vcc_lo, v13, v10
	v_add_co_ci_u32_e32 v10, vcc_lo, v19, v22, vcc_lo
	v_add_co_ci_u32_e32 v13, vcc_lo, 0, v23, vcc_lo
	v_add_co_u32 v19, vcc_lo, v24, v21
	v_add_co_ci_u32_e32 v20, vcc_lo, v27, v21, vcc_lo
	s_delay_alu instid0(VALU_DEP_4) | instskip(NEXT) | instid1(VALU_DEP_4)
	v_add_co_u32 v8, vcc_lo, v10, v8
	v_add_co_ci_u32_e32 v10, vcc_lo, 0, v13, vcc_lo
	s_delay_alu instid0(VALU_DEP_4) | instskip(NEXT) | instid1(VALU_DEP_3)
	v_xor_b32_e32 v13, v19, v21
	v_add_co_u32 v2, vcc_lo, v2, v8
	s_delay_alu instid0(VALU_DEP_3) | instskip(SKIP_1) | instid1(VALU_DEP_3)
	v_add_co_ci_u32_e32 v10, vcc_lo, v7, v10, vcc_lo
	v_xor_b32_e32 v24, v20, v21
	v_mul_hi_u32 v25, v13, v2
	s_delay_alu instid0(VALU_DEP_3) | instskip(NEXT) | instid1(VALU_DEP_3)
	v_mad_u64_u32 v[7:8], null, v13, v10, 0
	v_mad_u64_u32 v[19:20], null, v24, v2, 0
	;; [unrolled: 1-line block ×3, first 2 shown]
	s_delay_alu instid0(VALU_DEP_3) | instskip(NEXT) | instid1(VALU_DEP_4)
	v_add_co_u32 v2, vcc_lo, v25, v7
	v_add_co_ci_u32_e32 v7, vcc_lo, 0, v8, vcc_lo
	s_delay_alu instid0(VALU_DEP_2) | instskip(NEXT) | instid1(VALU_DEP_2)
	v_add_co_u32 v2, vcc_lo, v2, v19
	v_add_co_ci_u32_e32 v2, vcc_lo, v7, v20, vcc_lo
	v_add_co_ci_u32_e32 v7, vcc_lo, 0, v23, vcc_lo
	s_delay_alu instid0(VALU_DEP_2) | instskip(NEXT) | instid1(VALU_DEP_2)
	v_add_co_u32 v2, vcc_lo, v2, v22
	v_add_co_ci_u32_e32 v10, vcc_lo, 0, v7, vcc_lo
	s_delay_alu instid0(VALU_DEP_2) | instskip(SKIP_1) | instid1(VALU_DEP_3)
	v_mul_lo_u32 v19, s63, v2
	v_mad_u64_u32 v[7:8], null, s62, v2, 0
	v_mul_lo_u32 v20, s62, v10
	s_delay_alu instid0(VALU_DEP_2) | instskip(NEXT) | instid1(VALU_DEP_2)
	v_sub_co_u32 v7, vcc_lo, v13, v7
	v_add3_u32 v8, v8, v20, v19
	s_delay_alu instid0(VALU_DEP_1) | instskip(NEXT) | instid1(VALU_DEP_1)
	v_sub_nc_u32_e32 v19, v24, v8
	v_subrev_co_ci_u32_e64 v13, s0, s63, v19, vcc_lo
	v_add_co_u32 v19, s0, v2, 2
	s_delay_alu instid0(VALU_DEP_1) | instskip(SKIP_3) | instid1(VALU_DEP_3)
	v_add_co_ci_u32_e64 v20, s0, 0, v10, s0
	v_sub_co_u32 v22, s0, v7, s62
	v_sub_co_ci_u32_e32 v8, vcc_lo, v24, v8, vcc_lo
	v_subrev_co_ci_u32_e64 v13, s0, 0, v13, s0
	v_cmp_le_u32_e32 vcc_lo, s62, v22
	s_delay_alu instid0(VALU_DEP_3) | instskip(SKIP_1) | instid1(VALU_DEP_4)
	v_cmp_eq_u32_e64 s0, s63, v8
	v_cndmask_b32_e64 v22, 0, -1, vcc_lo
	v_cmp_le_u32_e32 vcc_lo, s63, v13
	v_cndmask_b32_e64 v23, 0, -1, vcc_lo
	v_cmp_le_u32_e32 vcc_lo, s62, v7
	v_cndmask_b32_e64 v7, 0, -1, vcc_lo
	v_cmp_le_u32_e32 vcc_lo, s63, v8
	v_cndmask_b32_e64 v24, 0, -1, vcc_lo
	v_cmp_eq_u32_e32 vcc_lo, s63, v13
	s_delay_alu instid0(VALU_DEP_2) | instskip(SKIP_3) | instid1(VALU_DEP_3)
	v_cndmask_b32_e64 v7, v24, v7, s0
	v_cndmask_b32_e32 v13, v23, v22, vcc_lo
	v_add_co_u32 v22, vcc_lo, v2, 1
	v_add_co_ci_u32_e32 v23, vcc_lo, 0, v10, vcc_lo
	v_cmp_ne_u32_e32 vcc_lo, 0, v13
                                        ; implicit-def: $vgpr24
	s_delay_alu instid0(VALU_DEP_2) | instskip(SKIP_2) | instid1(VALU_DEP_3)
	v_dual_cndmask_b32 v8, v23, v20 :: v_dual_cndmask_b32 v13, v22, v19
	v_cmp_ne_u32_e32 vcc_lo, 0, v7
	v_xor_b32_e32 v19, s60, v21
	v_cndmask_b32_e32 v7, v10, v8, vcc_lo
	s_delay_alu instid0(VALU_DEP_4) | instskip(NEXT) | instid1(VALU_DEP_2)
	v_cndmask_b32_e32 v2, v2, v13, vcc_lo
	v_xor_b32_e32 v8, v7, v19
	s_delay_alu instid0(VALU_DEP_2) | instskip(NEXT) | instid1(VALU_DEP_1)
	v_xor_b32_e32 v2, v2, v19
	v_sub_co_u32 v7, vcc_lo, v2, v19
	s_delay_alu instid0(VALU_DEP_3)
	v_sub_co_ci_u32_e32 v8, vcc_lo, v8, v19, vcc_lo
                                        ; implicit-def: $vgpr19
.LBB39_29:                              ;   in Loop: Header=BB39_3 Depth=1
	s_and_not1_saveexec_b32 s0, s72
	s_cbranch_execz .LBB39_31
; %bb.30:                               ;   in Loop: Header=BB39_3 Depth=1
	v_rcp_iflag_f32_e32 v2, v19
	s_sub_i32 s60, 0, s36
	s_waitcnt_depctr 0xfff
	v_mul_f32_e32 v2, 0x4f7ffffe, v2
	s_delay_alu instid0(VALU_DEP_1) | instskip(NEXT) | instid1(VALU_DEP_1)
	v_cvt_u32_f32_e32 v2, v2
	v_mul_lo_u32 v7, s60, v2
	s_delay_alu instid0(VALU_DEP_1) | instskip(NEXT) | instid1(VALU_DEP_1)
	v_mul_hi_u32 v7, v2, v7
	v_add_nc_u32_e32 v2, v2, v7
	s_delay_alu instid0(VALU_DEP_1) | instskip(NEXT) | instid1(VALU_DEP_1)
	v_mul_hi_u32 v2, v24, v2
	v_mul_lo_u32 v7, v2, s36
	v_add_nc_u32_e32 v8, 1, v2
	s_delay_alu instid0(VALU_DEP_2) | instskip(NEXT) | instid1(VALU_DEP_1)
	v_sub_nc_u32_e32 v7, v24, v7
	v_subrev_nc_u32_e32 v10, s36, v7
	v_cmp_le_u32_e32 vcc_lo, s36, v7
	s_delay_alu instid0(VALU_DEP_2) | instskip(NEXT) | instid1(VALU_DEP_1)
	v_dual_cndmask_b32 v7, v7, v10 :: v_dual_cndmask_b32 v2, v2, v8
	v_cmp_le_u32_e32 vcc_lo, s36, v7
	s_delay_alu instid0(VALU_DEP_2) | instskip(NEXT) | instid1(VALU_DEP_1)
	v_add_nc_u32_e32 v8, 1, v2
	v_dual_cndmask_b32 v7, v2, v8 :: v_dual_mov_b32 v8, v1
.LBB39_31:                              ;   in Loop: Header=BB39_3 Depth=1
	s_or_b32 exec_lo, exec_lo, s0
	s_delay_alu instid0(VALU_DEP_1) | instskip(NEXT) | instid1(VALU_DEP_2)
	v_mul_lo_u32 v2, v8, s36
	v_mul_lo_u32 v10, v7, s37
	v_mad_u64_u32 v[19:20], null, v7, s36, 0
	v_mul_lo_u32 v13, v8, s12
	s_mov_b32 s0, exec_lo
	s_delay_alu instid0(VALU_DEP_2) | instskip(NEXT) | instid1(VALU_DEP_3)
	v_add3_u32 v2, v20, v10, v2
	v_sub_co_u32 v8, vcc_lo, v11, v19
	v_mad_u64_u32 v[10:11], null, v7, s12, 0
	s_delay_alu instid0(VALU_DEP_3) | instskip(NEXT) | instid1(VALU_DEP_3)
	v_sub_co_ci_u32_e32 v2, vcc_lo, v12, v2, vcc_lo
	v_add_co_u32 v19, vcc_lo, v3, v8
	v_mul_lo_u32 v12, v7, s13
	s_delay_alu instid0(VALU_DEP_3) | instskip(NEXT) | instid1(VALU_DEP_3)
	v_add_co_ci_u32_e32 v2, vcc_lo, v4, v2, vcc_lo
	v_mul_lo_u32 v20, v19, s15
	v_mad_u64_u32 v[7:8], null, v19, s14, 0
	s_delay_alu instid0(VALU_DEP_3) | instskip(SKIP_1) | instid1(VALU_DEP_1)
	v_mul_lo_u32 v2, v2, s14
	v_add3_u32 v11, v11, v12, v13
	v_lshlrev_b64 v[10:11], 2, v[10:11]
	s_delay_alu instid0(VALU_DEP_3) | instskip(NEXT) | instid1(VALU_DEP_2)
	v_add3_u32 v8, v8, v20, v2
	v_add_co_u32 v2, vcc_lo, s30, v10
	s_delay_alu instid0(VALU_DEP_2) | instskip(NEXT) | instid1(VALU_DEP_4)
	v_lshlrev_b64 v[7:8], 2, v[7:8]
	v_add_co_ci_u32_e32 v10, vcc_lo, s31, v11, vcc_lo
	s_delay_alu instid0(VALU_DEP_2) | instskip(NEXT) | instid1(VALU_DEP_2)
	v_add_co_u32 v7, vcc_lo, v2, v7
	v_add_co_ci_u32_e32 v8, vcc_lo, v10, v8, vcc_lo
	v_or_b32_e32 v2, s47, v4
	global_load_b32 v10, v[7:8], off
                                        ; implicit-def: $vgpr7_vgpr8
	v_cmpx_ne_u64_e32 0, v[1:2]
	s_xor_b32 s72, exec_lo, s0
	s_cbranch_execz .LBB39_33
; %bb.32:                               ;   in Loop: Header=BB39_3 Depth=1
	s_ashr_i32 s60, s47, 31
	s_delay_alu instid0(SALU_CYCLE_1) | instskip(SKIP_2) | instid1(SALU_CYCLE_1)
	s_add_u32 s62, s46, s60
	s_mov_b32 s61, s60
	s_addc_u32 s63, s47, s60
	s_xor_b64 s[62:63], s[62:63], s[60:61]
	s_delay_alu instid0(SALU_CYCLE_1) | instskip(SKIP_3) | instid1(VALU_DEP_1)
	v_cvt_f32_u32_e32 v2, s62
	v_cvt_f32_u32_e32 v7, s63
	s_sub_u32 s0, 0, s62
	s_subb_u32 s61, 0, s63
	v_fmac_f32_e32 v2, 0x4f800000, v7
	s_delay_alu instid0(VALU_DEP_1) | instskip(SKIP_2) | instid1(VALU_DEP_1)
	v_rcp_f32_e32 v2, v2
	s_waitcnt_depctr 0xfff
	v_mul_f32_e32 v2, 0x5f7ffffc, v2
	v_mul_f32_e32 v7, 0x2f800000, v2
	s_delay_alu instid0(VALU_DEP_1) | instskip(NEXT) | instid1(VALU_DEP_1)
	v_trunc_f32_e32 v7, v7
	v_fmac_f32_e32 v2, 0xcf800000, v7
	v_cvt_u32_f32_e32 v7, v7
	s_delay_alu instid0(VALU_DEP_2) | instskip(NEXT) | instid1(VALU_DEP_2)
	v_cvt_u32_f32_e32 v2, v2
	v_mul_lo_u32 v8, s0, v7
	s_delay_alu instid0(VALU_DEP_2) | instskip(SKIP_1) | instid1(VALU_DEP_2)
	v_mul_hi_u32 v11, s0, v2
	v_mul_lo_u32 v12, s61, v2
	v_add_nc_u32_e32 v8, v11, v8
	v_mul_lo_u32 v11, s0, v2
	s_delay_alu instid0(VALU_DEP_2) | instskip(NEXT) | instid1(VALU_DEP_2)
	v_add_nc_u32_e32 v8, v8, v12
	v_mul_hi_u32 v12, v2, v11
	s_delay_alu instid0(VALU_DEP_2)
	v_mul_lo_u32 v13, v2, v8
	v_mul_hi_u32 v19, v2, v8
	v_mul_hi_u32 v20, v7, v11
	v_mul_lo_u32 v11, v7, v11
	v_mul_hi_u32 v21, v7, v8
	v_mul_lo_u32 v8, v7, v8
	v_add_co_u32 v12, vcc_lo, v12, v13
	v_add_co_ci_u32_e32 v13, vcc_lo, 0, v19, vcc_lo
	s_delay_alu instid0(VALU_DEP_2) | instskip(NEXT) | instid1(VALU_DEP_2)
	v_add_co_u32 v11, vcc_lo, v12, v11
	v_add_co_ci_u32_e32 v11, vcc_lo, v13, v20, vcc_lo
	v_add_co_ci_u32_e32 v12, vcc_lo, 0, v21, vcc_lo
	s_delay_alu instid0(VALU_DEP_2) | instskip(NEXT) | instid1(VALU_DEP_2)
	v_add_co_u32 v8, vcc_lo, v11, v8
	v_add_co_ci_u32_e32 v11, vcc_lo, 0, v12, vcc_lo
	s_delay_alu instid0(VALU_DEP_2) | instskip(NEXT) | instid1(VALU_DEP_2)
	v_add_co_u32 v2, vcc_lo, v2, v8
	v_add_co_ci_u32_e32 v7, vcc_lo, v7, v11, vcc_lo
	s_delay_alu instid0(VALU_DEP_2) | instskip(SKIP_1) | instid1(VALU_DEP_3)
	v_mul_hi_u32 v8, s0, v2
	v_mul_lo_u32 v12, s61, v2
	v_mul_lo_u32 v11, s0, v7
	s_delay_alu instid0(VALU_DEP_1) | instskip(SKIP_1) | instid1(VALU_DEP_2)
	v_add_nc_u32_e32 v8, v8, v11
	v_mul_lo_u32 v11, s0, v2
	v_add_nc_u32_e32 v8, v8, v12
	s_delay_alu instid0(VALU_DEP_2) | instskip(NEXT) | instid1(VALU_DEP_2)
	v_mul_hi_u32 v12, v2, v11
	v_mul_lo_u32 v13, v2, v8
	v_mul_hi_u32 v19, v2, v8
	v_mul_hi_u32 v20, v7, v11
	v_mul_lo_u32 v11, v7, v11
	v_mul_hi_u32 v21, v7, v8
	v_mul_lo_u32 v8, v7, v8
	v_add_co_u32 v12, vcc_lo, v12, v13
	v_add_co_ci_u32_e32 v13, vcc_lo, 0, v19, vcc_lo
	s_delay_alu instid0(VALU_DEP_2) | instskip(NEXT) | instid1(VALU_DEP_2)
	v_add_co_u32 v11, vcc_lo, v12, v11
	v_add_co_ci_u32_e32 v11, vcc_lo, v13, v20, vcc_lo
	v_add_co_ci_u32_e32 v12, vcc_lo, 0, v21, vcc_lo
	v_add_co_u32 v13, vcc_lo, v3, v15
	v_add_co_ci_u32_e32 v19, vcc_lo, v4, v15, vcc_lo
	s_delay_alu instid0(VALU_DEP_4) | instskip(NEXT) | instid1(VALU_DEP_4)
	v_add_co_u32 v8, vcc_lo, v11, v8
	v_add_co_ci_u32_e32 v11, vcc_lo, 0, v12, vcc_lo
	s_delay_alu instid0(VALU_DEP_4) | instskip(NEXT) | instid1(VALU_DEP_3)
	v_xor_b32_e32 v13, v13, v15
	v_add_co_u32 v2, vcc_lo, v2, v8
	s_delay_alu instid0(VALU_DEP_3) | instskip(SKIP_1) | instid1(VALU_DEP_3)
	v_add_co_ci_u32_e32 v21, vcc_lo, v7, v11, vcc_lo
	v_xor_b32_e32 v22, v19, v15
	v_mul_hi_u32 v23, v13, v2
	s_delay_alu instid0(VALU_DEP_3) | instskip(NEXT) | instid1(VALU_DEP_3)
	v_mad_u64_u32 v[7:8], null, v13, v21, 0
	v_mad_u64_u32 v[11:12], null, v22, v2, 0
	;; [unrolled: 1-line block ×3, first 2 shown]
	s_delay_alu instid0(VALU_DEP_3) | instskip(NEXT) | instid1(VALU_DEP_4)
	v_add_co_u32 v2, vcc_lo, v23, v7
	v_add_co_ci_u32_e32 v7, vcc_lo, 0, v8, vcc_lo
	s_delay_alu instid0(VALU_DEP_2) | instskip(NEXT) | instid1(VALU_DEP_2)
	v_add_co_u32 v2, vcc_lo, v2, v11
	v_add_co_ci_u32_e32 v2, vcc_lo, v7, v12, vcc_lo
	v_add_co_ci_u32_e32 v7, vcc_lo, 0, v20, vcc_lo
	s_delay_alu instid0(VALU_DEP_2) | instskip(NEXT) | instid1(VALU_DEP_2)
	v_add_co_u32 v2, vcc_lo, v2, v19
	v_add_co_ci_u32_e32 v11, vcc_lo, 0, v7, vcc_lo
	s_delay_alu instid0(VALU_DEP_2) | instskip(SKIP_1) | instid1(VALU_DEP_3)
	v_mul_lo_u32 v12, s63, v2
	v_mad_u64_u32 v[7:8], null, s62, v2, 0
	v_mul_lo_u32 v19, s62, v11
	s_delay_alu instid0(VALU_DEP_2) | instskip(NEXT) | instid1(VALU_DEP_2)
	v_sub_co_u32 v7, vcc_lo, v13, v7
	v_add3_u32 v8, v8, v19, v12
	s_delay_alu instid0(VALU_DEP_1) | instskip(NEXT) | instid1(VALU_DEP_1)
	v_sub_nc_u32_e32 v12, v22, v8
	v_subrev_co_ci_u32_e64 v12, s0, s63, v12, vcc_lo
	v_add_co_u32 v13, s0, v2, 2
	s_delay_alu instid0(VALU_DEP_1) | instskip(SKIP_3) | instid1(VALU_DEP_3)
	v_add_co_ci_u32_e64 v19, s0, 0, v11, s0
	v_sub_co_u32 v20, s0, v7, s62
	v_sub_co_ci_u32_e32 v8, vcc_lo, v22, v8, vcc_lo
	v_subrev_co_ci_u32_e64 v12, s0, 0, v12, s0
	v_cmp_le_u32_e32 vcc_lo, s62, v20
	s_delay_alu instid0(VALU_DEP_3) | instskip(SKIP_1) | instid1(VALU_DEP_4)
	v_cmp_eq_u32_e64 s0, s63, v8
	v_cndmask_b32_e64 v20, 0, -1, vcc_lo
	v_cmp_le_u32_e32 vcc_lo, s63, v12
	v_cndmask_b32_e64 v21, 0, -1, vcc_lo
	v_cmp_le_u32_e32 vcc_lo, s62, v7
	;; [unrolled: 2-line block ×3, first 2 shown]
	v_cndmask_b32_e64 v22, 0, -1, vcc_lo
	v_cmp_eq_u32_e32 vcc_lo, s63, v12
	s_delay_alu instid0(VALU_DEP_2) | instskip(SKIP_3) | instid1(VALU_DEP_3)
	v_cndmask_b32_e64 v7, v22, v7, s0
	v_cndmask_b32_e32 v12, v21, v20, vcc_lo
	v_add_co_u32 v20, vcc_lo, v2, 1
	v_add_co_ci_u32_e32 v21, vcc_lo, 0, v11, vcc_lo
	v_cmp_ne_u32_e32 vcc_lo, 0, v12
	s_delay_alu instid0(VALU_DEP_2) | instskip(NEXT) | instid1(VALU_DEP_4)
	v_cndmask_b32_e32 v8, v21, v19, vcc_lo
	v_cndmask_b32_e32 v12, v20, v13, vcc_lo
	v_cmp_ne_u32_e32 vcc_lo, 0, v7
	v_xor_b32_e32 v13, s60, v15
	s_delay_alu instid0(VALU_DEP_3) | instskip(SKIP_1) | instid1(VALU_DEP_2)
	v_cndmask_b32_e32 v2, v2, v12, vcc_lo
	v_cndmask_b32_e32 v7, v11, v8, vcc_lo
	v_xor_b32_e32 v2, v2, v13
	s_delay_alu instid0(VALU_DEP_2) | instskip(NEXT) | instid1(VALU_DEP_2)
	v_xor_b32_e32 v8, v7, v13
	v_sub_co_u32 v7, vcc_lo, v2, v13
	s_delay_alu instid0(VALU_DEP_2)
	v_sub_co_ci_u32_e32 v8, vcc_lo, v8, v13, vcc_lo
.LBB39_33:                              ;   in Loop: Header=BB39_3 Depth=1
	s_and_not1_saveexec_b32 s0, s72
	s_cbranch_execz .LBB39_35
; %bb.34:                               ;   in Loop: Header=BB39_3 Depth=1
	v_cvt_f32_u32_e32 v2, s46
	s_sub_i32 s60, 0, s46
	s_delay_alu instid0(VALU_DEP_1) | instskip(SKIP_2) | instid1(VALU_DEP_1)
	v_rcp_iflag_f32_e32 v2, v2
	s_waitcnt_depctr 0xfff
	v_mul_f32_e32 v2, 0x4f7ffffe, v2
	v_cvt_u32_f32_e32 v2, v2
	s_delay_alu instid0(VALU_DEP_1) | instskip(NEXT) | instid1(VALU_DEP_1)
	v_mul_lo_u32 v7, s60, v2
	v_mul_hi_u32 v7, v2, v7
	s_delay_alu instid0(VALU_DEP_1) | instskip(NEXT) | instid1(VALU_DEP_1)
	v_add_nc_u32_e32 v2, v2, v7
	v_mul_hi_u32 v2, v3, v2
	s_delay_alu instid0(VALU_DEP_1) | instskip(SKIP_1) | instid1(VALU_DEP_2)
	v_mul_lo_u32 v7, v2, s46
	v_add_nc_u32_e32 v8, 1, v2
	v_sub_nc_u32_e32 v7, v3, v7
	s_delay_alu instid0(VALU_DEP_1) | instskip(SKIP_1) | instid1(VALU_DEP_2)
	v_subrev_nc_u32_e32 v11, s46, v7
	v_cmp_le_u32_e32 vcc_lo, s46, v7
	v_dual_cndmask_b32 v7, v7, v11 :: v_dual_cndmask_b32 v2, v2, v8
	s_delay_alu instid0(VALU_DEP_1) | instskip(NEXT) | instid1(VALU_DEP_2)
	v_cmp_le_u32_e32 vcc_lo, s46, v7
	v_add_nc_u32_e32 v8, 1, v2
	s_delay_alu instid0(VALU_DEP_1)
	v_dual_cndmask_b32 v7, v2, v8 :: v_dual_mov_b32 v8, v1
.LBB39_35:                              ;   in Loop: Header=BB39_3 Depth=1
	s_or_b32 exec_lo, exec_lo, s0
	s_delay_alu instid0(VALU_DEP_1) | instskip(NEXT) | instid1(VALU_DEP_2)
	v_mad_u64_u32 v[11:12], null, s67, v7, v[3:4]
	v_mul_lo_u32 v2, s67, v8
	v_mul_lo_u32 v13, s68, v7
	;; [unrolled: 1-line block ×4, first 2 shown]
	s_mov_b32 s0, exec_lo
	v_mul_lo_u32 v21, v11, s19
	s_delay_alu instid0(VALU_DEP_4) | instskip(SKIP_2) | instid1(VALU_DEP_3)
	v_add3_u32 v2, v13, v12, v2
	v_mad_u64_u32 v[12:13], null, v7, s16, 0
	v_mad_u64_u32 v[7:8], null, v11, s18, 0
	v_mul_lo_u32 v2, v2, s18
	s_delay_alu instid0(VALU_DEP_3) | instskip(NEXT) | instid1(VALU_DEP_2)
	v_add3_u32 v13, v13, v20, v19
	v_add3_u32 v8, v8, v21, v2
	s_delay_alu instid0(VALU_DEP_2) | instskip(NEXT) | instid1(VALU_DEP_2)
	v_lshlrev_b64 v[11:12], 2, v[12:13]
	v_lshlrev_b64 v[7:8], 2, v[7:8]
	s_delay_alu instid0(VALU_DEP_2) | instskip(NEXT) | instid1(VALU_DEP_3)
	v_add_co_u32 v2, vcc_lo, s44, v11
	v_add_co_ci_u32_e32 v11, vcc_lo, s45, v12, vcc_lo
	s_delay_alu instid0(VALU_DEP_2) | instskip(NEXT) | instid1(VALU_DEP_2)
	v_add_co_u32 v7, vcc_lo, v2, v7
	v_add_co_ci_u32_e32 v8, vcc_lo, v11, v8, vcc_lo
	v_or_b32_e32 v2, s51, v4
	global_load_b32 v13, v[7:8], off
                                        ; implicit-def: $vgpr7_vgpr8
	v_cmpx_ne_u64_e32 0, v[1:2]
	s_xor_b32 s72, exec_lo, s0
	s_cbranch_execz .LBB39_37
; %bb.36:                               ;   in Loop: Header=BB39_3 Depth=1
	s_ashr_i32 s60, s51, 31
	s_delay_alu instid0(SALU_CYCLE_1) | instskip(SKIP_2) | instid1(SALU_CYCLE_1)
	s_add_u32 s62, s50, s60
	s_mov_b32 s61, s60
	s_addc_u32 s63, s51, s60
	s_xor_b64 s[62:63], s[62:63], s[60:61]
	s_delay_alu instid0(SALU_CYCLE_1) | instskip(SKIP_3) | instid1(VALU_DEP_1)
	v_cvt_f32_u32_e32 v2, s62
	v_cvt_f32_u32_e32 v7, s63
	s_sub_u32 s0, 0, s62
	s_subb_u32 s61, 0, s63
	v_fmac_f32_e32 v2, 0x4f800000, v7
	s_delay_alu instid0(VALU_DEP_1) | instskip(SKIP_2) | instid1(VALU_DEP_1)
	v_rcp_f32_e32 v2, v2
	s_waitcnt_depctr 0xfff
	v_mul_f32_e32 v2, 0x5f7ffffc, v2
	v_mul_f32_e32 v7, 0x2f800000, v2
	s_delay_alu instid0(VALU_DEP_1) | instskip(NEXT) | instid1(VALU_DEP_1)
	v_trunc_f32_e32 v7, v7
	v_fmac_f32_e32 v2, 0xcf800000, v7
	v_cvt_u32_f32_e32 v7, v7
	s_delay_alu instid0(VALU_DEP_2) | instskip(NEXT) | instid1(VALU_DEP_2)
	v_cvt_u32_f32_e32 v2, v2
	v_mul_lo_u32 v8, s0, v7
	s_delay_alu instid0(VALU_DEP_2) | instskip(SKIP_1) | instid1(VALU_DEP_2)
	v_mul_hi_u32 v11, s0, v2
	v_mul_lo_u32 v12, s61, v2
	v_add_nc_u32_e32 v8, v11, v8
	v_mul_lo_u32 v11, s0, v2
	s_delay_alu instid0(VALU_DEP_2) | instskip(NEXT) | instid1(VALU_DEP_2)
	v_add_nc_u32_e32 v8, v8, v12
	v_mul_hi_u32 v12, v2, v11
	s_delay_alu instid0(VALU_DEP_2)
	v_mul_lo_u32 v19, v2, v8
	v_mul_hi_u32 v20, v2, v8
	v_mul_hi_u32 v21, v7, v11
	v_mul_lo_u32 v11, v7, v11
	v_mul_hi_u32 v22, v7, v8
	v_mul_lo_u32 v8, v7, v8
	v_add_co_u32 v12, vcc_lo, v12, v19
	v_add_co_ci_u32_e32 v19, vcc_lo, 0, v20, vcc_lo
	s_delay_alu instid0(VALU_DEP_2) | instskip(NEXT) | instid1(VALU_DEP_2)
	v_add_co_u32 v11, vcc_lo, v12, v11
	v_add_co_ci_u32_e32 v11, vcc_lo, v19, v21, vcc_lo
	v_add_co_ci_u32_e32 v12, vcc_lo, 0, v22, vcc_lo
	s_delay_alu instid0(VALU_DEP_2) | instskip(NEXT) | instid1(VALU_DEP_2)
	v_add_co_u32 v8, vcc_lo, v11, v8
	v_add_co_ci_u32_e32 v11, vcc_lo, 0, v12, vcc_lo
	s_delay_alu instid0(VALU_DEP_2) | instskip(NEXT) | instid1(VALU_DEP_2)
	v_add_co_u32 v2, vcc_lo, v2, v8
	v_add_co_ci_u32_e32 v7, vcc_lo, v7, v11, vcc_lo
	s_delay_alu instid0(VALU_DEP_2) | instskip(SKIP_1) | instid1(VALU_DEP_3)
	v_mul_hi_u32 v8, s0, v2
	v_mul_lo_u32 v12, s61, v2
	v_mul_lo_u32 v11, s0, v7
	s_delay_alu instid0(VALU_DEP_1) | instskip(SKIP_1) | instid1(VALU_DEP_2)
	v_add_nc_u32_e32 v8, v8, v11
	v_mul_lo_u32 v11, s0, v2
	v_add_nc_u32_e32 v8, v8, v12
	s_delay_alu instid0(VALU_DEP_2) | instskip(NEXT) | instid1(VALU_DEP_2)
	v_mul_hi_u32 v12, v2, v11
	v_mul_lo_u32 v19, v2, v8
	v_mul_hi_u32 v20, v2, v8
	v_mul_hi_u32 v21, v7, v11
	v_mul_lo_u32 v11, v7, v11
	v_mul_hi_u32 v22, v7, v8
	v_mul_lo_u32 v8, v7, v8
	v_add_co_u32 v12, vcc_lo, v12, v19
	v_add_co_ci_u32_e32 v19, vcc_lo, 0, v20, vcc_lo
	s_delay_alu instid0(VALU_DEP_2) | instskip(NEXT) | instid1(VALU_DEP_2)
	v_add_co_u32 v11, vcc_lo, v12, v11
	v_add_co_ci_u32_e32 v11, vcc_lo, v19, v21, vcc_lo
	v_add_co_ci_u32_e32 v12, vcc_lo, 0, v22, vcc_lo
	v_add_co_u32 v19, vcc_lo, v3, v15
	v_add_co_ci_u32_e32 v20, vcc_lo, v4, v15, vcc_lo
	s_delay_alu instid0(VALU_DEP_4) | instskip(NEXT) | instid1(VALU_DEP_4)
	v_add_co_u32 v8, vcc_lo, v11, v8
	v_add_co_ci_u32_e32 v11, vcc_lo, 0, v12, vcc_lo
	s_delay_alu instid0(VALU_DEP_4) | instskip(NEXT) | instid1(VALU_DEP_3)
	v_xor_b32_e32 v21, v19, v15
	v_add_co_u32 v2, vcc_lo, v2, v8
	s_delay_alu instid0(VALU_DEP_3) | instskip(SKIP_1) | instid1(VALU_DEP_3)
	v_add_co_ci_u32_e32 v22, vcc_lo, v7, v11, vcc_lo
	v_xor_b32_e32 v23, v20, v15
	v_mul_hi_u32 v24, v21, v2
	v_xor_b32_e32 v15, s60, v15
	s_delay_alu instid0(VALU_DEP_4) | instskip(NEXT) | instid1(VALU_DEP_4)
	v_mad_u64_u32 v[7:8], null, v21, v22, 0
	v_mad_u64_u32 v[11:12], null, v23, v2, 0
	;; [unrolled: 1-line block ×3, first 2 shown]
	s_delay_alu instid0(VALU_DEP_3) | instskip(NEXT) | instid1(VALU_DEP_4)
	v_add_co_u32 v2, vcc_lo, v24, v7
	v_add_co_ci_u32_e32 v7, vcc_lo, 0, v8, vcc_lo
	s_delay_alu instid0(VALU_DEP_2) | instskip(NEXT) | instid1(VALU_DEP_2)
	v_add_co_u32 v2, vcc_lo, v2, v11
	v_add_co_ci_u32_e32 v2, vcc_lo, v7, v12, vcc_lo
	v_add_co_ci_u32_e32 v7, vcc_lo, 0, v20, vcc_lo
	s_delay_alu instid0(VALU_DEP_2) | instskip(NEXT) | instid1(VALU_DEP_2)
	v_add_co_u32 v2, vcc_lo, v2, v19
	v_add_co_ci_u32_e32 v11, vcc_lo, 0, v7, vcc_lo
	s_delay_alu instid0(VALU_DEP_2) | instskip(SKIP_1) | instid1(VALU_DEP_3)
	v_mul_lo_u32 v12, s63, v2
	v_mad_u64_u32 v[7:8], null, s62, v2, 0
	v_mul_lo_u32 v19, s62, v11
	s_delay_alu instid0(VALU_DEP_2) | instskip(NEXT) | instid1(VALU_DEP_2)
	v_sub_co_u32 v7, vcc_lo, v21, v7
	v_add3_u32 v8, v8, v19, v12
	s_delay_alu instid0(VALU_DEP_1) | instskip(NEXT) | instid1(VALU_DEP_1)
	v_sub_nc_u32_e32 v12, v23, v8
	v_subrev_co_ci_u32_e64 v12, s0, s63, v12, vcc_lo
	v_add_co_u32 v19, s0, v2, 2
	s_delay_alu instid0(VALU_DEP_1) | instskip(SKIP_3) | instid1(VALU_DEP_3)
	v_add_co_ci_u32_e64 v20, s0, 0, v11, s0
	v_sub_co_u32 v21, s0, v7, s62
	v_sub_co_ci_u32_e32 v8, vcc_lo, v23, v8, vcc_lo
	v_subrev_co_ci_u32_e64 v12, s0, 0, v12, s0
	v_cmp_le_u32_e32 vcc_lo, s62, v21
	s_delay_alu instid0(VALU_DEP_3) | instskip(SKIP_1) | instid1(VALU_DEP_4)
	v_cmp_eq_u32_e64 s0, s63, v8
	v_cndmask_b32_e64 v21, 0, -1, vcc_lo
	v_cmp_le_u32_e32 vcc_lo, s63, v12
	v_cndmask_b32_e64 v22, 0, -1, vcc_lo
	v_cmp_le_u32_e32 vcc_lo, s62, v7
	;; [unrolled: 2-line block ×3, first 2 shown]
	v_cndmask_b32_e64 v23, 0, -1, vcc_lo
	v_cmp_eq_u32_e32 vcc_lo, s63, v12
	s_delay_alu instid0(VALU_DEP_2) | instskip(SKIP_3) | instid1(VALU_DEP_3)
	v_cndmask_b32_e64 v7, v23, v7, s0
	v_cndmask_b32_e32 v12, v22, v21, vcc_lo
	v_add_co_u32 v21, vcc_lo, v2, 1
	v_add_co_ci_u32_e32 v22, vcc_lo, 0, v11, vcc_lo
	v_cmp_ne_u32_e32 vcc_lo, 0, v12
	s_delay_alu instid0(VALU_DEP_2) | instskip(NEXT) | instid1(VALU_DEP_4)
	v_cndmask_b32_e32 v8, v22, v20, vcc_lo
	v_cndmask_b32_e32 v12, v21, v19, vcc_lo
	v_cmp_ne_u32_e32 vcc_lo, 0, v7
	s_delay_alu instid0(VALU_DEP_2) | instskip(NEXT) | instid1(VALU_DEP_4)
	v_cndmask_b32_e32 v2, v2, v12, vcc_lo
	v_cndmask_b32_e32 v7, v11, v8, vcc_lo
	s_delay_alu instid0(VALU_DEP_2) | instskip(NEXT) | instid1(VALU_DEP_2)
	v_xor_b32_e32 v2, v2, v15
	v_xor_b32_e32 v8, v7, v15
	s_delay_alu instid0(VALU_DEP_2) | instskip(NEXT) | instid1(VALU_DEP_2)
	v_sub_co_u32 v7, vcc_lo, v2, v15
	v_sub_co_ci_u32_e32 v8, vcc_lo, v8, v15, vcc_lo
.LBB39_37:                              ;   in Loop: Header=BB39_3 Depth=1
	s_and_not1_saveexec_b32 s0, s72
	s_cbranch_execz .LBB39_39
; %bb.38:                               ;   in Loop: Header=BB39_3 Depth=1
	v_cvt_f32_u32_e32 v2, s50
	s_sub_i32 s60, 0, s50
	s_delay_alu instid0(VALU_DEP_1) | instskip(SKIP_2) | instid1(VALU_DEP_1)
	v_rcp_iflag_f32_e32 v2, v2
	s_waitcnt_depctr 0xfff
	v_mul_f32_e32 v2, 0x4f7ffffe, v2
	v_cvt_u32_f32_e32 v2, v2
	s_delay_alu instid0(VALU_DEP_1) | instskip(NEXT) | instid1(VALU_DEP_1)
	v_mul_lo_u32 v7, s60, v2
	v_mul_hi_u32 v7, v2, v7
	s_delay_alu instid0(VALU_DEP_1) | instskip(NEXT) | instid1(VALU_DEP_1)
	v_add_nc_u32_e32 v2, v2, v7
	v_mul_hi_u32 v2, v3, v2
	s_delay_alu instid0(VALU_DEP_1) | instskip(SKIP_1) | instid1(VALU_DEP_2)
	v_mul_lo_u32 v7, v2, s50
	v_add_nc_u32_e32 v8, 1, v2
	v_sub_nc_u32_e32 v7, v3, v7
	s_delay_alu instid0(VALU_DEP_1) | instskip(SKIP_1) | instid1(VALU_DEP_2)
	v_subrev_nc_u32_e32 v11, s50, v7
	v_cmp_le_u32_e32 vcc_lo, s50, v7
	v_dual_cndmask_b32 v7, v7, v11 :: v_dual_cndmask_b32 v2, v2, v8
	s_delay_alu instid0(VALU_DEP_1) | instskip(NEXT) | instid1(VALU_DEP_2)
	v_cmp_le_u32_e32 vcc_lo, s50, v7
	v_add_nc_u32_e32 v8, 1, v2
	s_delay_alu instid0(VALU_DEP_1)
	v_dual_cndmask_b32 v7, v2, v8 :: v_dual_mov_b32 v8, v1
.LBB39_39:                              ;   in Loop: Header=BB39_3 Depth=1
	s_or_b32 exec_lo, exec_lo, s0
	v_dual_mov_b32 v2, 0 :: v_dual_mov_b32 v11, 0
	v_dual_mov_b32 v19, 0 :: v_dual_mov_b32 v12, 0
	v_dual_mov_b32 v15, 0 :: v_dual_mov_b32 v20, 0
	s_and_not1_b32 vcc_lo, exec_lo, s1
	s_cbranch_vccnz .LBB39_41
; %bb.40:                               ;   in Loop: Header=BB39_3 Depth=1
	v_mad_u64_u32 v[11:12], null, s65, v5, v[3:4]
	v_mul_lo_u32 v2, s65, v6
	v_mul_lo_u32 v15, s66, v5
	v_sub_co_u32 v23, vcc_lo, 1, v5
	v_sub_co_ci_u32_e32 v21, vcc_lo, 0, v6, vcc_lo
	v_mad_u64_u32 v[19:20], null, v11, s38, 0
	s_delay_alu instid0(VALU_DEP_3) | instskip(SKIP_4) | instid1(VALU_DEP_4)
	v_mul_lo_u32 v24, s5, v23
	v_add3_u32 v2, v15, v12, v2
	v_mul_lo_u32 v12, v11, s39
	v_mul_lo_u32 v15, s4, v21
	v_mad_u64_u32 v[21:22], null, s4, v23, v[3:4]
	v_mul_lo_u32 v23, v2, s38
	v_mul_lo_u32 v32, v11, s43
	;; [unrolled: 1-line block ×3, first 2 shown]
	s_delay_alu instid0(VALU_DEP_4)
	v_add3_u32 v15, v24, v22, v15
	v_mul_lo_u32 v27, v21, s39
	v_add3_u32 v20, v20, v12, v23
	v_sub_co_u32 v12, vcc_lo, 2, v5
	v_sub_co_ci_u32_e32 v24, vcc_lo, 0, v6, vcc_lo
	v_mul_lo_u32 v26, v15, s38
	v_mad_u64_u32 v[22:23], null, v21, s38, 0
	s_delay_alu instid0(VALU_DEP_3)
	v_mul_lo_u32 v28, s4, v24
	v_mul_lo_u32 v29, s5, v12
	v_mad_u64_u32 v[24:25], null, s4, v12, v[3:4]
	v_lshlrev_b64 v[19:20], 2, v[19:20]
	v_mul_lo_u32 v15, v15, s42
	v_add3_u32 v23, v23, v27, v26
	s_delay_alu instid0(VALU_DEP_4) | instskip(NEXT) | instid1(VALU_DEP_2)
	v_add3_u32 v29, v29, v25, v28
	v_lshlrev_b64 v[22:23], 2, v[22:23]
	v_mul_lo_u32 v31, v24, s39
	v_mad_u64_u32 v[25:26], null, v24, s38, 0
	s_delay_alu instid0(VALU_DEP_4)
	v_mul_lo_u32 v30, v29, s38
	v_add_co_u32 v19, vcc_lo, s34, v19
	v_mad_u64_u32 v[27:28], null, v11, s42, 0
	v_add_co_ci_u32_e32 v20, vcc_lo, s35, v20, vcc_lo
	v_add_co_u32 v11, vcc_lo, s34, v22
	v_add_co_ci_u32_e32 v12, vcc_lo, s35, v23, vcc_lo
	v_add3_u32 v26, v26, v31, v30
	v_mul_lo_u32 v31, v21, s43
	v_mad_u64_u32 v[22:23], null, v21, s42, 0
	v_add3_u32 v28, v28, v32, v2
	v_mul_lo_u32 v2, v29, s42
	v_mul_lo_u32 v32, v24, s43
	v_mad_u64_u32 v[29:30], null, v24, s42, 0
	v_lshlrev_b64 v[25:26], 2, v[25:26]
	v_lshlrev_b64 v[27:28], 2, v[27:28]
	v_add3_u32 v23, v23, v31, v15
	s_delay_alu instid0(VALU_DEP_3) | instskip(SKIP_2) | instid1(VALU_DEP_4)
	v_add_co_u32 v24, vcc_lo, s34, v25
	v_add3_u32 v30, v30, v32, v2
	v_add_co_ci_u32_e32 v25, vcc_lo, s35, v26, vcc_lo
	v_lshlrev_b64 v[21:22], 2, v[22:23]
	v_add_co_u32 v26, vcc_lo, s40, v27
	v_add_co_ci_u32_e32 v27, vcc_lo, s41, v28, vcc_lo
	v_lshlrev_b64 v[28:29], 2, v[29:30]
	s_delay_alu instid0(VALU_DEP_4) | instskip(SKIP_1) | instid1(VALU_DEP_3)
	v_add_co_u32 v21, vcc_lo, s40, v21
	v_add_co_ci_u32_e32 v22, vcc_lo, s41, v22, vcc_lo
	v_add_co_u32 v28, vcc_lo, s40, v28
	s_delay_alu instid0(VALU_DEP_4)
	v_add_co_ci_u32_e32 v29, vcc_lo, s41, v29, vcc_lo
	s_clause 0x2
	global_load_b32 v20, v[19:20], off
	global_load_b32 v2, v[11:12], off
	;; [unrolled: 1-line block ×3, first 2 shown]
	s_clause 0x2
	global_load_b32 v19, v[26:27], off
	global_load_b32 v12, v[21:22], off
	;; [unrolled: 1-line block ×3, first 2 shown]
.LBB39_41:                              ;   in Loop: Header=BB39_3 Depth=1
	s_waitcnt vmcnt(3)
	v_dual_add_f32 v14, v16, v14 :: v_dual_add_f32 v11, v18, v11
	s_delay_alu instid0(VALU_DEP_1) | instskip(SKIP_1) | instid1(VALU_DEP_1)
	v_add_f32_e32 v14, v14, v20
	s_waitcnt vmcnt(2)
	v_add_f32_e32 v14, v19, v14
	s_delay_alu instid0(VALU_DEP_1) | instskip(SKIP_1) | instid1(VALU_DEP_2)
	v_mul_f32_e32 v16, 0xbfb8aa3b, v14
	v_cmp_nlt_f32_e32 vcc_lo, 0x42ce8ed0, v14
	v_fma_f32 v19, 0xbfb8aa3b, v14, -v16
	v_rndne_f32_e32 v20, v16
	s_delay_alu instid0(VALU_DEP_1) | instskip(NEXT) | instid1(VALU_DEP_1)
	v_dual_fmac_f32 v19, 0xb2a5705f, v14 :: v_dual_sub_f32 v16, v16, v20
	v_add_f32_e32 v16, v16, v19
	v_cvt_i32_f32_e32 v19, v20
	s_delay_alu instid0(VALU_DEP_2) | instskip(SKIP_2) | instid1(VALU_DEP_1)
	v_exp_f32_e32 v16, v16
	s_waitcnt_depctr 0xfff
	v_ldexp_f32 v16, v16, v19
	v_cndmask_b32_e32 v16, 0, v16, vcc_lo
	v_cmp_ngt_f32_e32 vcc_lo, 0xc2b17218, v14
	s_delay_alu instid0(VALU_DEP_2) | instskip(NEXT) | instid1(VALU_DEP_1)
	v_cndmask_b32_e32 v14, 0x7f800000, v16, vcc_lo
	v_add_f32_e32 v14, 1.0, v14
	s_delay_alu instid0(VALU_DEP_1) | instskip(SKIP_1) | instid1(VALU_DEP_2)
	v_div_scale_f32 v16, null, v14, v14, 1.0
	v_div_scale_f32 v21, vcc_lo, 1.0, v14, 1.0
	v_rcp_f32_e32 v19, v16
	s_waitcnt_depctr 0xfff
	v_fma_f32 v20, -v16, v19, 1.0
	s_delay_alu instid0(VALU_DEP_1) | instskip(NEXT) | instid1(VALU_DEP_1)
	v_fmac_f32_e32 v19, v20, v19
	v_mul_f32_e32 v20, v21, v19
	s_delay_alu instid0(VALU_DEP_1) | instskip(NEXT) | instid1(VALU_DEP_1)
	v_fma_f32 v22, -v16, v20, v21
	v_fmac_f32_e32 v20, v22, v19
	s_delay_alu instid0(VALU_DEP_1) | instskip(NEXT) | instid1(VALU_DEP_1)
	v_fma_f32 v16, -v16, v20, v21
	v_div_fmas_f32 v16, v16, v19, v20
	s_delay_alu instid0(VALU_DEP_1) | instskip(SKIP_2) | instid1(VALU_DEP_1)
	v_div_fixup_f32 v18, v16, v14, 1.0
	s_waitcnt vmcnt(0)
	v_add_f32_e32 v14, v10, v15
                                        ; implicit-def: $vgpr15
	v_fmac_f32_e32 v11, v14, v18
	s_delay_alu instid0(VALU_DEP_1) | instskip(NEXT) | instid1(VALU_DEP_1)
	v_cmp_ngt_f32_e64 s0, 0x3f200000, |v11|
	s_and_saveexec_b32 s60, s0
	s_delay_alu instid0(SALU_CYCLE_1)
	s_xor_b32 s0, exec_lo, s60
	s_cbranch_execz .LBB39_43
; %bb.42:                               ;   in Loop: Header=BB39_3 Depth=1
	v_add_f32_e64 v10, |v11|, |v11|
	s_delay_alu instid0(VALU_DEP_1) | instskip(SKIP_1) | instid1(VALU_DEP_2)
	v_mul_f32_e32 v15, 0x3fb8aa3b, v10
	v_cmp_ngt_f32_e32 vcc_lo, 0xc2ce8ed0, v10
	v_rndne_f32_e32 v16, v15
	v_fma_f32 v19, 0x3fb8aa3b, v10, -v15
	s_delay_alu instid0(VALU_DEP_2) | instskip(NEXT) | instid1(VALU_DEP_2)
	v_sub_f32_e32 v15, v15, v16
	v_fmac_f32_e32 v19, 0x32a5705f, v10
	v_cvt_i32_f32_e32 v16, v16
	s_delay_alu instid0(VALU_DEP_2) | instskip(NEXT) | instid1(VALU_DEP_1)
	v_add_f32_e32 v15, v15, v19
	v_exp_f32_e32 v15, v15
	s_waitcnt_depctr 0xfff
	v_ldexp_f32 v15, v15, v16
	s_delay_alu instid0(VALU_DEP_1) | instskip(SKIP_1) | instid1(VALU_DEP_2)
	v_cndmask_b32_e32 v15, 0, v15, vcc_lo
	v_cmp_nlt_f32_e32 vcc_lo, 0x42b17218, v10
	v_cndmask_b32_e32 v10, 0x7f800000, v15, vcc_lo
	s_delay_alu instid0(VALU_DEP_1) | instskip(NEXT) | instid1(VALU_DEP_1)
	v_add_f32_e32 v10, 1.0, v10
	v_rcp_f32_e32 v10, v10
	s_waitcnt_depctr 0xfff
	v_fma_f32 v15, v10, -2.0, 1.0
.LBB39_43:                              ;   in Loop: Header=BB39_3 Depth=1
	s_and_not1_saveexec_b32 s0, s0
; %bb.44:                               ;   in Loop: Header=BB39_3 Depth=1
	v_mul_f32_e32 v10, v11, v11
	s_delay_alu instid0(VALU_DEP_1) | instskip(NEXT) | instid1(VALU_DEP_1)
	v_fmaak_f32 v15, s71, v10, 0x3ca908c9
	v_fmaak_f32 v15, v10, v15, 0xbd5c1c4e
	s_delay_alu instid0(VALU_DEP_1) | instskip(NEXT) | instid1(VALU_DEP_1)
	v_fmaak_f32 v15, v10, v15, 0x3e088382
	v_fmaak_f32 v15, v10, v15, 0xbeaaaa99
	s_delay_alu instid0(VALU_DEP_1) | instskip(NEXT) | instid1(VALU_DEP_1)
	v_mul_f32_e64 v15, |v11|, v15
	v_fma_f32 v15, v10, v15, |v11|
; %bb.45:                               ;   in Loop: Header=BB39_3 Depth=1
	s_or_b32 exec_lo, exec_lo, s0
	v_add_f32_e32 v9, v17, v9
	v_mad_u64_u32 v[19:20], null, s69, v7, v[3:4]
	v_mul_lo_u32 v26, s70, v7
	v_mul_lo_u32 v28, v7, s21
	s_delay_alu instid0(VALU_DEP_4) | instskip(SKIP_3) | instid1(VALU_DEP_4)
	v_add_f32_e32 v2, v9, v2
	v_mad_u64_u32 v[21:22], null, v7, s20, 0
	v_bfi_b32 v16, 0x7fffffff, v15, v11
	v_mul_lo_u32 v15, v19, s23
	v_add_f32_e32 v2, v2, v12
	v_mul_lo_u32 v24, s59, v5
	v_mul_lo_u32 v25, s58, v6
	s_delay_alu instid0(VALU_DEP_3) | instskip(SKIP_1) | instid1(VALU_DEP_2)
	v_mul_f32_e32 v9, 0xbfb8aa3b, v2
	v_cmp_nlt_f32_e32 vcc_lo, 0x42ce8ed0, v2
	v_fma_f32 v10, 0xbfb8aa3b, v2, -v9
	v_rndne_f32_e32 v12, v9
	s_delay_alu instid0(VALU_DEP_1) | instskip(NEXT) | instid1(VALU_DEP_1)
	v_dual_fmac_f32 v10, 0xb2a5705f, v2 :: v_dual_sub_f32 v9, v9, v12
	v_add_f32_e32 v9, v9, v10
	v_cvt_i32_f32_e32 v10, v12
	v_mul_lo_u32 v12, s69, v8
	v_mul_lo_u32 v8, v8, s20
	s_delay_alu instid0(VALU_DEP_4) | instskip(NEXT) | instid1(VALU_DEP_2)
	v_exp_f32_e32 v9, v9
	v_add3_u32 v7, v26, v20, v12
	v_mad_u64_u32 v[11:12], null, v19, s22, 0
	s_delay_alu instid0(VALU_DEP_3) | instskip(SKIP_3) | instid1(VALU_DEP_2)
	v_add3_u32 v22, v22, v28, v8
	s_waitcnt_depctr 0xfff
	v_ldexp_f32 v9, v9, v10
	v_mul_lo_u32 v19, v7, s22
	v_cndmask_b32_e32 v9, 0, v9, vcc_lo
	v_cmp_ngt_f32_e32 vcc_lo, 0xc2b17218, v2
	s_delay_alu instid0(VALU_DEP_3) | instskip(NEXT) | instid1(VALU_DEP_3)
	v_add3_u32 v12, v12, v15, v19
	v_dual_sub_f32 v15, v13, v16 :: v_dual_cndmask_b32 v2, 0x7f800000, v9
	s_delay_alu instid0(VALU_DEP_2) | instskip(NEXT) | instid1(VALU_DEP_2)
	v_lshlrev_b64 v[11:12], 2, v[11:12]
	v_add_f32_e32 v17, 1.0, v2
	s_delay_alu instid0(VALU_DEP_1) | instskip(SKIP_1) | instid1(VALU_DEP_2)
	v_div_scale_f32 v2, null, v17, v17, 1.0
	v_div_scale_f32 v27, vcc_lo, 1.0, v17, 1.0
	v_rcp_f32_e32 v23, v2
	s_waitcnt_depctr 0xfff
	v_fma_f32 v9, -v2, v23, 1.0
	s_delay_alu instid0(VALU_DEP_1) | instskip(SKIP_1) | instid1(VALU_DEP_2)
	v_fmac_f32_e32 v23, v9, v23
	v_mad_u64_u32 v[9:10], null, s58, v5, 0
	v_mul_f32_e32 v29, v27, v23
	s_delay_alu instid0(VALU_DEP_2) | instskip(NEXT) | instid1(VALU_DEP_2)
	v_add3_u32 v10, v10, v25, v24
	v_fma_f32 v20, -v2, v29, v27
	s_delay_alu instid0(VALU_DEP_4) | instskip(NEXT) | instid1(VALU_DEP_1)
	v_add_co_u32 v7, s0, v3, v9
	v_add_co_ci_u32_e64 v8, s0, v4, v10, s0
	s_delay_alu instid0(VALU_DEP_3) | instskip(SKIP_2) | instid1(VALU_DEP_2)
	v_fmac_f32_e32 v29, v20, v23
	v_lshlrev_b64 v[19:20], 2, v[21:22]
	s_mov_b32 s0, exec_lo
	v_fma_f32 v21, -v2, v29, v27
	v_or_b32_e32 v2, s55, v8
	s_delay_alu instid0(VALU_DEP_2) | instskip(NEXT) | instid1(VALU_DEP_4)
	v_div_fmas_f32 v21, v21, v23, v29
	v_add_co_u32 v19, vcc_lo, s48, v19
	v_add_co_ci_u32_e32 v20, vcc_lo, s49, v20, vcc_lo
	s_delay_alu instid0(VALU_DEP_3) | instskip(NEXT) | instid1(VALU_DEP_3)
	v_div_fixup_f32 v17, v21, v17, 1.0
	v_add_co_u32 v11, vcc_lo, v19, v11
	s_delay_alu instid0(VALU_DEP_3) | instskip(NEXT) | instid1(VALU_DEP_3)
	v_add_co_ci_u32_e32 v12, vcc_lo, v20, v12, vcc_lo
	v_fma_f32 v15, v17, v15, v16
	global_store_b32 v[11:12], v15, off
                                        ; implicit-def: $vgpr11_vgpr12
	v_cmpx_ne_u64_e32 0, v[1:2]
	s_xor_b32 s72, exec_lo, s0
	s_cbranch_execz .LBB39_47
; %bb.46:                               ;   in Loop: Header=BB39_3 Depth=1
	s_ashr_i32 s60, s55, 31
	s_delay_alu instid0(SALU_CYCLE_1) | instskip(SKIP_2) | instid1(SALU_CYCLE_1)
	s_add_u32 s62, s54, s60
	s_mov_b32 s61, s60
	s_addc_u32 s63, s55, s60
	s_xor_b64 s[62:63], s[62:63], s[60:61]
	s_delay_alu instid0(SALU_CYCLE_1) | instskip(SKIP_3) | instid1(VALU_DEP_1)
	v_cvt_f32_u32_e32 v2, s62
	v_cvt_f32_u32_e32 v11, s63
	s_sub_u32 s0, 0, s62
	s_subb_u32 s61, 0, s63
	v_fmac_f32_e32 v2, 0x4f800000, v11
	s_delay_alu instid0(VALU_DEP_1) | instskip(SKIP_2) | instid1(VALU_DEP_1)
	v_rcp_f32_e32 v2, v2
	s_waitcnt_depctr 0xfff
	v_mul_f32_e32 v2, 0x5f7ffffc, v2
	v_mul_f32_e32 v11, 0x2f800000, v2
	s_delay_alu instid0(VALU_DEP_1) | instskip(NEXT) | instid1(VALU_DEP_1)
	v_trunc_f32_e32 v11, v11
	v_fmac_f32_e32 v2, 0xcf800000, v11
	v_cvt_u32_f32_e32 v11, v11
	s_delay_alu instid0(VALU_DEP_2) | instskip(NEXT) | instid1(VALU_DEP_2)
	v_cvt_u32_f32_e32 v2, v2
	v_mul_lo_u32 v12, s0, v11
	s_delay_alu instid0(VALU_DEP_2) | instskip(SKIP_1) | instid1(VALU_DEP_2)
	v_mul_hi_u32 v15, s0, v2
	v_mul_lo_u32 v19, s61, v2
	v_add_nc_u32_e32 v12, v15, v12
	v_mul_lo_u32 v15, s0, v2
	s_delay_alu instid0(VALU_DEP_2) | instskip(NEXT) | instid1(VALU_DEP_2)
	v_add_nc_u32_e32 v12, v12, v19
	v_mul_hi_u32 v19, v2, v15
	s_delay_alu instid0(VALU_DEP_2)
	v_mul_lo_u32 v20, v2, v12
	v_mul_hi_u32 v21, v2, v12
	v_mul_hi_u32 v22, v11, v15
	v_mul_lo_u32 v15, v11, v15
	v_mul_hi_u32 v23, v11, v12
	v_mul_lo_u32 v12, v11, v12
	v_add_co_u32 v19, vcc_lo, v19, v20
	v_add_co_ci_u32_e32 v20, vcc_lo, 0, v21, vcc_lo
	s_delay_alu instid0(VALU_DEP_2) | instskip(NEXT) | instid1(VALU_DEP_2)
	v_add_co_u32 v15, vcc_lo, v19, v15
	v_add_co_ci_u32_e32 v15, vcc_lo, v20, v22, vcc_lo
	v_add_co_ci_u32_e32 v19, vcc_lo, 0, v23, vcc_lo
	v_ashrrev_i32_e32 v22, 31, v8
	s_delay_alu instid0(VALU_DEP_3) | instskip(NEXT) | instid1(VALU_DEP_3)
	v_add_co_u32 v12, vcc_lo, v15, v12
	v_add_co_ci_u32_e32 v15, vcc_lo, 0, v19, vcc_lo
	s_delay_alu instid0(VALU_DEP_2) | instskip(NEXT) | instid1(VALU_DEP_2)
	v_add_co_u32 v2, vcc_lo, v2, v12
	v_add_co_ci_u32_e32 v11, vcc_lo, v11, v15, vcc_lo
	s_delay_alu instid0(VALU_DEP_2) | instskip(SKIP_1) | instid1(VALU_DEP_3)
	v_mul_hi_u32 v12, s0, v2
	v_mul_lo_u32 v19, s61, v2
	v_mul_lo_u32 v15, s0, v11
	s_delay_alu instid0(VALU_DEP_1) | instskip(SKIP_1) | instid1(VALU_DEP_2)
	v_add_nc_u32_e32 v12, v12, v15
	v_mul_lo_u32 v15, s0, v2
	v_add_nc_u32_e32 v12, v12, v19
	s_delay_alu instid0(VALU_DEP_2) | instskip(NEXT) | instid1(VALU_DEP_2)
	v_mul_hi_u32 v19, v2, v15
	v_mul_lo_u32 v20, v2, v12
	v_mul_hi_u32 v21, v2, v12
	v_mul_hi_u32 v23, v11, v15
	v_mul_lo_u32 v15, v11, v15
	v_mul_hi_u32 v24, v11, v12
	v_mul_lo_u32 v12, v11, v12
	v_add_co_u32 v19, vcc_lo, v19, v20
	v_add_co_ci_u32_e32 v20, vcc_lo, 0, v21, vcc_lo
	s_delay_alu instid0(VALU_DEP_2) | instskip(NEXT) | instid1(VALU_DEP_2)
	v_add_co_u32 v15, vcc_lo, v19, v15
	v_add_co_ci_u32_e32 v15, vcc_lo, v20, v23, vcc_lo
	v_add_co_ci_u32_e32 v19, vcc_lo, 0, v24, vcc_lo
	v_add_co_u32 v7, vcc_lo, v7, v22
	v_add_co_ci_u32_e32 v8, vcc_lo, v8, v22, vcc_lo
	s_delay_alu instid0(VALU_DEP_4) | instskip(NEXT) | instid1(VALU_DEP_4)
	v_add_co_u32 v12, vcc_lo, v15, v12
	v_add_co_ci_u32_e32 v15, vcc_lo, 0, v19, vcc_lo
	s_delay_alu instid0(VALU_DEP_4) | instskip(NEXT) | instid1(VALU_DEP_3)
	v_xor_b32_e32 v21, v7, v22
	v_add_co_u32 v2, vcc_lo, v2, v12
	s_delay_alu instid0(VALU_DEP_3) | instskip(SKIP_1) | instid1(VALU_DEP_3)
	v_add_co_ci_u32_e32 v15, vcc_lo, v11, v15, vcc_lo
	v_xor_b32_e32 v23, v8, v22
	v_mul_hi_u32 v24, v21, v2
	s_delay_alu instid0(VALU_DEP_3) | instskip(NEXT) | instid1(VALU_DEP_3)
	v_mad_u64_u32 v[7:8], null, v21, v15, 0
	v_mad_u64_u32 v[11:12], null, v23, v2, 0
	;; [unrolled: 1-line block ×3, first 2 shown]
	s_delay_alu instid0(VALU_DEP_3) | instskip(NEXT) | instid1(VALU_DEP_4)
	v_add_co_u32 v2, vcc_lo, v24, v7
	v_add_co_ci_u32_e32 v7, vcc_lo, 0, v8, vcc_lo
	s_delay_alu instid0(VALU_DEP_2) | instskip(NEXT) | instid1(VALU_DEP_2)
	v_add_co_u32 v2, vcc_lo, v2, v11
	v_add_co_ci_u32_e32 v2, vcc_lo, v7, v12, vcc_lo
	v_add_co_ci_u32_e32 v7, vcc_lo, 0, v20, vcc_lo
	s_delay_alu instid0(VALU_DEP_2) | instskip(NEXT) | instid1(VALU_DEP_2)
	v_add_co_u32 v2, vcc_lo, v2, v19
	v_add_co_ci_u32_e32 v11, vcc_lo, 0, v7, vcc_lo
	s_delay_alu instid0(VALU_DEP_2) | instskip(SKIP_1) | instid1(VALU_DEP_3)
	v_mul_lo_u32 v12, s63, v2
	v_mad_u64_u32 v[7:8], null, s62, v2, 0
	v_mul_lo_u32 v15, s62, v11
	s_delay_alu instid0(VALU_DEP_2) | instskip(NEXT) | instid1(VALU_DEP_2)
	v_sub_co_u32 v7, vcc_lo, v21, v7
	v_add3_u32 v8, v8, v15, v12
	s_delay_alu instid0(VALU_DEP_1) | instskip(NEXT) | instid1(VALU_DEP_1)
	v_sub_nc_u32_e32 v12, v23, v8
	v_subrev_co_ci_u32_e64 v12, s0, s63, v12, vcc_lo
	v_add_co_u32 v15, s0, v2, 2
	s_delay_alu instid0(VALU_DEP_1) | instskip(SKIP_3) | instid1(VALU_DEP_3)
	v_add_co_ci_u32_e64 v19, s0, 0, v11, s0
	v_sub_co_u32 v20, s0, v7, s62
	v_sub_co_ci_u32_e32 v8, vcc_lo, v23, v8, vcc_lo
	v_subrev_co_ci_u32_e64 v12, s0, 0, v12, s0
	v_cmp_le_u32_e32 vcc_lo, s62, v20
	s_delay_alu instid0(VALU_DEP_3) | instskip(SKIP_1) | instid1(VALU_DEP_4)
	v_cmp_eq_u32_e64 s0, s63, v8
	v_cndmask_b32_e64 v20, 0, -1, vcc_lo
	v_cmp_le_u32_e32 vcc_lo, s63, v12
	v_cndmask_b32_e64 v21, 0, -1, vcc_lo
	v_cmp_le_u32_e32 vcc_lo, s62, v7
	;; [unrolled: 2-line block ×3, first 2 shown]
	v_cndmask_b32_e64 v23, 0, -1, vcc_lo
	v_cmp_eq_u32_e32 vcc_lo, s63, v12
	s_delay_alu instid0(VALU_DEP_2) | instskip(SKIP_3) | instid1(VALU_DEP_3)
	v_cndmask_b32_e64 v7, v23, v7, s0
	v_cndmask_b32_e32 v12, v21, v20, vcc_lo
	v_add_co_u32 v20, vcc_lo, v2, 1
	v_add_co_ci_u32_e32 v21, vcc_lo, 0, v11, vcc_lo
	v_cmp_ne_u32_e32 vcc_lo, 0, v12
	s_delay_alu instid0(VALU_DEP_2) | instskip(NEXT) | instid1(VALU_DEP_4)
	v_cndmask_b32_e32 v8, v21, v19, vcc_lo
	v_cndmask_b32_e32 v12, v20, v15, vcc_lo
	v_cmp_ne_u32_e32 vcc_lo, 0, v7
	v_xor_b32_e32 v7, s60, v22
	s_delay_alu instid0(VALU_DEP_3) | instskip(SKIP_1) | instid1(VALU_DEP_2)
	v_cndmask_b32_e32 v2, v2, v12, vcc_lo
	v_cndmask_b32_e32 v8, v11, v8, vcc_lo
	v_xor_b32_e32 v2, v2, v7
	s_delay_alu instid0(VALU_DEP_2) | instskip(NEXT) | instid1(VALU_DEP_2)
	v_xor_b32_e32 v8, v8, v7
	v_sub_co_u32 v11, vcc_lo, v2, v7
	s_delay_alu instid0(VALU_DEP_2)
	v_sub_co_ci_u32_e32 v12, vcc_lo, v8, v7, vcc_lo
                                        ; implicit-def: $vgpr7
.LBB39_47:                              ;   in Loop: Header=BB39_3 Depth=1
	s_or_saveexec_b32 s0, s72
	v_cvt_f32_u32_e32 v15, s54
	s_xor_b32 exec_lo, exec_lo, s0
	s_cbranch_execz .LBB39_49
; %bb.48:                               ;   in Loop: Header=BB39_3 Depth=1
	s_delay_alu instid0(VALU_DEP_1) | instskip(SKIP_4) | instid1(VALU_DEP_1)
	v_rcp_iflag_f32_e32 v2, v15
	s_sub_i32 s60, 0, s54
	v_mov_b32_e32 v12, v1
	s_waitcnt_depctr 0xfff
	v_mul_f32_e32 v2, 0x4f7ffffe, v2
	v_cvt_u32_f32_e32 v2, v2
	s_delay_alu instid0(VALU_DEP_1) | instskip(NEXT) | instid1(VALU_DEP_1)
	v_mul_lo_u32 v8, s60, v2
	v_mul_hi_u32 v8, v2, v8
	s_delay_alu instid0(VALU_DEP_1) | instskip(NEXT) | instid1(VALU_DEP_1)
	v_add_nc_u32_e32 v2, v2, v8
	v_mul_hi_u32 v2, v7, v2
	s_delay_alu instid0(VALU_DEP_1) | instskip(NEXT) | instid1(VALU_DEP_1)
	v_mul_lo_u32 v8, v2, s54
	v_sub_nc_u32_e32 v7, v7, v8
	v_add_nc_u32_e32 v8, 1, v2
	s_delay_alu instid0(VALU_DEP_2) | instskip(SKIP_1) | instid1(VALU_DEP_2)
	v_subrev_nc_u32_e32 v11, s54, v7
	v_cmp_le_u32_e32 vcc_lo, s54, v7
	v_dual_cndmask_b32 v7, v7, v11 :: v_dual_cndmask_b32 v2, v2, v8
	s_delay_alu instid0(VALU_DEP_1) | instskip(NEXT) | instid1(VALU_DEP_2)
	v_cmp_le_u32_e32 vcc_lo, s54, v7
	v_add_nc_u32_e32 v8, 1, v2
	s_delay_alu instid0(VALU_DEP_1)
	v_cndmask_b32_e32 v11, v2, v8, vcc_lo
.LBB39_49:                              ;   in Loop: Header=BB39_3 Depth=1
	s_or_b32 exec_lo, exec_lo, s0
	v_mul_lo_u32 v2, v12, s54
	s_delay_alu instid0(VALU_DEP_2) | instskip(SKIP_4) | instid1(VALU_DEP_3)
	v_mul_lo_u32 v7, v11, s55
	v_mad_u64_u32 v[19:20], null, v11, s54, 0
	v_mul_lo_u32 v12, v12, s24
	v_mul_lo_u32 v21, v11, s25
	s_mov_b32 s0, exec_lo
	v_add3_u32 v2, v20, v7, v2
	s_delay_alu instid0(VALU_DEP_4) | instskip(SKIP_2) | instid1(VALU_DEP_4)
	v_sub_co_u32 v9, vcc_lo, v9, v19
	v_lshlrev_b64 v[7:8], 2, v[5:6]
	v_alignbit_b32 v5, v6, v5, 30
	v_sub_co_ci_u32_e32 v2, vcc_lo, v10, v2, vcc_lo
	s_delay_alu instid0(VALU_DEP_4) | instskip(SKIP_1) | instid1(VALU_DEP_3)
	v_add_co_u32 v22, vcc_lo, v3, v9
	v_mad_u64_u32 v[9:10], null, v11, s24, 0
	v_add_co_ci_u32_e32 v2, vcc_lo, v4, v2, vcc_lo
	v_mul_lo_u32 v11, s4, v5
	v_mul_lo_u32 v23, s5, v7
	;; [unrolled: 1-line block ×3, first 2 shown]
	s_delay_alu instid0(VALU_DEP_4) | instskip(SKIP_3) | instid1(VALU_DEP_3)
	v_mul_lo_u32 v2, v2, s26
	v_mad_u64_u32 v[5:6], null, s4, v7, s[4:5]
	v_mad_u64_u32 v[19:20], null, v22, s26, 0
	v_add3_u32 v10, v10, v21, v12
	v_add3_u32 v6, v23, v6, v11
	s_delay_alu instid0(VALU_DEP_2) | instskip(NEXT) | instid1(VALU_DEP_4)
	v_lshlrev_b64 v[9:10], 2, v[9:10]
	v_add3_u32 v20, v20, v24, v2
	v_add_co_u32 v11, vcc_lo, v3, v5
	s_delay_alu instid0(VALU_DEP_4) | instskip(NEXT) | instid1(VALU_DEP_3)
	v_add_co_ci_u32_e32 v12, vcc_lo, v4, v6, vcc_lo
	v_lshlrev_b64 v[19:20], 2, v[19:20]
	v_add_co_u32 v9, vcc_lo, s52, v9
	v_add_co_ci_u32_e32 v10, vcc_lo, s53, v10, vcc_lo
	s_delay_alu instid0(VALU_DEP_4) | instskip(NEXT) | instid1(VALU_DEP_3)
	v_or_b32_e32 v2, s55, v12
	v_add_co_u32 v9, vcc_lo, v9, v19
	s_delay_alu instid0(VALU_DEP_3)
	v_add_co_ci_u32_e32 v10, vcc_lo, v10, v20, vcc_lo
	global_store_b32 v[9:10], v18, off
                                        ; implicit-def: $vgpr9_vgpr10
	v_cmpx_ne_u64_e32 0, v[1:2]
	s_xor_b32 s72, exec_lo, s0
	s_cbranch_execz .LBB39_51
; %bb.50:                               ;   in Loop: Header=BB39_3 Depth=1
	s_ashr_i32 s60, s55, 31
	s_delay_alu instid0(SALU_CYCLE_1) | instskip(SKIP_2) | instid1(SALU_CYCLE_1)
	s_add_u32 s62, s54, s60
	s_mov_b32 s61, s60
	s_addc_u32 s63, s55, s60
	s_xor_b64 s[62:63], s[62:63], s[60:61]
	s_delay_alu instid0(SALU_CYCLE_1) | instskip(SKIP_3) | instid1(VALU_DEP_1)
	v_cvt_f32_u32_e32 v2, s62
	v_cvt_f32_u32_e32 v9, s63
	s_sub_u32 s0, 0, s62
	s_subb_u32 s61, 0, s63
	v_fmac_f32_e32 v2, 0x4f800000, v9
	s_delay_alu instid0(VALU_DEP_1) | instskip(SKIP_2) | instid1(VALU_DEP_1)
	v_rcp_f32_e32 v2, v2
	s_waitcnt_depctr 0xfff
	v_mul_f32_e32 v2, 0x5f7ffffc, v2
	v_mul_f32_e32 v9, 0x2f800000, v2
	s_delay_alu instid0(VALU_DEP_1) | instskip(NEXT) | instid1(VALU_DEP_1)
	v_trunc_f32_e32 v9, v9
	v_fmac_f32_e32 v2, 0xcf800000, v9
	v_cvt_u32_f32_e32 v9, v9
	s_delay_alu instid0(VALU_DEP_2) | instskip(NEXT) | instid1(VALU_DEP_2)
	v_cvt_u32_f32_e32 v2, v2
	v_mul_lo_u32 v10, s0, v9
	s_delay_alu instid0(VALU_DEP_2) | instskip(SKIP_1) | instid1(VALU_DEP_2)
	v_mul_hi_u32 v18, s0, v2
	v_mul_lo_u32 v19, s61, v2
	v_add_nc_u32_e32 v10, v18, v10
	v_mul_lo_u32 v18, s0, v2
	s_delay_alu instid0(VALU_DEP_2) | instskip(NEXT) | instid1(VALU_DEP_2)
	v_add_nc_u32_e32 v10, v10, v19
	v_mul_hi_u32 v19, v2, v18
	s_delay_alu instid0(VALU_DEP_2)
	v_mul_lo_u32 v20, v2, v10
	v_mul_hi_u32 v21, v2, v10
	v_mul_hi_u32 v22, v9, v18
	v_mul_lo_u32 v18, v9, v18
	v_mul_hi_u32 v23, v9, v10
	v_mul_lo_u32 v10, v9, v10
	v_add_co_u32 v19, vcc_lo, v19, v20
	v_add_co_ci_u32_e32 v20, vcc_lo, 0, v21, vcc_lo
	s_delay_alu instid0(VALU_DEP_2) | instskip(NEXT) | instid1(VALU_DEP_2)
	v_add_co_u32 v18, vcc_lo, v19, v18
	v_add_co_ci_u32_e32 v18, vcc_lo, v20, v22, vcc_lo
	v_add_co_ci_u32_e32 v19, vcc_lo, 0, v23, vcc_lo
	v_ashrrev_i32_e32 v22, 31, v12
	s_delay_alu instid0(VALU_DEP_3) | instskip(NEXT) | instid1(VALU_DEP_3)
	v_add_co_u32 v10, vcc_lo, v18, v10
	v_add_co_ci_u32_e32 v18, vcc_lo, 0, v19, vcc_lo
	s_delay_alu instid0(VALU_DEP_2) | instskip(NEXT) | instid1(VALU_DEP_2)
	v_add_co_u32 v2, vcc_lo, v2, v10
	v_add_co_ci_u32_e32 v9, vcc_lo, v9, v18, vcc_lo
	s_delay_alu instid0(VALU_DEP_2) | instskip(SKIP_1) | instid1(VALU_DEP_3)
	v_mul_hi_u32 v10, s0, v2
	v_mul_lo_u32 v19, s61, v2
	v_mul_lo_u32 v18, s0, v9
	s_delay_alu instid0(VALU_DEP_1) | instskip(SKIP_1) | instid1(VALU_DEP_2)
	v_add_nc_u32_e32 v10, v10, v18
	v_mul_lo_u32 v18, s0, v2
	v_add_nc_u32_e32 v10, v10, v19
	s_delay_alu instid0(VALU_DEP_2) | instskip(NEXT) | instid1(VALU_DEP_2)
	v_mul_hi_u32 v19, v2, v18
	v_mul_lo_u32 v20, v2, v10
	v_mul_hi_u32 v21, v2, v10
	v_mul_hi_u32 v23, v9, v18
	v_mul_lo_u32 v18, v9, v18
	v_mul_hi_u32 v24, v9, v10
	v_mul_lo_u32 v10, v9, v10
	v_add_co_u32 v19, vcc_lo, v19, v20
	v_add_co_ci_u32_e32 v20, vcc_lo, 0, v21, vcc_lo
	s_delay_alu instid0(VALU_DEP_2) | instskip(NEXT) | instid1(VALU_DEP_2)
	v_add_co_u32 v18, vcc_lo, v19, v18
	v_add_co_ci_u32_e32 v18, vcc_lo, v20, v23, vcc_lo
	v_add_co_ci_u32_e32 v19, vcc_lo, 0, v24, vcc_lo
	v_add_co_u32 v11, vcc_lo, v11, v22
	v_add_co_ci_u32_e32 v12, vcc_lo, v12, v22, vcc_lo
	s_delay_alu instid0(VALU_DEP_4) | instskip(NEXT) | instid1(VALU_DEP_4)
	v_add_co_u32 v10, vcc_lo, v18, v10
	v_add_co_ci_u32_e32 v18, vcc_lo, 0, v19, vcc_lo
	s_delay_alu instid0(VALU_DEP_4) | instskip(NEXT) | instid1(VALU_DEP_3)
	v_xor_b32_e32 v20, v11, v22
	v_add_co_u32 v2, vcc_lo, v2, v10
	s_delay_alu instid0(VALU_DEP_3) | instskip(SKIP_1) | instid1(VALU_DEP_3)
	v_add_co_ci_u32_e32 v21, vcc_lo, v9, v18, vcc_lo
	v_xor_b32_e32 v23, v12, v22
	v_mul_hi_u32 v24, v20, v2
	s_delay_alu instid0(VALU_DEP_3) | instskip(NEXT) | instid1(VALU_DEP_3)
	v_mad_u64_u32 v[9:10], null, v20, v21, 0
	v_mad_u64_u32 v[11:12], null, v23, v2, 0
	;; [unrolled: 1-line block ×3, first 2 shown]
	s_delay_alu instid0(VALU_DEP_3) | instskip(NEXT) | instid1(VALU_DEP_4)
	v_add_co_u32 v2, vcc_lo, v24, v9
	v_add_co_ci_u32_e32 v9, vcc_lo, 0, v10, vcc_lo
	s_delay_alu instid0(VALU_DEP_2) | instskip(NEXT) | instid1(VALU_DEP_2)
	v_add_co_u32 v2, vcc_lo, v2, v11
	v_add_co_ci_u32_e32 v2, vcc_lo, v9, v12, vcc_lo
	v_add_co_ci_u32_e32 v9, vcc_lo, 0, v19, vcc_lo
	s_delay_alu instid0(VALU_DEP_2) | instskip(NEXT) | instid1(VALU_DEP_2)
	v_add_co_u32 v2, vcc_lo, v2, v18
	v_add_co_ci_u32_e32 v11, vcc_lo, 0, v9, vcc_lo
	s_delay_alu instid0(VALU_DEP_2) | instskip(SKIP_1) | instid1(VALU_DEP_3)
	v_mul_lo_u32 v12, s63, v2
	v_mad_u64_u32 v[9:10], null, s62, v2, 0
	v_mul_lo_u32 v18, s62, v11
	s_delay_alu instid0(VALU_DEP_2) | instskip(NEXT) | instid1(VALU_DEP_2)
	v_sub_co_u32 v9, vcc_lo, v20, v9
	v_add3_u32 v10, v10, v18, v12
	s_delay_alu instid0(VALU_DEP_1) | instskip(NEXT) | instid1(VALU_DEP_1)
	v_sub_nc_u32_e32 v12, v23, v10
	v_subrev_co_ci_u32_e64 v12, s0, s63, v12, vcc_lo
	v_add_co_u32 v18, s0, v2, 2
	s_delay_alu instid0(VALU_DEP_1) | instskip(SKIP_3) | instid1(VALU_DEP_3)
	v_add_co_ci_u32_e64 v19, s0, 0, v11, s0
	v_sub_co_u32 v20, s0, v9, s62
	v_sub_co_ci_u32_e32 v10, vcc_lo, v23, v10, vcc_lo
	v_subrev_co_ci_u32_e64 v12, s0, 0, v12, s0
	v_cmp_le_u32_e32 vcc_lo, s62, v20
	s_delay_alu instid0(VALU_DEP_3) | instskip(SKIP_1) | instid1(VALU_DEP_4)
	v_cmp_eq_u32_e64 s0, s63, v10
	v_cndmask_b32_e64 v20, 0, -1, vcc_lo
	v_cmp_le_u32_e32 vcc_lo, s63, v12
	v_cndmask_b32_e64 v21, 0, -1, vcc_lo
	v_cmp_le_u32_e32 vcc_lo, s62, v9
	;; [unrolled: 2-line block ×3, first 2 shown]
	v_cndmask_b32_e64 v23, 0, -1, vcc_lo
	v_cmp_eq_u32_e32 vcc_lo, s63, v12
	s_delay_alu instid0(VALU_DEP_2) | instskip(SKIP_3) | instid1(VALU_DEP_3)
	v_cndmask_b32_e64 v9, v23, v9, s0
	v_cndmask_b32_e32 v12, v21, v20, vcc_lo
	v_add_co_u32 v20, vcc_lo, v2, 1
	v_add_co_ci_u32_e32 v21, vcc_lo, 0, v11, vcc_lo
	v_cmp_ne_u32_e32 vcc_lo, 0, v12
	s_delay_alu instid0(VALU_DEP_2) | instskip(NEXT) | instid1(VALU_DEP_4)
	v_cndmask_b32_e32 v10, v21, v19, vcc_lo
	v_cndmask_b32_e32 v12, v20, v18, vcc_lo
	v_cmp_ne_u32_e32 vcc_lo, 0, v9
	v_xor_b32_e32 v18, s60, v22
	s_delay_alu instid0(VALU_DEP_3) | instskip(NEXT) | instid1(VALU_DEP_1)
	v_dual_cndmask_b32 v2, v2, v12 :: v_dual_cndmask_b32 v9, v11, v10
                                        ; implicit-def: $vgpr11
	v_xor_b32_e32 v2, v2, v18
	s_delay_alu instid0(VALU_DEP_2) | instskip(NEXT) | instid1(VALU_DEP_2)
	v_xor_b32_e32 v10, v9, v18
	v_sub_co_u32 v9, vcc_lo, v2, v18
	s_delay_alu instid0(VALU_DEP_2)
	v_sub_co_ci_u32_e32 v10, vcc_lo, v10, v18, vcc_lo
.LBB39_51:                              ;   in Loop: Header=BB39_3 Depth=1
	s_and_not1_saveexec_b32 s0, s72
	s_cbranch_execz .LBB39_53
; %bb.52:                               ;   in Loop: Header=BB39_3 Depth=1
	v_rcp_iflag_f32_e32 v2, v15
	s_sub_i32 s60, 0, s54
	s_waitcnt_depctr 0xfff
	v_mul_f32_e32 v2, 0x4f7ffffe, v2
	s_delay_alu instid0(VALU_DEP_1) | instskip(NEXT) | instid1(VALU_DEP_1)
	v_cvt_u32_f32_e32 v2, v2
	v_mul_lo_u32 v9, s60, v2
	s_delay_alu instid0(VALU_DEP_1) | instskip(NEXT) | instid1(VALU_DEP_1)
	v_mul_hi_u32 v9, v2, v9
	v_add_nc_u32_e32 v2, v2, v9
	s_delay_alu instid0(VALU_DEP_1) | instskip(NEXT) | instid1(VALU_DEP_1)
	v_mul_hi_u32 v2, v11, v2
	v_mul_lo_u32 v9, v2, s54
	v_add_nc_u32_e32 v10, 1, v2
	s_delay_alu instid0(VALU_DEP_2) | instskip(NEXT) | instid1(VALU_DEP_1)
	v_sub_nc_u32_e32 v9, v11, v9
	v_subrev_nc_u32_e32 v11, s54, v9
	v_cmp_le_u32_e32 vcc_lo, s54, v9
	s_delay_alu instid0(VALU_DEP_2) | instskip(NEXT) | instid1(VALU_DEP_1)
	v_dual_cndmask_b32 v9, v9, v11 :: v_dual_cndmask_b32 v2, v2, v10
	v_cmp_le_u32_e32 vcc_lo, s54, v9
	s_delay_alu instid0(VALU_DEP_2) | instskip(NEXT) | instid1(VALU_DEP_1)
	v_add_nc_u32_e32 v10, 1, v2
	v_dual_cndmask_b32 v9, v2, v10 :: v_dual_mov_b32 v10, v1
.LBB39_53:                              ;   in Loop: Header=BB39_3 Depth=1
	s_or_b32 exec_lo, exec_lo, s0
	s_delay_alu instid0(VALU_DEP_1) | instskip(NEXT) | instid1(VALU_DEP_2)
	v_mul_lo_u32 v2, v10, s54
	v_mul_lo_u32 v18, v9, s55
	v_mad_u64_u32 v[11:12], null, v9, s54, 0
	v_mul_lo_u32 v20, v10, s24
	s_mov_b32 s0, exec_lo
	s_delay_alu instid0(VALU_DEP_2) | instskip(NEXT) | instid1(VALU_DEP_3)
	v_add3_u32 v2, v12, v18, v2
	v_sub_co_u32 v5, vcc_lo, v5, v11
	v_mul_lo_u32 v12, v9, s25
	v_mad_u64_u32 v[10:11], null, v9, s24, 0
	s_delay_alu instid0(VALU_DEP_4) | instskip(NEXT) | instid1(VALU_DEP_4)
	v_sub_co_ci_u32_e32 v2, vcc_lo, v6, v2, vcc_lo
	v_add_co_u32 v5, vcc_lo, v3, v5
	s_delay_alu instid0(VALU_DEP_2) | instskip(SKIP_2) | instid1(VALU_DEP_4)
	v_add_co_ci_u32_e32 v2, vcc_lo, v4, v2, vcc_lo
	v_add_co_u32 v9, vcc_lo, v7, 2
	v_add_co_ci_u32_e32 v6, vcc_lo, 0, v8, vcc_lo
	v_mul_lo_u32 v21, v5, s27
	s_delay_alu instid0(VALU_DEP_4)
	v_mul_lo_u32 v2, v2, s26
	v_mad_u64_u32 v[18:19], null, v5, s26, 0
	v_mul_lo_u32 v22, s5, v9
	v_mul_lo_u32 v23, s4, v6
	v_mad_u64_u32 v[5:6], null, s4, v9, 0
	v_add3_u32 v11, v11, v12, v20
	v_add3_u32 v19, v19, v21, v2
	s_delay_alu instid0(VALU_DEP_2) | instskip(NEXT) | instid1(VALU_DEP_4)
	v_lshlrev_b64 v[9:10], 2, v[10:11]
	v_add3_u32 v6, v6, v23, v22
	v_add_co_u32 v11, vcc_lo, v3, v5
	s_delay_alu instid0(VALU_DEP_4) | instskip(NEXT) | instid1(VALU_DEP_3)
	v_lshlrev_b64 v[18:19], 2, v[18:19]
	v_add_co_ci_u32_e32 v12, vcc_lo, v4, v6, vcc_lo
	v_add_co_u32 v9, vcc_lo, s52, v9
	v_add_co_ci_u32_e32 v10, vcc_lo, s53, v10, vcc_lo
	s_delay_alu instid0(VALU_DEP_3) | instskip(NEXT) | instid1(VALU_DEP_3)
	v_or_b32_e32 v2, s55, v12
	v_add_co_u32 v9, vcc_lo, v9, v18
	s_delay_alu instid0(VALU_DEP_3)
	v_add_co_ci_u32_e32 v10, vcc_lo, v10, v19, vcc_lo
	global_store_b32 v[9:10], v17, off
                                        ; implicit-def: $vgpr9_vgpr10
	v_cmpx_ne_u64_e32 0, v[1:2]
	s_xor_b32 s72, exec_lo, s0
	s_cbranch_execz .LBB39_55
; %bb.54:                               ;   in Loop: Header=BB39_3 Depth=1
	s_ashr_i32 s60, s55, 31
	s_delay_alu instid0(SALU_CYCLE_1) | instskip(SKIP_2) | instid1(SALU_CYCLE_1)
	s_add_u32 s62, s54, s60
	s_mov_b32 s61, s60
	s_addc_u32 s63, s55, s60
	s_xor_b64 s[62:63], s[62:63], s[60:61]
	s_delay_alu instid0(SALU_CYCLE_1) | instskip(SKIP_3) | instid1(VALU_DEP_1)
	v_cvt_f32_u32_e32 v2, s62
	v_cvt_f32_u32_e32 v9, s63
	s_sub_u32 s0, 0, s62
	s_subb_u32 s61, 0, s63
	v_fmac_f32_e32 v2, 0x4f800000, v9
	s_delay_alu instid0(VALU_DEP_1) | instskip(SKIP_2) | instid1(VALU_DEP_1)
	v_rcp_f32_e32 v2, v2
	s_waitcnt_depctr 0xfff
	v_mul_f32_e32 v2, 0x5f7ffffc, v2
	v_mul_f32_e32 v9, 0x2f800000, v2
	s_delay_alu instid0(VALU_DEP_1) | instskip(NEXT) | instid1(VALU_DEP_1)
	v_trunc_f32_e32 v9, v9
	v_fmac_f32_e32 v2, 0xcf800000, v9
	v_cvt_u32_f32_e32 v9, v9
	s_delay_alu instid0(VALU_DEP_2) | instskip(NEXT) | instid1(VALU_DEP_2)
	v_cvt_u32_f32_e32 v2, v2
	v_mul_lo_u32 v10, s0, v9
	s_delay_alu instid0(VALU_DEP_2) | instskip(SKIP_1) | instid1(VALU_DEP_2)
	v_mul_hi_u32 v17, s0, v2
	v_mul_lo_u32 v18, s61, v2
	v_add_nc_u32_e32 v10, v17, v10
	v_mul_lo_u32 v17, s0, v2
	s_delay_alu instid0(VALU_DEP_2) | instskip(NEXT) | instid1(VALU_DEP_2)
	v_add_nc_u32_e32 v10, v10, v18
	v_mul_hi_u32 v18, v2, v17
	s_delay_alu instid0(VALU_DEP_2)
	v_mul_lo_u32 v19, v2, v10
	v_mul_hi_u32 v20, v2, v10
	v_mul_hi_u32 v21, v9, v17
	v_mul_lo_u32 v17, v9, v17
	v_mul_hi_u32 v22, v9, v10
	v_mul_lo_u32 v10, v9, v10
	v_add_co_u32 v18, vcc_lo, v18, v19
	v_add_co_ci_u32_e32 v19, vcc_lo, 0, v20, vcc_lo
	s_delay_alu instid0(VALU_DEP_2) | instskip(NEXT) | instid1(VALU_DEP_2)
	v_add_co_u32 v17, vcc_lo, v18, v17
	v_add_co_ci_u32_e32 v17, vcc_lo, v19, v21, vcc_lo
	v_add_co_ci_u32_e32 v18, vcc_lo, 0, v22, vcc_lo
	v_ashrrev_i32_e32 v21, 31, v12
	s_delay_alu instid0(VALU_DEP_3) | instskip(NEXT) | instid1(VALU_DEP_3)
	v_add_co_u32 v10, vcc_lo, v17, v10
	v_add_co_ci_u32_e32 v17, vcc_lo, 0, v18, vcc_lo
	s_delay_alu instid0(VALU_DEP_2) | instskip(NEXT) | instid1(VALU_DEP_2)
	v_add_co_u32 v2, vcc_lo, v2, v10
	v_add_co_ci_u32_e32 v9, vcc_lo, v9, v17, vcc_lo
	s_delay_alu instid0(VALU_DEP_2) | instskip(SKIP_1) | instid1(VALU_DEP_3)
	v_mul_hi_u32 v10, s0, v2
	v_mul_lo_u32 v18, s61, v2
	v_mul_lo_u32 v17, s0, v9
	s_delay_alu instid0(VALU_DEP_1) | instskip(SKIP_1) | instid1(VALU_DEP_2)
	v_add_nc_u32_e32 v10, v10, v17
	v_mul_lo_u32 v17, s0, v2
	v_add_nc_u32_e32 v10, v10, v18
	s_delay_alu instid0(VALU_DEP_2) | instskip(NEXT) | instid1(VALU_DEP_2)
	v_mul_hi_u32 v18, v2, v17
	v_mul_lo_u32 v19, v2, v10
	v_mul_hi_u32 v20, v2, v10
	v_mul_hi_u32 v22, v9, v17
	v_mul_lo_u32 v17, v9, v17
	v_mul_hi_u32 v23, v9, v10
	v_mul_lo_u32 v10, v9, v10
	v_add_co_u32 v18, vcc_lo, v18, v19
	v_add_co_ci_u32_e32 v19, vcc_lo, 0, v20, vcc_lo
	s_delay_alu instid0(VALU_DEP_2) | instskip(NEXT) | instid1(VALU_DEP_2)
	v_add_co_u32 v17, vcc_lo, v18, v17
	v_add_co_ci_u32_e32 v17, vcc_lo, v19, v22, vcc_lo
	v_add_co_ci_u32_e32 v18, vcc_lo, 0, v23, vcc_lo
	v_add_co_u32 v11, vcc_lo, v11, v21
	v_add_co_ci_u32_e32 v12, vcc_lo, v12, v21, vcc_lo
	s_delay_alu instid0(VALU_DEP_4) | instskip(NEXT) | instid1(VALU_DEP_4)
	v_add_co_u32 v10, vcc_lo, v17, v10
	v_add_co_ci_u32_e32 v17, vcc_lo, 0, v18, vcc_lo
	s_delay_alu instid0(VALU_DEP_4) | instskip(NEXT) | instid1(VALU_DEP_3)
	v_xor_b32_e32 v19, v11, v21
	v_add_co_u32 v2, vcc_lo, v2, v10
	s_delay_alu instid0(VALU_DEP_3) | instskip(SKIP_1) | instid1(VALU_DEP_3)
	v_add_co_ci_u32_e32 v20, vcc_lo, v9, v17, vcc_lo
	v_xor_b32_e32 v22, v12, v21
	v_mul_hi_u32 v23, v19, v2
	s_delay_alu instid0(VALU_DEP_3) | instskip(NEXT) | instid1(VALU_DEP_3)
	v_mad_u64_u32 v[9:10], null, v19, v20, 0
	v_mad_u64_u32 v[11:12], null, v22, v2, 0
	;; [unrolled: 1-line block ×3, first 2 shown]
	s_delay_alu instid0(VALU_DEP_3) | instskip(NEXT) | instid1(VALU_DEP_4)
	v_add_co_u32 v2, vcc_lo, v23, v9
	v_add_co_ci_u32_e32 v9, vcc_lo, 0, v10, vcc_lo
	s_delay_alu instid0(VALU_DEP_2) | instskip(NEXT) | instid1(VALU_DEP_2)
	v_add_co_u32 v2, vcc_lo, v2, v11
	v_add_co_ci_u32_e32 v2, vcc_lo, v9, v12, vcc_lo
	v_add_co_ci_u32_e32 v9, vcc_lo, 0, v18, vcc_lo
	s_delay_alu instid0(VALU_DEP_2) | instskip(NEXT) | instid1(VALU_DEP_2)
	v_add_co_u32 v2, vcc_lo, v2, v17
	v_add_co_ci_u32_e32 v11, vcc_lo, 0, v9, vcc_lo
	s_delay_alu instid0(VALU_DEP_2) | instskip(SKIP_1) | instid1(VALU_DEP_3)
	v_mul_lo_u32 v12, s63, v2
	v_mad_u64_u32 v[9:10], null, s62, v2, 0
	v_mul_lo_u32 v17, s62, v11
	s_delay_alu instid0(VALU_DEP_2) | instskip(NEXT) | instid1(VALU_DEP_2)
	v_sub_co_u32 v9, vcc_lo, v19, v9
	v_add3_u32 v10, v10, v17, v12
	s_delay_alu instid0(VALU_DEP_1) | instskip(NEXT) | instid1(VALU_DEP_1)
	v_sub_nc_u32_e32 v12, v22, v10
	v_subrev_co_ci_u32_e64 v12, s0, s63, v12, vcc_lo
	v_add_co_u32 v17, s0, v2, 2
	s_delay_alu instid0(VALU_DEP_1) | instskip(SKIP_3) | instid1(VALU_DEP_3)
	v_add_co_ci_u32_e64 v18, s0, 0, v11, s0
	v_sub_co_u32 v19, s0, v9, s62
	v_sub_co_ci_u32_e32 v10, vcc_lo, v22, v10, vcc_lo
	v_subrev_co_ci_u32_e64 v12, s0, 0, v12, s0
	v_cmp_le_u32_e32 vcc_lo, s62, v19
	s_delay_alu instid0(VALU_DEP_3) | instskip(SKIP_1) | instid1(VALU_DEP_4)
	v_cmp_eq_u32_e64 s0, s63, v10
	v_cndmask_b32_e64 v19, 0, -1, vcc_lo
	v_cmp_le_u32_e32 vcc_lo, s63, v12
	v_cndmask_b32_e64 v20, 0, -1, vcc_lo
	v_cmp_le_u32_e32 vcc_lo, s62, v9
	v_cndmask_b32_e64 v9, 0, -1, vcc_lo
	v_cmp_le_u32_e32 vcc_lo, s63, v10
	v_cndmask_b32_e64 v22, 0, -1, vcc_lo
	v_cmp_eq_u32_e32 vcc_lo, s63, v12
	s_delay_alu instid0(VALU_DEP_2) | instskip(SKIP_3) | instid1(VALU_DEP_3)
	v_cndmask_b32_e64 v9, v22, v9, s0
	v_cndmask_b32_e32 v12, v20, v19, vcc_lo
	v_add_co_u32 v19, vcc_lo, v2, 1
	v_add_co_ci_u32_e32 v20, vcc_lo, 0, v11, vcc_lo
	v_cmp_ne_u32_e32 vcc_lo, 0, v12
	s_delay_alu instid0(VALU_DEP_2) | instskip(NEXT) | instid1(VALU_DEP_4)
	v_cndmask_b32_e32 v10, v20, v18, vcc_lo
	v_cndmask_b32_e32 v12, v19, v17, vcc_lo
	v_cmp_ne_u32_e32 vcc_lo, 0, v9
	v_xor_b32_e32 v17, s60, v21
	s_delay_alu instid0(VALU_DEP_3) | instskip(NEXT) | instid1(VALU_DEP_1)
	v_dual_cndmask_b32 v2, v2, v12 :: v_dual_cndmask_b32 v9, v11, v10
                                        ; implicit-def: $vgpr11
	v_xor_b32_e32 v2, v2, v17
	s_delay_alu instid0(VALU_DEP_2) | instskip(NEXT) | instid1(VALU_DEP_2)
	v_xor_b32_e32 v10, v9, v17
	v_sub_co_u32 v9, vcc_lo, v2, v17
	s_delay_alu instid0(VALU_DEP_2)
	v_sub_co_ci_u32_e32 v10, vcc_lo, v10, v17, vcc_lo
.LBB39_55:                              ;   in Loop: Header=BB39_3 Depth=1
	s_and_not1_saveexec_b32 s0, s72
	s_cbranch_execz .LBB39_57
; %bb.56:                               ;   in Loop: Header=BB39_3 Depth=1
	v_rcp_iflag_f32_e32 v2, v15
	s_sub_i32 s60, 0, s54
	s_waitcnt_depctr 0xfff
	v_mul_f32_e32 v2, 0x4f7ffffe, v2
	s_delay_alu instid0(VALU_DEP_1) | instskip(NEXT) | instid1(VALU_DEP_1)
	v_cvt_u32_f32_e32 v2, v2
	v_mul_lo_u32 v9, s60, v2
	s_delay_alu instid0(VALU_DEP_1) | instskip(NEXT) | instid1(VALU_DEP_1)
	v_mul_hi_u32 v9, v2, v9
	v_add_nc_u32_e32 v2, v2, v9
	s_delay_alu instid0(VALU_DEP_1) | instskip(NEXT) | instid1(VALU_DEP_1)
	v_mul_hi_u32 v2, v11, v2
	v_mul_lo_u32 v9, v2, s54
	v_add_nc_u32_e32 v10, 1, v2
	s_delay_alu instid0(VALU_DEP_2) | instskip(NEXT) | instid1(VALU_DEP_1)
	v_sub_nc_u32_e32 v9, v11, v9
	v_subrev_nc_u32_e32 v11, s54, v9
	v_cmp_le_u32_e32 vcc_lo, s54, v9
	s_delay_alu instid0(VALU_DEP_2) | instskip(NEXT) | instid1(VALU_DEP_1)
	v_dual_cndmask_b32 v9, v9, v11 :: v_dual_cndmask_b32 v2, v2, v10
	v_cmp_le_u32_e32 vcc_lo, s54, v9
	s_delay_alu instid0(VALU_DEP_2) | instskip(NEXT) | instid1(VALU_DEP_1)
	v_add_nc_u32_e32 v10, 1, v2
	v_dual_cndmask_b32 v9, v2, v10 :: v_dual_mov_b32 v10, v1
.LBB39_57:                              ;   in Loop: Header=BB39_3 Depth=1
	s_or_b32 exec_lo, exec_lo, s0
	s_delay_alu instid0(VALU_DEP_1) | instskip(NEXT) | instid1(VALU_DEP_2)
	v_mul_lo_u32 v2, v10, s54
	v_mul_lo_u32 v17, v9, s55
	v_mad_u64_u32 v[11:12], null, v9, s54, 0
	v_mul_lo_u32 v19, v10, s24
	s_mov_b32 s0, exec_lo
	s_delay_alu instid0(VALU_DEP_2) | instskip(NEXT) | instid1(VALU_DEP_3)
	v_add3_u32 v2, v12, v17, v2
	v_sub_co_u32 v5, vcc_lo, v5, v11
	v_mul_lo_u32 v12, v9, s25
	v_mad_u64_u32 v[10:11], null, v9, s24, 0
	s_delay_alu instid0(VALU_DEP_4) | instskip(NEXT) | instid1(VALU_DEP_4)
	v_sub_co_ci_u32_e32 v2, vcc_lo, v6, v2, vcc_lo
	v_add_co_u32 v5, vcc_lo, v3, v5
	s_delay_alu instid0(VALU_DEP_2) | instskip(SKIP_2) | instid1(VALU_DEP_4)
	v_add_co_ci_u32_e32 v2, vcc_lo, v4, v2, vcc_lo
	v_add_co_u32 v9, vcc_lo, v7, 3
	v_add_co_ci_u32_e32 v6, vcc_lo, 0, v8, vcc_lo
	v_mul_lo_u32 v20, v5, s27
	s_delay_alu instid0(VALU_DEP_4)
	v_mul_lo_u32 v2, v2, s26
	v_mad_u64_u32 v[17:18], null, v5, s26, 0
	v_mul_lo_u32 v21, s5, v9
	v_mul_lo_u32 v22, s4, v6
	v_mad_u64_u32 v[5:6], null, s4, v9, 0
	v_add3_u32 v11, v11, v12, v19
	v_add3_u32 v18, v18, v20, v2
	s_delay_alu instid0(VALU_DEP_2) | instskip(NEXT) | instid1(VALU_DEP_4)
	v_lshlrev_b64 v[9:10], 2, v[10:11]
	v_add3_u32 v6, v6, v22, v21
	v_add_co_u32 v11, vcc_lo, v3, v5
	s_delay_alu instid0(VALU_DEP_4) | instskip(NEXT) | instid1(VALU_DEP_3)
	v_lshlrev_b64 v[17:18], 2, v[17:18]
	v_add_co_ci_u32_e32 v12, vcc_lo, v4, v6, vcc_lo
	v_add_co_u32 v9, vcc_lo, s52, v9
	v_add_co_ci_u32_e32 v10, vcc_lo, s53, v10, vcc_lo
	s_delay_alu instid0(VALU_DEP_3) | instskip(NEXT) | instid1(VALU_DEP_3)
	v_or_b32_e32 v2, s55, v12
	v_add_co_u32 v9, vcc_lo, v9, v17
	s_delay_alu instid0(VALU_DEP_3)
	v_add_co_ci_u32_e32 v10, vcc_lo, v10, v18, vcc_lo
	global_store_b32 v[9:10], v16, off
                                        ; implicit-def: $vgpr9_vgpr10
	v_cmpx_ne_u64_e32 0, v[1:2]
	s_xor_b32 s72, exec_lo, s0
	s_cbranch_execz .LBB39_59
; %bb.58:                               ;   in Loop: Header=BB39_3 Depth=1
	s_ashr_i32 s60, s55, 31
	s_delay_alu instid0(SALU_CYCLE_1) | instskip(SKIP_2) | instid1(SALU_CYCLE_1)
	s_add_u32 s62, s54, s60
	s_mov_b32 s61, s60
	s_addc_u32 s63, s55, s60
	s_xor_b64 s[62:63], s[62:63], s[60:61]
	s_delay_alu instid0(SALU_CYCLE_1) | instskip(SKIP_3) | instid1(VALU_DEP_1)
	v_cvt_f32_u32_e32 v2, s62
	v_cvt_f32_u32_e32 v9, s63
	s_sub_u32 s0, 0, s62
	s_subb_u32 s61, 0, s63
	v_fmac_f32_e32 v2, 0x4f800000, v9
	s_delay_alu instid0(VALU_DEP_1) | instskip(SKIP_2) | instid1(VALU_DEP_1)
	v_rcp_f32_e32 v2, v2
	s_waitcnt_depctr 0xfff
	v_mul_f32_e32 v2, 0x5f7ffffc, v2
	v_mul_f32_e32 v9, 0x2f800000, v2
	s_delay_alu instid0(VALU_DEP_1) | instskip(NEXT) | instid1(VALU_DEP_1)
	v_trunc_f32_e32 v9, v9
	v_fmac_f32_e32 v2, 0xcf800000, v9
	v_cvt_u32_f32_e32 v9, v9
	s_delay_alu instid0(VALU_DEP_2) | instskip(NEXT) | instid1(VALU_DEP_2)
	v_cvt_u32_f32_e32 v2, v2
	v_mul_lo_u32 v10, s0, v9
	s_delay_alu instid0(VALU_DEP_2) | instskip(SKIP_1) | instid1(VALU_DEP_2)
	v_mul_hi_u32 v16, s0, v2
	v_mul_lo_u32 v17, s61, v2
	v_add_nc_u32_e32 v10, v16, v10
	v_mul_lo_u32 v16, s0, v2
	s_delay_alu instid0(VALU_DEP_2) | instskip(NEXT) | instid1(VALU_DEP_2)
	v_add_nc_u32_e32 v10, v10, v17
	v_mul_hi_u32 v17, v2, v16
	s_delay_alu instid0(VALU_DEP_2)
	v_mul_lo_u32 v18, v2, v10
	v_mul_hi_u32 v19, v2, v10
	v_mul_hi_u32 v20, v9, v16
	v_mul_lo_u32 v16, v9, v16
	v_mul_hi_u32 v21, v9, v10
	v_mul_lo_u32 v10, v9, v10
	v_add_co_u32 v17, vcc_lo, v17, v18
	v_add_co_ci_u32_e32 v18, vcc_lo, 0, v19, vcc_lo
	s_delay_alu instid0(VALU_DEP_2) | instskip(NEXT) | instid1(VALU_DEP_2)
	v_add_co_u32 v16, vcc_lo, v17, v16
	v_add_co_ci_u32_e32 v16, vcc_lo, v18, v20, vcc_lo
	v_add_co_ci_u32_e32 v17, vcc_lo, 0, v21, vcc_lo
	v_ashrrev_i32_e32 v20, 31, v12
	s_delay_alu instid0(VALU_DEP_3) | instskip(NEXT) | instid1(VALU_DEP_3)
	v_add_co_u32 v10, vcc_lo, v16, v10
	v_add_co_ci_u32_e32 v16, vcc_lo, 0, v17, vcc_lo
	s_delay_alu instid0(VALU_DEP_2) | instskip(NEXT) | instid1(VALU_DEP_2)
	v_add_co_u32 v2, vcc_lo, v2, v10
	v_add_co_ci_u32_e32 v9, vcc_lo, v9, v16, vcc_lo
	s_delay_alu instid0(VALU_DEP_2) | instskip(SKIP_1) | instid1(VALU_DEP_3)
	v_mul_hi_u32 v10, s0, v2
	v_mul_lo_u32 v17, s61, v2
	v_mul_lo_u32 v16, s0, v9
	s_delay_alu instid0(VALU_DEP_1) | instskip(SKIP_1) | instid1(VALU_DEP_2)
	v_add_nc_u32_e32 v10, v10, v16
	v_mul_lo_u32 v16, s0, v2
	v_add_nc_u32_e32 v10, v10, v17
	s_delay_alu instid0(VALU_DEP_2) | instskip(NEXT) | instid1(VALU_DEP_2)
	v_mul_hi_u32 v17, v2, v16
	v_mul_lo_u32 v18, v2, v10
	v_mul_hi_u32 v19, v2, v10
	v_mul_hi_u32 v21, v9, v16
	v_mul_lo_u32 v16, v9, v16
	v_mul_hi_u32 v22, v9, v10
	v_mul_lo_u32 v10, v9, v10
	v_add_co_u32 v17, vcc_lo, v17, v18
	v_add_co_ci_u32_e32 v18, vcc_lo, 0, v19, vcc_lo
	s_delay_alu instid0(VALU_DEP_2) | instskip(NEXT) | instid1(VALU_DEP_2)
	v_add_co_u32 v16, vcc_lo, v17, v16
	v_add_co_ci_u32_e32 v16, vcc_lo, v18, v21, vcc_lo
	v_add_co_ci_u32_e32 v17, vcc_lo, 0, v22, vcc_lo
	v_add_co_u32 v11, vcc_lo, v11, v20
	v_add_co_ci_u32_e32 v12, vcc_lo, v12, v20, vcc_lo
	s_delay_alu instid0(VALU_DEP_4) | instskip(NEXT) | instid1(VALU_DEP_4)
	v_add_co_u32 v10, vcc_lo, v16, v10
	v_add_co_ci_u32_e32 v16, vcc_lo, 0, v17, vcc_lo
	s_delay_alu instid0(VALU_DEP_4) | instskip(NEXT) | instid1(VALU_DEP_3)
	v_xor_b32_e32 v18, v11, v20
	v_add_co_u32 v2, vcc_lo, v2, v10
	s_delay_alu instid0(VALU_DEP_3) | instskip(SKIP_1) | instid1(VALU_DEP_3)
	v_add_co_ci_u32_e32 v19, vcc_lo, v9, v16, vcc_lo
	v_xor_b32_e32 v21, v12, v20
	v_mul_hi_u32 v22, v18, v2
	s_delay_alu instid0(VALU_DEP_3) | instskip(NEXT) | instid1(VALU_DEP_3)
	v_mad_u64_u32 v[9:10], null, v18, v19, 0
	v_mad_u64_u32 v[11:12], null, v21, v2, 0
	;; [unrolled: 1-line block ×3, first 2 shown]
	s_delay_alu instid0(VALU_DEP_3) | instskip(NEXT) | instid1(VALU_DEP_4)
	v_add_co_u32 v2, vcc_lo, v22, v9
	v_add_co_ci_u32_e32 v9, vcc_lo, 0, v10, vcc_lo
	s_delay_alu instid0(VALU_DEP_2) | instskip(NEXT) | instid1(VALU_DEP_2)
	v_add_co_u32 v2, vcc_lo, v2, v11
	v_add_co_ci_u32_e32 v2, vcc_lo, v9, v12, vcc_lo
	v_add_co_ci_u32_e32 v9, vcc_lo, 0, v17, vcc_lo
	s_delay_alu instid0(VALU_DEP_2) | instskip(NEXT) | instid1(VALU_DEP_2)
	v_add_co_u32 v2, vcc_lo, v2, v16
	v_add_co_ci_u32_e32 v11, vcc_lo, 0, v9, vcc_lo
	s_delay_alu instid0(VALU_DEP_2) | instskip(SKIP_1) | instid1(VALU_DEP_3)
	v_mul_lo_u32 v12, s63, v2
	v_mad_u64_u32 v[9:10], null, s62, v2, 0
	v_mul_lo_u32 v16, s62, v11
	s_delay_alu instid0(VALU_DEP_2) | instskip(NEXT) | instid1(VALU_DEP_2)
	v_sub_co_u32 v9, vcc_lo, v18, v9
	v_add3_u32 v10, v10, v16, v12
	s_delay_alu instid0(VALU_DEP_1) | instskip(NEXT) | instid1(VALU_DEP_1)
	v_sub_nc_u32_e32 v12, v21, v10
	v_subrev_co_ci_u32_e64 v12, s0, s63, v12, vcc_lo
	v_add_co_u32 v16, s0, v2, 2
	s_delay_alu instid0(VALU_DEP_1) | instskip(SKIP_3) | instid1(VALU_DEP_3)
	v_add_co_ci_u32_e64 v17, s0, 0, v11, s0
	v_sub_co_u32 v18, s0, v9, s62
	v_sub_co_ci_u32_e32 v10, vcc_lo, v21, v10, vcc_lo
	v_subrev_co_ci_u32_e64 v12, s0, 0, v12, s0
	v_cmp_le_u32_e32 vcc_lo, s62, v18
	s_delay_alu instid0(VALU_DEP_3) | instskip(SKIP_1) | instid1(VALU_DEP_4)
	v_cmp_eq_u32_e64 s0, s63, v10
	v_cndmask_b32_e64 v18, 0, -1, vcc_lo
	v_cmp_le_u32_e32 vcc_lo, s63, v12
	v_cndmask_b32_e64 v19, 0, -1, vcc_lo
	v_cmp_le_u32_e32 vcc_lo, s62, v9
	;; [unrolled: 2-line block ×3, first 2 shown]
	v_cndmask_b32_e64 v21, 0, -1, vcc_lo
	v_cmp_eq_u32_e32 vcc_lo, s63, v12
	s_delay_alu instid0(VALU_DEP_2) | instskip(SKIP_3) | instid1(VALU_DEP_3)
	v_cndmask_b32_e64 v9, v21, v9, s0
	v_cndmask_b32_e32 v12, v19, v18, vcc_lo
	v_add_co_u32 v18, vcc_lo, v2, 1
	v_add_co_ci_u32_e32 v19, vcc_lo, 0, v11, vcc_lo
	v_cmp_ne_u32_e32 vcc_lo, 0, v12
	s_delay_alu instid0(VALU_DEP_2) | instskip(NEXT) | instid1(VALU_DEP_4)
	v_cndmask_b32_e32 v10, v19, v17, vcc_lo
	v_cndmask_b32_e32 v12, v18, v16, vcc_lo
	v_cmp_ne_u32_e32 vcc_lo, 0, v9
	v_xor_b32_e32 v16, s60, v20
	s_delay_alu instid0(VALU_DEP_3) | instskip(NEXT) | instid1(VALU_DEP_1)
	v_dual_cndmask_b32 v2, v2, v12 :: v_dual_cndmask_b32 v9, v11, v10
                                        ; implicit-def: $vgpr11
	v_xor_b32_e32 v2, v2, v16
	s_delay_alu instid0(VALU_DEP_2) | instskip(NEXT) | instid1(VALU_DEP_2)
	v_xor_b32_e32 v10, v9, v16
	v_sub_co_u32 v9, vcc_lo, v2, v16
	s_delay_alu instid0(VALU_DEP_2)
	v_sub_co_ci_u32_e32 v10, vcc_lo, v10, v16, vcc_lo
.LBB39_59:                              ;   in Loop: Header=BB39_3 Depth=1
	s_and_not1_saveexec_b32 s0, s72
	s_cbranch_execz .LBB39_61
; %bb.60:                               ;   in Loop: Header=BB39_3 Depth=1
	v_rcp_iflag_f32_e32 v2, v15
	s_sub_i32 s60, 0, s54
	s_waitcnt_depctr 0xfff
	v_mul_f32_e32 v2, 0x4f7ffffe, v2
	s_delay_alu instid0(VALU_DEP_1) | instskip(NEXT) | instid1(VALU_DEP_1)
	v_cvt_u32_f32_e32 v2, v2
	v_mul_lo_u32 v9, s60, v2
	s_delay_alu instid0(VALU_DEP_1) | instskip(NEXT) | instid1(VALU_DEP_1)
	v_mul_hi_u32 v9, v2, v9
	v_add_nc_u32_e32 v2, v2, v9
	s_delay_alu instid0(VALU_DEP_1) | instskip(NEXT) | instid1(VALU_DEP_1)
	v_mul_hi_u32 v2, v11, v2
	v_mul_lo_u32 v9, v2, s54
	v_add_nc_u32_e32 v10, 1, v2
	s_delay_alu instid0(VALU_DEP_2) | instskip(NEXT) | instid1(VALU_DEP_1)
	v_sub_nc_u32_e32 v9, v11, v9
	v_subrev_nc_u32_e32 v11, s54, v9
	v_cmp_le_u32_e32 vcc_lo, s54, v9
	s_delay_alu instid0(VALU_DEP_2) | instskip(NEXT) | instid1(VALU_DEP_1)
	v_dual_cndmask_b32 v9, v9, v11 :: v_dual_cndmask_b32 v2, v2, v10
	v_cmp_le_u32_e32 vcc_lo, s54, v9
	s_delay_alu instid0(VALU_DEP_2) | instskip(NEXT) | instid1(VALU_DEP_1)
	v_add_nc_u32_e32 v10, 1, v2
	v_dual_cndmask_b32 v9, v2, v10 :: v_dual_mov_b32 v10, v1
.LBB39_61:                              ;   in Loop: Header=BB39_3 Depth=1
	s_or_b32 exec_lo, exec_lo, s0
	s_delay_alu instid0(VALU_DEP_1) | instskip(NEXT) | instid1(VALU_DEP_2)
	v_mul_lo_u32 v2, v10, s54
	v_mul_lo_u32 v16, v9, s55
	v_mad_u64_u32 v[11:12], null, v9, s54, 0
	v_mul_lo_u32 v17, v10, s24
	s_mov_b32 s0, exec_lo
	s_delay_alu instid0(VALU_DEP_2) | instskip(NEXT) | instid1(VALU_DEP_3)
	v_add3_u32 v2, v12, v16, v2
	v_sub_co_u32 v5, vcc_lo, v5, v11
	v_mul_lo_u32 v12, v9, s25
	v_mad_u64_u32 v[10:11], null, v9, s24, 0
	s_delay_alu instid0(VALU_DEP_4) | instskip(NEXT) | instid1(VALU_DEP_4)
	v_sub_co_ci_u32_e32 v2, vcc_lo, v6, v2, vcc_lo
	v_add_co_u32 v5, vcc_lo, v3, v5
	s_delay_alu instid0(VALU_DEP_2) | instskip(SKIP_2) | instid1(VALU_DEP_4)
	v_add_co_ci_u32_e32 v2, vcc_lo, v4, v2, vcc_lo
	v_add_co_u32 v9, vcc_lo, v7, 4
	v_add_co_ci_u32_e32 v6, vcc_lo, 0, v8, vcc_lo
	v_mul_lo_u32 v16, v5, s27
	s_delay_alu instid0(VALU_DEP_4)
	v_mul_lo_u32 v2, v2, s26
	v_mad_u64_u32 v[7:8], null, v5, s26, 0
	v_mul_lo_u32 v18, s5, v9
	v_mul_lo_u32 v19, s4, v6
	v_mad_u64_u32 v[5:6], null, s4, v9, 0
	v_add3_u32 v11, v11, v12, v17
	v_add3_u32 v8, v8, v16, v2
	s_delay_alu instid0(VALU_DEP_2) | instskip(NEXT) | instid1(VALU_DEP_4)
	v_lshlrev_b64 v[11:12], 2, v[10:11]
	v_add3_u32 v6, v6, v19, v18
	v_add_co_u32 v9, vcc_lo, v3, v5
	s_delay_alu instid0(VALU_DEP_4) | instskip(NEXT) | instid1(VALU_DEP_3)
	v_lshlrev_b64 v[7:8], 2, v[7:8]
	v_add_co_ci_u32_e32 v10, vcc_lo, v4, v6, vcc_lo
	v_add_co_u32 v11, vcc_lo, s52, v11
	v_add_co_ci_u32_e32 v12, vcc_lo, s53, v12, vcc_lo
	s_delay_alu instid0(VALU_DEP_3) | instskip(NEXT) | instid1(VALU_DEP_3)
	v_or_b32_e32 v2, s55, v10
	v_add_co_u32 v7, vcc_lo, v11, v7
	s_delay_alu instid0(VALU_DEP_3)
	v_add_co_ci_u32_e32 v8, vcc_lo, v12, v8, vcc_lo
	global_store_b32 v[7:8], v13, off
                                        ; implicit-def: $vgpr7_vgpr8
	v_cmpx_ne_u64_e32 0, v[1:2]
	s_xor_b32 s72, exec_lo, s0
	s_cbranch_execz .LBB39_63
; %bb.62:                               ;   in Loop: Header=BB39_3 Depth=1
	s_ashr_i32 s60, s55, 31
	s_delay_alu instid0(SALU_CYCLE_1) | instskip(SKIP_2) | instid1(SALU_CYCLE_1)
	s_add_u32 s62, s54, s60
	s_mov_b32 s61, s60
	s_addc_u32 s63, s55, s60
	s_xor_b64 s[62:63], s[62:63], s[60:61]
	s_delay_alu instid0(SALU_CYCLE_1) | instskip(SKIP_3) | instid1(VALU_DEP_1)
	v_cvt_f32_u32_e32 v2, s62
	v_cvt_f32_u32_e32 v7, s63
	s_sub_u32 s0, 0, s62
	s_subb_u32 s61, 0, s63
	v_fmac_f32_e32 v2, 0x4f800000, v7
	s_delay_alu instid0(VALU_DEP_1) | instskip(SKIP_2) | instid1(VALU_DEP_1)
	v_rcp_f32_e32 v2, v2
	s_waitcnt_depctr 0xfff
	v_mul_f32_e32 v2, 0x5f7ffffc, v2
	v_mul_f32_e32 v7, 0x2f800000, v2
	s_delay_alu instid0(VALU_DEP_1) | instskip(NEXT) | instid1(VALU_DEP_1)
	v_trunc_f32_e32 v7, v7
	v_fmac_f32_e32 v2, 0xcf800000, v7
	v_cvt_u32_f32_e32 v7, v7
	s_delay_alu instid0(VALU_DEP_2) | instskip(NEXT) | instid1(VALU_DEP_2)
	v_cvt_u32_f32_e32 v2, v2
	v_mul_lo_u32 v8, s0, v7
	s_delay_alu instid0(VALU_DEP_2) | instskip(SKIP_1) | instid1(VALU_DEP_2)
	v_mul_hi_u32 v11, s0, v2
	v_mul_lo_u32 v12, s61, v2
	v_add_nc_u32_e32 v8, v11, v8
	v_mul_lo_u32 v11, s0, v2
	s_delay_alu instid0(VALU_DEP_2) | instskip(NEXT) | instid1(VALU_DEP_2)
	v_add_nc_u32_e32 v8, v8, v12
	v_mul_hi_u32 v12, v2, v11
	s_delay_alu instid0(VALU_DEP_2)
	v_mul_lo_u32 v13, v2, v8
	v_mul_hi_u32 v15, v2, v8
	v_mul_hi_u32 v16, v7, v11
	v_mul_lo_u32 v11, v7, v11
	v_mul_hi_u32 v17, v7, v8
	v_mul_lo_u32 v8, v7, v8
	v_add_co_u32 v12, vcc_lo, v12, v13
	v_add_co_ci_u32_e32 v13, vcc_lo, 0, v15, vcc_lo
	s_delay_alu instid0(VALU_DEP_2) | instskip(NEXT) | instid1(VALU_DEP_2)
	v_add_co_u32 v11, vcc_lo, v12, v11
	v_add_co_ci_u32_e32 v11, vcc_lo, v13, v16, vcc_lo
	v_add_co_ci_u32_e32 v12, vcc_lo, 0, v17, vcc_lo
	v_ashrrev_i32_e32 v16, 31, v10
	s_delay_alu instid0(VALU_DEP_3) | instskip(NEXT) | instid1(VALU_DEP_3)
	v_add_co_u32 v8, vcc_lo, v11, v8
	v_add_co_ci_u32_e32 v11, vcc_lo, 0, v12, vcc_lo
	s_delay_alu instid0(VALU_DEP_2) | instskip(NEXT) | instid1(VALU_DEP_2)
	v_add_co_u32 v2, vcc_lo, v2, v8
	v_add_co_ci_u32_e32 v7, vcc_lo, v7, v11, vcc_lo
	s_delay_alu instid0(VALU_DEP_2) | instskip(SKIP_1) | instid1(VALU_DEP_3)
	v_mul_hi_u32 v8, s0, v2
	v_mul_lo_u32 v12, s61, v2
	v_mul_lo_u32 v11, s0, v7
	s_delay_alu instid0(VALU_DEP_1) | instskip(SKIP_1) | instid1(VALU_DEP_2)
	v_add_nc_u32_e32 v8, v8, v11
	v_mul_lo_u32 v11, s0, v2
	v_add_nc_u32_e32 v8, v8, v12
	s_delay_alu instid0(VALU_DEP_2) | instskip(NEXT) | instid1(VALU_DEP_2)
	v_mul_hi_u32 v12, v2, v11
	v_mul_lo_u32 v13, v2, v8
	v_mul_hi_u32 v15, v2, v8
	v_mul_hi_u32 v17, v7, v11
	v_mul_lo_u32 v11, v7, v11
	v_mul_hi_u32 v18, v7, v8
	v_mul_lo_u32 v8, v7, v8
	v_add_co_u32 v12, vcc_lo, v12, v13
	v_add_co_ci_u32_e32 v13, vcc_lo, 0, v15, vcc_lo
	s_delay_alu instid0(VALU_DEP_2) | instskip(NEXT) | instid1(VALU_DEP_2)
	v_add_co_u32 v11, vcc_lo, v12, v11
	v_add_co_ci_u32_e32 v11, vcc_lo, v13, v17, vcc_lo
	v_add_co_ci_u32_e32 v12, vcc_lo, 0, v18, vcc_lo
	v_add_co_u32 v9, vcc_lo, v9, v16
	v_add_co_ci_u32_e32 v10, vcc_lo, v10, v16, vcc_lo
	s_delay_alu instid0(VALU_DEP_4) | instskip(NEXT) | instid1(VALU_DEP_4)
	v_add_co_u32 v8, vcc_lo, v11, v8
	v_add_co_ci_u32_e32 v11, vcc_lo, 0, v12, vcc_lo
	s_delay_alu instid0(VALU_DEP_4) | instskip(NEXT) | instid1(VALU_DEP_3)
	v_xor_b32_e32 v13, v9, v16
	v_add_co_u32 v2, vcc_lo, v2, v8
	s_delay_alu instid0(VALU_DEP_3) | instskip(SKIP_1) | instid1(VALU_DEP_3)
	v_add_co_ci_u32_e32 v15, vcc_lo, v7, v11, vcc_lo
	v_xor_b32_e32 v17, v10, v16
	v_mul_hi_u32 v18, v13, v2
	s_delay_alu instid0(VALU_DEP_3) | instskip(NEXT) | instid1(VALU_DEP_3)
	v_mad_u64_u32 v[7:8], null, v13, v15, 0
	v_mad_u64_u32 v[9:10], null, v17, v2, 0
	;; [unrolled: 1-line block ×3, first 2 shown]
	s_delay_alu instid0(VALU_DEP_3) | instskip(NEXT) | instid1(VALU_DEP_4)
	v_add_co_u32 v2, vcc_lo, v18, v7
	v_add_co_ci_u32_e32 v7, vcc_lo, 0, v8, vcc_lo
	s_delay_alu instid0(VALU_DEP_2) | instskip(NEXT) | instid1(VALU_DEP_2)
	v_add_co_u32 v2, vcc_lo, v2, v9
	v_add_co_ci_u32_e32 v2, vcc_lo, v7, v10, vcc_lo
	v_add_co_ci_u32_e32 v7, vcc_lo, 0, v12, vcc_lo
	s_delay_alu instid0(VALU_DEP_2) | instskip(NEXT) | instid1(VALU_DEP_2)
	v_add_co_u32 v2, vcc_lo, v2, v11
	v_add_co_ci_u32_e32 v9, vcc_lo, 0, v7, vcc_lo
	s_delay_alu instid0(VALU_DEP_2) | instskip(SKIP_1) | instid1(VALU_DEP_3)
	v_mul_lo_u32 v10, s63, v2
	v_mad_u64_u32 v[7:8], null, s62, v2, 0
	v_mul_lo_u32 v11, s62, v9
	s_delay_alu instid0(VALU_DEP_2) | instskip(NEXT) | instid1(VALU_DEP_2)
	v_sub_co_u32 v7, vcc_lo, v13, v7
	v_add3_u32 v8, v8, v11, v10
	s_delay_alu instid0(VALU_DEP_1) | instskip(NEXT) | instid1(VALU_DEP_1)
	v_sub_nc_u32_e32 v10, v17, v8
	v_subrev_co_ci_u32_e64 v10, s0, s63, v10, vcc_lo
	v_add_co_u32 v11, s0, v2, 2
	s_delay_alu instid0(VALU_DEP_1) | instskip(SKIP_3) | instid1(VALU_DEP_3)
	v_add_co_ci_u32_e64 v12, s0, 0, v9, s0
	v_sub_co_u32 v13, s0, v7, s62
	v_sub_co_ci_u32_e32 v8, vcc_lo, v17, v8, vcc_lo
	v_subrev_co_ci_u32_e64 v10, s0, 0, v10, s0
	v_cmp_le_u32_e32 vcc_lo, s62, v13
	s_delay_alu instid0(VALU_DEP_3) | instskip(SKIP_1) | instid1(VALU_DEP_4)
	v_cmp_eq_u32_e64 s0, s63, v8
	v_cndmask_b32_e64 v13, 0, -1, vcc_lo
	v_cmp_le_u32_e32 vcc_lo, s63, v10
	v_cndmask_b32_e64 v15, 0, -1, vcc_lo
	v_cmp_le_u32_e32 vcc_lo, s62, v7
	v_cndmask_b32_e64 v7, 0, -1, vcc_lo
	v_cmp_le_u32_e32 vcc_lo, s63, v8
	v_cndmask_b32_e64 v17, 0, -1, vcc_lo
	v_cmp_eq_u32_e32 vcc_lo, s63, v10
	s_delay_alu instid0(VALU_DEP_2) | instskip(SKIP_3) | instid1(VALU_DEP_3)
	v_cndmask_b32_e64 v7, v17, v7, s0
	v_cndmask_b32_e32 v10, v15, v13, vcc_lo
	v_add_co_u32 v13, vcc_lo, v2, 1
	v_add_co_ci_u32_e32 v15, vcc_lo, 0, v9, vcc_lo
	v_cmp_ne_u32_e32 vcc_lo, 0, v10
	s_delay_alu instid0(VALU_DEP_2) | instskip(NEXT) | instid1(VALU_DEP_4)
	v_cndmask_b32_e32 v8, v15, v12, vcc_lo
	v_cndmask_b32_e32 v10, v13, v11, vcc_lo
	v_cmp_ne_u32_e32 vcc_lo, 0, v7
	v_xor_b32_e32 v11, s60, v16
                                        ; implicit-def: $vgpr15
	s_delay_alu instid0(VALU_DEP_3) | instskip(NEXT) | instid1(VALU_DEP_1)
	v_dual_cndmask_b32 v2, v2, v10 :: v_dual_cndmask_b32 v7, v9, v8
                                        ; implicit-def: $vgpr9
	v_xor_b32_e32 v2, v2, v11
	s_delay_alu instid0(VALU_DEP_2) | instskip(NEXT) | instid1(VALU_DEP_2)
	v_xor_b32_e32 v8, v7, v11
	v_sub_co_u32 v7, vcc_lo, v2, v11
	s_delay_alu instid0(VALU_DEP_2)
	v_sub_co_ci_u32_e32 v8, vcc_lo, v8, v11, vcc_lo
.LBB39_63:                              ;   in Loop: Header=BB39_3 Depth=1
	s_and_not1_saveexec_b32 s0, s72
	s_cbranch_execz .LBB39_2
; %bb.64:                               ;   in Loop: Header=BB39_3 Depth=1
	v_rcp_iflag_f32_e32 v2, v15
	s_sub_i32 s60, 0, s54
	s_waitcnt_depctr 0xfff
	v_mul_f32_e32 v2, 0x4f7ffffe, v2
	s_delay_alu instid0(VALU_DEP_1) | instskip(NEXT) | instid1(VALU_DEP_1)
	v_cvt_u32_f32_e32 v2, v2
	v_mul_lo_u32 v7, s60, v2
	s_delay_alu instid0(VALU_DEP_1) | instskip(NEXT) | instid1(VALU_DEP_1)
	v_mul_hi_u32 v7, v2, v7
	v_add_nc_u32_e32 v2, v2, v7
	s_delay_alu instid0(VALU_DEP_1) | instskip(NEXT) | instid1(VALU_DEP_1)
	v_mul_hi_u32 v2, v9, v2
	v_mul_lo_u32 v7, v2, s54
	v_add_nc_u32_e32 v8, 1, v2
	s_delay_alu instid0(VALU_DEP_2) | instskip(NEXT) | instid1(VALU_DEP_1)
	v_sub_nc_u32_e32 v7, v9, v7
	v_subrev_nc_u32_e32 v9, s54, v7
	v_cmp_le_u32_e32 vcc_lo, s54, v7
	s_delay_alu instid0(VALU_DEP_2) | instskip(NEXT) | instid1(VALU_DEP_1)
	v_dual_cndmask_b32 v7, v7, v9 :: v_dual_cndmask_b32 v2, v2, v8
	v_cmp_le_u32_e32 vcc_lo, s54, v7
	s_delay_alu instid0(VALU_DEP_2) | instskip(NEXT) | instid1(VALU_DEP_1)
	v_add_nc_u32_e32 v8, 1, v2
	v_dual_cndmask_b32 v7, v2, v8 :: v_dual_mov_b32 v8, v1
	s_branch .LBB39_2
.LBB39_65:
	s_nop 0
	s_sendmsg sendmsg(MSG_DEALLOC_VGPRS)
	s_endpgm
	.section	.rodata,"a",@progbits
	.p2align	6, 0x0
	.amdhsa_kernel _ZN2at6native12_GLOBAL__N_16kernel16gru_cell_forwardIfflLi2EEEvNS_4cuda6detail10TensorInfoIT_T1_EES9_S9_S9_S9_S9_S9_S8_S8_
		.amdhsa_group_segment_fixed_size 0
		.amdhsa_private_segment_fixed_size 0
		.amdhsa_kernarg_size 3184
		.amdhsa_user_sgpr_count 15
		.amdhsa_user_sgpr_dispatch_ptr 0
		.amdhsa_user_sgpr_queue_ptr 0
		.amdhsa_user_sgpr_kernarg_segment_ptr 1
		.amdhsa_user_sgpr_dispatch_id 0
		.amdhsa_user_sgpr_private_segment_size 0
		.amdhsa_wavefront_size32 1
		.amdhsa_uses_dynamic_stack 0
		.amdhsa_enable_private_segment 0
		.amdhsa_system_sgpr_workgroup_id_x 1
		.amdhsa_system_sgpr_workgroup_id_y 0
		.amdhsa_system_sgpr_workgroup_id_z 0
		.amdhsa_system_sgpr_workgroup_info 0
		.amdhsa_system_vgpr_workitem_id 0
		.amdhsa_next_free_vgpr 35
		.amdhsa_next_free_sgpr 73
		.amdhsa_reserve_vcc 1
		.amdhsa_float_round_mode_32 0
		.amdhsa_float_round_mode_16_64 0
		.amdhsa_float_denorm_mode_32 3
		.amdhsa_float_denorm_mode_16_64 3
		.amdhsa_dx10_clamp 1
		.amdhsa_ieee_mode 1
		.amdhsa_fp16_overflow 0
		.amdhsa_workgroup_processor_mode 1
		.amdhsa_memory_ordered 1
		.amdhsa_forward_progress 0
		.amdhsa_shared_vgpr_count 0
		.amdhsa_exception_fp_ieee_invalid_op 0
		.amdhsa_exception_fp_denorm_src 0
		.amdhsa_exception_fp_ieee_div_zero 0
		.amdhsa_exception_fp_ieee_overflow 0
		.amdhsa_exception_fp_ieee_underflow 0
		.amdhsa_exception_fp_ieee_inexact 0
		.amdhsa_exception_int_div_zero 0
	.end_amdhsa_kernel
	.section	.text._ZN2at6native12_GLOBAL__N_16kernel16gru_cell_forwardIfflLi2EEEvNS_4cuda6detail10TensorInfoIT_T1_EES9_S9_S9_S9_S9_S9_S8_S8_,"axG",@progbits,_ZN2at6native12_GLOBAL__N_16kernel16gru_cell_forwardIfflLi2EEEvNS_4cuda6detail10TensorInfoIT_T1_EES9_S9_S9_S9_S9_S9_S8_S8_,comdat
.Lfunc_end39:
	.size	_ZN2at6native12_GLOBAL__N_16kernel16gru_cell_forwardIfflLi2EEEvNS_4cuda6detail10TensorInfoIT_T1_EES9_S9_S9_S9_S9_S9_S8_S8_, .Lfunc_end39-_ZN2at6native12_GLOBAL__N_16kernel16gru_cell_forwardIfflLi2EEEvNS_4cuda6detail10TensorInfoIT_T1_EES9_S9_S9_S9_S9_S9_S8_S8_
                                        ; -- End function
	.section	.AMDGPU.csdata,"",@progbits
; Kernel info:
; codeLenInByte = 18476
; NumSgprs: 75
; NumVgprs: 35
; ScratchSize: 0
; MemoryBound: 0
; FloatMode: 240
; IeeeMode: 1
; LDSByteSize: 0 bytes/workgroup (compile time only)
; SGPRBlocks: 9
; VGPRBlocks: 4
; NumSGPRsForWavesPerEU: 75
; NumVGPRsForWavesPerEU: 35
; Occupancy: 16
; WaveLimiterHint : 1
; COMPUTE_PGM_RSRC2:SCRATCH_EN: 0
; COMPUTE_PGM_RSRC2:USER_SGPR: 15
; COMPUTE_PGM_RSRC2:TRAP_HANDLER: 0
; COMPUTE_PGM_RSRC2:TGID_X_EN: 1
; COMPUTE_PGM_RSRC2:TGID_Y_EN: 0
; COMPUTE_PGM_RSRC2:TGID_Z_EN: 0
; COMPUTE_PGM_RSRC2:TIDIG_COMP_CNT: 0
	.section	.text._ZN2at6native12_GLOBAL__N_16kernel16gru_cell_forwardIN3c104HalfEfiLi1EEEvNS_4cuda6detail10TensorInfoIT_T1_EESB_SB_SB_SB_SB_SB_SA_SA_,"axG",@progbits,_ZN2at6native12_GLOBAL__N_16kernel16gru_cell_forwardIN3c104HalfEfiLi1EEEvNS_4cuda6detail10TensorInfoIT_T1_EESB_SB_SB_SB_SB_SB_SA_SA_,comdat
	.globl	_ZN2at6native12_GLOBAL__N_16kernel16gru_cell_forwardIN3c104HalfEfiLi1EEEvNS_4cuda6detail10TensorInfoIT_T1_EESB_SB_SB_SB_SB_SB_SA_SA_ ; -- Begin function _ZN2at6native12_GLOBAL__N_16kernel16gru_cell_forwardIN3c104HalfEfiLi1EEEvNS_4cuda6detail10TensorInfoIT_T1_EESB_SB_SB_SB_SB_SB_SA_SA_
	.p2align	8
	.type	_ZN2at6native12_GLOBAL__N_16kernel16gru_cell_forwardIN3c104HalfEfiLi1EEEvNS_4cuda6detail10TensorInfoIT_T1_EESB_SB_SB_SB_SB_SB_SA_SA_,@function
_ZN2at6native12_GLOBAL__N_16kernel16gru_cell_forwardIN3c104HalfEfiLi1EEEvNS_4cuda6detail10TensorInfoIT_T1_EESB_SB_SB_SB_SB_SB_SA_SA_: ; @_ZN2at6native12_GLOBAL__N_16kernel16gru_cell_forwardIN3c104HalfEfiLi1EEEvNS_4cuda6detail10TensorInfoIT_T1_EESB_SB_SB_SB_SB_SB_SA_SA_
; %bb.0:
	s_clause 0x1
	s_load_b32 s4, s[0:1], 0x5fc
	s_load_b64 s[2:3], s[0:1], 0x5e8
	s_add_u32 s8, s0, 0x5f0
	s_addc_u32 s9, s1, 0
	s_waitcnt lgkmcnt(0)
	s_and_b32 s25, s4, 0xffff
	s_mov_b32 s4, exec_lo
	v_mad_u64_u32 v[1:2], null, s15, s25, v[0:1]
	s_delay_alu instid0(VALU_DEP_1)
	v_cmpx_gt_i32_e64 s3, v1
	s_cbranch_execz .LBB40_9
; %bb.1:
	s_clause 0x4
	s_load_b64 s[4:5], s[0:1], 0x1b0
	s_load_b32 s18, s[0:1], 0x21c
	s_load_b64 s[6:7], s[0:1], 0x288
	s_load_b32 s19, s[0:1], 0x2f4
	s_load_b32 s30, s[0:1], 0x3cc
	;; [unrolled: 1-line block ×3, first 2 shown]
	s_clause 0x6
	s_load_b32 s31, s[0:1], 0x4a4
	s_load_b64 s[8:9], s[0:1], 0x360
	s_load_b64 s[10:11], s[0:1], 0x438
	;; [unrolled: 1-line block ×3, first 2 shown]
	s_load_b32 s22, s[0:1], 0x6c
	s_load_b64 s[14:15], s[0:1], 0xd8
	s_load_b32 s23, s[0:1], 0x144
	s_mov_b32 s24, 0
	s_mov_b32 s33, 0xbbbac73d
	s_waitcnt lgkmcnt(0)
	s_cmp_lg_u64 s[4:5], 0
	s_cselect_b32 s20, -1, 0
	s_abs_i32 s21, s2
	v_mul_lo_u32 v4, v1, s31
	v_cvt_f32_u32_e32 v0, s21
	s_sub_i32 s16, 0, s21
	s_mul_i32 s25, s26, s25
	s_ashr_i32 s26, s2, 31
	s_lshl_b32 s27, s2, 1
	v_rcp_iflag_f32_e32 v0, v0
	s_lshl_b32 s28, s2, 2
	s_sub_i32 s29, 0, s2
	s_mul_i32 s31, s25, s31
	s_waitcnt_depctr 0xfff
	v_mul_f32_e32 v0, 0x4f7ffffe, v0
	s_delay_alu instid0(VALU_DEP_1) | instskip(NEXT) | instid1(VALU_DEP_1)
	v_cvt_u32_f32_e32 v0, v0
	v_mul_lo_u32 v2, s16, v0
	s_clause 0x1
	s_load_b64 s[16:17], s[0:1], 0x510
	s_load_b32 s1, s[0:1], 0x57c
	s_delay_alu instid0(VALU_DEP_1) | instskip(SKIP_2) | instid1(VALU_DEP_2)
	v_mul_hi_u32 v3, v0, v2
	v_mul_lo_u32 v2, v1, s30
	s_mul_i32 s30, s25, s30
	v_add_nc_u32_e32 v0, v0, v3
	s_branch .LBB40_3
.LBB40_2:                               ;   in Loop: Header=BB40_3 Depth=1
	s_or_b32 exec_lo, exec_lo, s0
	v_cvt_f32_f16_e32 v8, v8
	v_cvt_f32_f16_e32 v9, v9
	;; [unrolled: 1-line block ×3, first 2 shown]
	v_cvt_f16_f32_e32 v18, v11
	s_waitcnt_depctr 0xfff
	v_bfi_b32 v17, 0x7fffffff, v15, v14
	v_cvt_f16_f32_e32 v19, v10
	v_add_f32_e32 v8, v8, v9
	v_cvt_f32_f16_e32 v9, v12
	v_lshlrev_b32_e32 v7, 2, v7
	v_cvt_f16_f32_e32 v21, v17
	s_delay_alu instid0(VALU_DEP_4) | instskip(NEXT) | instid1(VALU_DEP_1)
	v_dual_add_f32 v8, v8, v13 :: v_dual_lshlrev_b32 v11, 2, v6
	v_add_f32_e32 v12, v8, v9
	s_delay_alu instid0(VALU_DEP_1) | instskip(SKIP_1) | instid1(VALU_DEP_1)
	v_cmp_nlt_f32_e32 vcc_lo, 0x42ce8ed0, v12
	v_mul_f32_e32 v8, 0xbfb8aa3b, v12
	v_fma_f32 v9, 0xbfb8aa3b, v12, -v8
	v_rndne_f32_e32 v13, v8
	s_delay_alu instid0(VALU_DEP_1) | instskip(SKIP_1) | instid1(VALU_DEP_2)
	v_dual_fmac_f32 v9, 0xb2a5705f, v12 :: v_dual_sub_f32 v8, v8, v13
	v_cvt_i32_f32_e32 v13, v13
	v_add_f32_e32 v8, v8, v9
	s_delay_alu instid0(VALU_DEP_1) | instskip(SKIP_4) | instid1(VALU_DEP_3)
	v_exp_f32_e32 v16, v8
	v_mad_u64_u32 v[8:9], null, s28, v5, v[1:2]
	v_cvt_f32_f16_e32 v9, v3
	v_add_nc_u32_e32 v2, s30, v2
	v_ashrrev_i32_e32 v5, 31, v4
	v_sub_f32_e32 v20, v9, v17
	s_waitcnt_depctr 0xfff
	v_ldexp_f32 v10, v16, v13
	v_lshlrev_b64 v[5:6], 1, v[4:5]
	s_delay_alu instid0(VALU_DEP_2) | instskip(SKIP_4) | instid1(VALU_DEP_2)
	v_dual_cndmask_b32 v9, 0, v10 :: v_dual_add_nc_u32 v4, s31, v4
	v_cmp_ngt_f32_e32 vcc_lo, 0xc2b17218, v12
	v_sub_nc_u32_e32 v10, v7, v11
	s_waitcnt lgkmcnt(0)
	v_mul_lo_u32 v7, v8, s1
	v_dual_cndmask_b32 v9, 0x7f800000, v9 :: v_dual_add_nc_u32 v14, 4, v10
	v_or_b32_e32 v8, 1, v10
	v_or_b32_e32 v12, 2, v10
	;; [unrolled: 1-line block ×3, first 2 shown]
	s_delay_alu instid0(VALU_DEP_4) | instskip(SKIP_2) | instid1(VALU_DEP_3)
	v_add_f32_e32 v22, 1.0, v9
	v_add_co_u32 v5, vcc_lo, s10, v5
	v_mad_u64_u32 v[9:10], null, s2, v8, v[1:2]
	v_div_scale_f32 v23, null, v22, v22, 1.0
	v_mad_u64_u32 v[10:11], null, s2, v12, v[1:2]
	v_mad_u64_u32 v[11:12], null, s2, v13, v[1:2]
	s_delay_alu instid0(VALU_DEP_3)
	v_rcp_f32_e32 v24, v23
	v_mad_u64_u32 v[12:13], null, s2, v14, v[1:2]
	v_div_scale_f32 v25, s0, 1.0, v22, 1.0
	v_mul_lo_u32 v9, v9, s1
	v_ashrrev_i32_e32 v8, 31, v7
	v_add_co_ci_u32_e32 v6, vcc_lo, s11, v6, vcc_lo
	v_mul_lo_u32 v11, v11, s1
	s_delay_alu instid0(TRANS32_DEP_1) | instskip(SKIP_3) | instid1(VALU_DEP_4)
	v_fma_f32 v13, -v23, v24, 1.0
	v_add_nc_u32_e32 v1, s25, v1
	v_lshlrev_b64 v[7:8], 1, v[7:8]
	v_mul_lo_u32 v15, v12, s1
	v_fmac_f32_e32 v24, v13, v24
	v_mul_lo_u32 v13, v10, s1
	v_ashrrev_i32_e32 v10, 31, v9
	v_cmp_le_i32_e32 vcc_lo, s3, v1
	v_ashrrev_i32_e32 v12, 31, v11
	v_mul_f32_e32 v26, v25, v24
	v_ashrrev_i32_e32 v16, 31, v15
	v_lshlrev_b64 v[9:10], 1, v[9:10]
	s_or_b32 s24, vcc_lo, s24
	v_add_co_u32 v7, vcc_lo, s16, v7
	v_fma_f32 v27, -v23, v26, v25
	v_add_co_ci_u32_e32 v8, vcc_lo, s17, v8, vcc_lo
	s_delay_alu instid0(VALU_DEP_4) | instskip(NEXT) | instid1(VALU_DEP_3)
	v_add_co_u32 v9, vcc_lo, s16, v9
	v_fmac_f32_e32 v26, v27, v24
	v_ashrrev_i32_e32 v14, 31, v13
	v_add_co_ci_u32_e32 v10, vcc_lo, s17, v10, vcc_lo
	s_mov_b32 vcc_lo, s0
	s_delay_alu instid0(VALU_DEP_3) | instskip(NEXT) | instid1(VALU_DEP_3)
	v_fma_f32 v23, -v23, v26, v25
	v_lshlrev_b64 v[13:14], 1, v[13:14]
	v_lshlrev_b64 v[11:12], 1, v[11:12]
	;; [unrolled: 1-line block ×3, first 2 shown]
	s_delay_alu instid0(VALU_DEP_4) | instskip(NEXT) | instid1(VALU_DEP_4)
	v_div_fmas_f32 v23, v23, v24, v26
	v_add_co_u32 v13, vcc_lo, s16, v13
	v_add_co_ci_u32_e32 v14, vcc_lo, s17, v14, vcc_lo
	s_delay_alu instid0(VALU_DEP_3) | instskip(SKIP_2) | instid1(VALU_DEP_3)
	v_div_fixup_f32 v22, v23, v22, 1.0
	v_add_co_u32 v11, vcc_lo, s16, v11
	v_add_co_ci_u32_e32 v12, vcc_lo, s17, v12, vcc_lo
	v_fma_mixlo_f16 v17, v22, v20, v17
	v_cvt_f16_f32_e32 v20, v22
	v_add_co_u32 v15, vcc_lo, s16, v15
	v_add_co_ci_u32_e32 v16, vcc_lo, s17, v16, vcc_lo
	global_store_b16 v[5:6], v17, off
	s_clause 0x4
	global_store_b16 v[7:8], v18, off
	global_store_b16 v[9:10], v20, off
	;; [unrolled: 1-line block ×5, first 2 shown]
	s_and_not1_b32 exec_lo, exec_lo, s24
	s_cbranch_execz .LBB40_9
.LBB40_3:                               ; =>This Inner Loop Header: Depth=1
	v_sub_nc_u32_e32 v3, 0, v1
	s_delay_alu instid0(VALU_DEP_1) | instskip(NEXT) | instid1(VALU_DEP_1)
	v_max_i32_e32 v3, v1, v3
	v_mul_hi_u32 v5, v3, v0
	s_delay_alu instid0(VALU_DEP_1) | instskip(NEXT) | instid1(VALU_DEP_1)
	v_mul_lo_u32 v6, v5, s21
	v_sub_nc_u32_e32 v3, v3, v6
	s_delay_alu instid0(VALU_DEP_1) | instskip(SKIP_1) | instid1(VALU_DEP_2)
	v_subrev_nc_u32_e32 v7, s21, v3
	v_cmp_le_u32_e32 vcc_lo, s21, v3
	v_dual_cndmask_b32 v3, v3, v7 :: v_dual_add_nc_u32 v6, 1, v5
	s_delay_alu instid0(VALU_DEP_1) | instskip(SKIP_1) | instid1(VALU_DEP_3)
	v_cndmask_b32_e32 v5, v5, v6, vcc_lo
	v_ashrrev_i32_e32 v6, 31, v1
	v_cmp_le_u32_e32 vcc_lo, s21, v3
	s_delay_alu instid0(VALU_DEP_3) | instskip(NEXT) | instid1(VALU_DEP_3)
	v_add_nc_u32_e32 v7, 1, v5
	v_xor_b32_e32 v6, s26, v6
	s_delay_alu instid0(VALU_DEP_2) | instskip(NEXT) | instid1(VALU_DEP_1)
	v_cndmask_b32_e32 v3, v5, v7, vcc_lo
	v_xor_b32_e32 v7, v3, v6
	v_lshlrev_b32_e32 v3, 1, v6
	s_delay_alu instid0(VALU_DEP_2) | instskip(SKIP_1) | instid1(VALU_DEP_2)
	v_sub_nc_u32_e32 v5, v7, v6
	v_lshlrev_b32_e32 v10, 1, v7
	v_mad_u64_u32 v[8:9], null, s27, v5, v[1:2]
	s_delay_alu instid0(VALU_DEP_2) | instskip(SKIP_1) | instid1(VALU_DEP_2)
	v_sub_nc_u32_e32 v9, v10, v3
	v_ashrrev_i32_e32 v3, 31, v2
	v_or_b32_e32 v10, 1, v9
	v_add_nc_u32_e32 v12, 2, v9
	v_mul_lo_u32 v9, v8, s22
	v_mul_lo_u32 v11, v8, s23
	s_delay_alu instid0(VALU_DEP_4) | instskip(NEXT) | instid1(VALU_DEP_4)
	v_mad_u64_u32 v[13:14], null, s2, v10, v[1:2]
	v_mad_u64_u32 v[14:15], null, s2, v12, v[1:2]
	v_lshlrev_b64 v[15:16], 1, v[2:3]
	v_ashrrev_i32_e32 v10, 31, v9
	v_ashrrev_i32_e32 v12, 31, v11
	v_mul_lo_u32 v8, v13, s22
	v_mul_lo_u32 v13, v13, s23
	;; [unrolled: 1-line block ×3, first 2 shown]
	v_add_co_u32 v21, vcc_lo, s8, v15
	v_add_co_ci_u32_e32 v22, vcc_lo, s9, v16, vcc_lo
	v_lshlrev_b64 v[15:16], 1, v[9:10]
	v_lshlrev_b64 v[10:11], 1, v[11:12]
	v_ashrrev_i32_e32 v9, 31, v8
	v_mul_lo_u32 v19, v14, s23
	v_ashrrev_i32_e32 v18, 31, v17
	v_ashrrev_i32_e32 v14, 31, v13
	v_add_co_u32 v15, vcc_lo, s12, v15
	v_add_co_ci_u32_e32 v16, vcc_lo, s13, v16, vcc_lo
	v_lshlrev_b64 v[8:9], 1, v[8:9]
	v_add_co_u32 v23, vcc_lo, s14, v10
	v_add_co_ci_u32_e32 v24, vcc_lo, s15, v11, vcc_lo
	v_lshlrev_b64 v[10:11], 1, v[17:18]
	v_ashrrev_i32_e32 v20, 31, v19
	v_lshlrev_b64 v[12:13], 1, v[13:14]
	v_add_co_u32 v8, vcc_lo, s12, v8
	v_add_co_ci_u32_e32 v9, vcc_lo, s13, v9, vcc_lo
	s_delay_alu instid0(VALU_DEP_4)
	v_lshlrev_b64 v[17:18], 1, v[19:20]
	v_add_co_u32 v10, vcc_lo, s12, v10
	v_add_co_ci_u32_e32 v11, vcc_lo, s13, v11, vcc_lo
	v_add_co_u32 v12, vcc_lo, s14, v12
	v_add_co_ci_u32_e32 v13, vcc_lo, s15, v13, vcc_lo
	;; [unrolled: 2-line block ×3, first 2 shown]
	s_clause 0x2
	global_load_u16 v14, v[15:16], off
	global_load_u16 v8, v[8:9], off
	;; [unrolled: 1-line block ×3, first 2 shown]
	s_clause 0x2
	global_load_u16 v15, v[23:24], off
	global_load_u16 v9, v[12:13], off
	global_load_u16 v10, v[17:18], off
	global_load_u16 v3, v[21:22], off
	v_mov_b32_e32 v12, 0
	v_mov_b32_e32 v16, 0
	v_dual_mov_b32 v18, 0 :: v_dual_mov_b32 v17, 0
	v_mov_b32_e32 v13, 0
	v_mov_b32_e32 v19, 0
	s_and_not1_b32 vcc_lo, exec_lo, s20
	s_cbranch_vccnz .LBB40_5
; %bb.4:                                ;   in Loop: Header=BB40_3 Depth=1
	v_sub_nc_u32_e32 v16, v6, v7
	v_mad_u64_u32 v[12:13], null, s29, v5, v[1:2]
	s_delay_alu instid0(VALU_DEP_2) | instskip(SKIP_1) | instid1(VALU_DEP_3)
	v_mul_lo_u32 v13, s2, v16
	v_add_nc_u32_e32 v17, 2, v16
	v_mul_lo_u32 v16, v12, s18
	v_mul_lo_u32 v12, v12, s19
	s_delay_alu instid0(VALU_DEP_3) | instskip(SKIP_1) | instid1(VALU_DEP_4)
	v_mad_u64_u32 v[18:19], null, s2, v17, v[1:2]
	v_add3_u32 v20, v13, s2, v1
	v_ashrrev_i32_e32 v17, 31, v16
	s_delay_alu instid0(VALU_DEP_2) | instskip(NEXT) | instid1(VALU_DEP_4)
	v_mul_lo_u32 v19, v20, s18
	v_mul_lo_u32 v21, v18, s18
	;; [unrolled: 1-line block ×4, first 2 shown]
	v_lshlrev_b64 v[16:17], 1, v[16:17]
	v_ashrrev_i32_e32 v13, 31, v12
	v_ashrrev_i32_e32 v20, 31, v19
	;; [unrolled: 1-line block ×3, first 2 shown]
	s_delay_alu instid0(VALU_DEP_4) | instskip(SKIP_1) | instid1(VALU_DEP_4)
	v_add_co_u32 v16, vcc_lo, s4, v16
	v_add_co_ci_u32_e32 v17, vcc_lo, s5, v17, vcc_lo
	v_lshlrev_b64 v[18:19], 1, v[19:20]
	s_delay_alu instid0(VALU_DEP_4)
	v_lshlrev_b64 v[20:21], 1, v[21:22]
	v_lshlrev_b64 v[12:13], 1, v[12:13]
	v_ashrrev_i32_e32 v24, 31, v23
	v_ashrrev_i32_e32 v26, 31, v25
	v_add_co_u32 v27, vcc_lo, s4, v18
	v_add_co_ci_u32_e32 v28, vcc_lo, s5, v19, vcc_lo
	v_add_co_u32 v20, vcc_lo, s4, v20
	v_lshlrev_b64 v[22:23], 1, v[23:24]
	v_add_co_ci_u32_e32 v21, vcc_lo, s5, v21, vcc_lo
	v_add_co_u32 v29, vcc_lo, s6, v12
	v_add_co_ci_u32_e32 v30, vcc_lo, s7, v13, vcc_lo
	v_lshlrev_b64 v[12:13], 1, v[25:26]
	v_add_co_u32 v22, vcc_lo, s6, v22
	v_add_co_ci_u32_e32 v23, vcc_lo, s7, v23, vcc_lo
	s_delay_alu instid0(VALU_DEP_3) | instskip(NEXT) | instid1(VALU_DEP_4)
	v_add_co_u32 v24, vcc_lo, s6, v12
	v_add_co_ci_u32_e32 v25, vcc_lo, s7, v13, vcc_lo
	s_clause 0x2
	global_load_u16 v19, v[16:17], off
	global_load_u16 v13, v[27:28], off
	;; [unrolled: 1-line block ×3, first 2 shown]
	s_clause 0x2
	global_load_u16 v18, v[29:30], off
	global_load_u16 v12, v[22:23], off
	;; [unrolled: 1-line block ×3, first 2 shown]
.LBB40_5:                               ;   in Loop: Header=BB40_3 Depth=1
	s_waitcnt vmcnt(6)
	v_cvt_f32_f16_e32 v14, v14
	s_waitcnt vmcnt(3)
	v_cvt_f32_f16_e32 v15, v15
	v_cvt_f32_f16_e32 v19, v19
	;; [unrolled: 1-line block ×4, first 2 shown]
	s_waitcnt vmcnt(1)
	v_cvt_f32_f16_e32 v10, v10
	v_add_f32_e32 v14, v14, v15
	v_cvt_f32_f16_e32 v15, v18
	s_waitcnt vmcnt(0)
	v_cvt_f32_f16_e32 v16, v16
	s_delay_alu instid0(VALU_DEP_3) | instskip(NEXT) | instid1(VALU_DEP_2)
	v_add_f32_e32 v14, v14, v19
	v_add_f32_e32 v10, v10, v16
	s_delay_alu instid0(VALU_DEP_2) | instskip(NEXT) | instid1(VALU_DEP_1)
	v_add_f32_e32 v14, v14, v15
	v_mul_f32_e32 v15, 0xbfb8aa3b, v14
	v_cmp_nlt_f32_e32 vcc_lo, 0x42ce8ed0, v14
	s_delay_alu instid0(VALU_DEP_2) | instskip(SKIP_1) | instid1(VALU_DEP_1)
	v_fma_f32 v18, 0xbfb8aa3b, v14, -v15
	v_rndne_f32_e32 v19, v15
	v_dual_fmac_f32 v18, 0xb2a5705f, v14 :: v_dual_sub_f32 v15, v15, v19
	s_delay_alu instid0(VALU_DEP_1) | instskip(SKIP_1) | instid1(VALU_DEP_2)
	v_add_f32_e32 v15, v15, v18
	v_cvt_i32_f32_e32 v18, v19
	v_exp_f32_e32 v15, v15
	s_waitcnt_depctr 0xfff
	v_ldexp_f32 v15, v15, v18
	s_delay_alu instid0(VALU_DEP_1) | instskip(SKIP_1) | instid1(VALU_DEP_2)
	v_cndmask_b32_e32 v15, 0, v15, vcc_lo
	v_cmp_ngt_f32_e32 vcc_lo, 0xc2b17218, v14
	v_cndmask_b32_e32 v14, 0x7f800000, v15, vcc_lo
	s_delay_alu instid0(VALU_DEP_1) | instskip(NEXT) | instid1(VALU_DEP_1)
	v_add_f32_e32 v15, 1.0, v14
	v_div_scale_f32 v14, null, v15, v15, 1.0
	v_div_scale_f32 v20, vcc_lo, 1.0, v15, 1.0
	s_delay_alu instid0(VALU_DEP_2) | instskip(SKIP_2) | instid1(VALU_DEP_1)
	v_rcp_f32_e32 v18, v14
	s_waitcnt_depctr 0xfff
	v_fma_f32 v19, -v14, v18, 1.0
	v_fmac_f32_e32 v18, v19, v18
	s_delay_alu instid0(VALU_DEP_1) | instskip(NEXT) | instid1(VALU_DEP_1)
	v_mul_f32_e32 v19, v20, v18
	v_fma_f32 v21, -v14, v19, v20
	s_delay_alu instid0(VALU_DEP_1) | instskip(NEXT) | instid1(VALU_DEP_1)
	v_fmac_f32_e32 v19, v21, v18
	v_fma_f32 v14, -v14, v19, v20
	s_delay_alu instid0(VALU_DEP_1) | instskip(SKIP_1) | instid1(VALU_DEP_2)
	v_div_fmas_f32 v18, v14, v18, v19
	v_add_f32_e32 v14, v11, v17
	v_div_fixup_f32 v11, v18, v15, 1.0
                                        ; implicit-def: $vgpr15
	s_delay_alu instid0(VALU_DEP_1) | instskip(NEXT) | instid1(VALU_DEP_1)
	v_fmac_f32_e32 v14, v10, v11
	v_cmp_ngt_f32_e64 s0, 0x3f200000, |v14|
	s_delay_alu instid0(VALU_DEP_1) | instskip(NEXT) | instid1(SALU_CYCLE_1)
	s_and_saveexec_b32 s34, s0
	s_xor_b32 s0, exec_lo, s34
	s_cbranch_execz .LBB40_7
; %bb.6:                                ;   in Loop: Header=BB40_3 Depth=1
	v_add_f32_e64 v15, |v14|, |v14|
	s_delay_alu instid0(VALU_DEP_1) | instskip(SKIP_1) | instid1(VALU_DEP_2)
	v_mul_f32_e32 v16, 0x3fb8aa3b, v15
	v_cmp_ngt_f32_e32 vcc_lo, 0xc2ce8ed0, v15
	v_rndne_f32_e32 v17, v16
	v_fma_f32 v18, 0x3fb8aa3b, v15, -v16
	s_delay_alu instid0(VALU_DEP_2) | instskip(NEXT) | instid1(VALU_DEP_2)
	v_sub_f32_e32 v16, v16, v17
	v_fmac_f32_e32 v18, 0x32a5705f, v15
	v_cvt_i32_f32_e32 v17, v17
	s_delay_alu instid0(VALU_DEP_2) | instskip(NEXT) | instid1(VALU_DEP_1)
	v_add_f32_e32 v16, v16, v18
	v_exp_f32_e32 v16, v16
	s_waitcnt_depctr 0xfff
	v_ldexp_f32 v16, v16, v17
	s_delay_alu instid0(VALU_DEP_1) | instskip(SKIP_1) | instid1(VALU_DEP_2)
	v_cndmask_b32_e32 v16, 0, v16, vcc_lo
	v_cmp_nlt_f32_e32 vcc_lo, 0x42b17218, v15
	v_cndmask_b32_e32 v15, 0x7f800000, v16, vcc_lo
	s_delay_alu instid0(VALU_DEP_1) | instskip(NEXT) | instid1(VALU_DEP_1)
	v_add_f32_e32 v15, 1.0, v15
	v_rcp_f32_e32 v15, v15
	s_waitcnt_depctr 0xfff
	v_fma_f32 v15, v15, -2.0, 1.0
.LBB40_7:                               ;   in Loop: Header=BB40_3 Depth=1
	s_and_not1_saveexec_b32 s0, s0
	s_cbranch_execz .LBB40_2
; %bb.8:                                ;   in Loop: Header=BB40_3 Depth=1
	v_mul_f32_e32 v15, v14, v14
	s_delay_alu instid0(VALU_DEP_1) | instskip(NEXT) | instid1(VALU_DEP_1)
	v_fmaak_f32 v16, s33, v15, 0x3ca908c9
	v_fmaak_f32 v16, v15, v16, 0xbd5c1c4e
	s_delay_alu instid0(VALU_DEP_1) | instskip(NEXT) | instid1(VALU_DEP_1)
	v_fmaak_f32 v16, v15, v16, 0x3e088382
	v_fmaak_f32 v16, v15, v16, 0xbeaaaa99
	s_delay_alu instid0(VALU_DEP_1) | instskip(NEXT) | instid1(VALU_DEP_1)
	v_mul_f32_e64 v16, |v14|, v16
	v_fma_f32 v15, v15, v16, |v14|
	s_branch .LBB40_2
.LBB40_9:
	s_nop 0
	s_sendmsg sendmsg(MSG_DEALLOC_VGPRS)
	s_endpgm
	.section	.rodata,"a",@progbits
	.p2align	6, 0x0
	.amdhsa_kernel _ZN2at6native12_GLOBAL__N_16kernel16gru_cell_forwardIN3c104HalfEfiLi1EEEvNS_4cuda6detail10TensorInfoIT_T1_EESB_SB_SB_SB_SB_SB_SA_SA_
		.amdhsa_group_segment_fixed_size 0
		.amdhsa_private_segment_fixed_size 0
		.amdhsa_kernarg_size 1776
		.amdhsa_user_sgpr_count 15
		.amdhsa_user_sgpr_dispatch_ptr 0
		.amdhsa_user_sgpr_queue_ptr 0
		.amdhsa_user_sgpr_kernarg_segment_ptr 1
		.amdhsa_user_sgpr_dispatch_id 0
		.amdhsa_user_sgpr_private_segment_size 0
		.amdhsa_wavefront_size32 1
		.amdhsa_uses_dynamic_stack 0
		.amdhsa_enable_private_segment 0
		.amdhsa_system_sgpr_workgroup_id_x 1
		.amdhsa_system_sgpr_workgroup_id_y 0
		.amdhsa_system_sgpr_workgroup_id_z 0
		.amdhsa_system_sgpr_workgroup_info 0
		.amdhsa_system_vgpr_workitem_id 0
		.amdhsa_next_free_vgpr 31
		.amdhsa_next_free_sgpr 35
		.amdhsa_reserve_vcc 1
		.amdhsa_float_round_mode_32 0
		.amdhsa_float_round_mode_16_64 0
		.amdhsa_float_denorm_mode_32 3
		.amdhsa_float_denorm_mode_16_64 3
		.amdhsa_dx10_clamp 1
		.amdhsa_ieee_mode 1
		.amdhsa_fp16_overflow 0
		.amdhsa_workgroup_processor_mode 1
		.amdhsa_memory_ordered 1
		.amdhsa_forward_progress 0
		.amdhsa_shared_vgpr_count 0
		.amdhsa_exception_fp_ieee_invalid_op 0
		.amdhsa_exception_fp_denorm_src 0
		.amdhsa_exception_fp_ieee_div_zero 0
		.amdhsa_exception_fp_ieee_overflow 0
		.amdhsa_exception_fp_ieee_underflow 0
		.amdhsa_exception_fp_ieee_inexact 0
		.amdhsa_exception_int_div_zero 0
	.end_amdhsa_kernel
	.section	.text._ZN2at6native12_GLOBAL__N_16kernel16gru_cell_forwardIN3c104HalfEfiLi1EEEvNS_4cuda6detail10TensorInfoIT_T1_EESB_SB_SB_SB_SB_SB_SA_SA_,"axG",@progbits,_ZN2at6native12_GLOBAL__N_16kernel16gru_cell_forwardIN3c104HalfEfiLi1EEEvNS_4cuda6detail10TensorInfoIT_T1_EESB_SB_SB_SB_SB_SB_SA_SA_,comdat
.Lfunc_end40:
	.size	_ZN2at6native12_GLOBAL__N_16kernel16gru_cell_forwardIN3c104HalfEfiLi1EEEvNS_4cuda6detail10TensorInfoIT_T1_EESB_SB_SB_SB_SB_SB_SA_SA_, .Lfunc_end40-_ZN2at6native12_GLOBAL__N_16kernel16gru_cell_forwardIN3c104HalfEfiLi1EEEvNS_4cuda6detail10TensorInfoIT_T1_EESB_SB_SB_SB_SB_SB_SA_SA_
                                        ; -- End function
	.section	.AMDGPU.csdata,"",@progbits
; Kernel info:
; codeLenInByte = 2288
; NumSgprs: 37
; NumVgprs: 31
; ScratchSize: 0
; MemoryBound: 0
; FloatMode: 240
; IeeeMode: 1
; LDSByteSize: 0 bytes/workgroup (compile time only)
; SGPRBlocks: 4
; VGPRBlocks: 3
; NumSGPRsForWavesPerEU: 37
; NumVGPRsForWavesPerEU: 31
; Occupancy: 16
; WaveLimiterHint : 1
; COMPUTE_PGM_RSRC2:SCRATCH_EN: 0
; COMPUTE_PGM_RSRC2:USER_SGPR: 15
; COMPUTE_PGM_RSRC2:TRAP_HANDLER: 0
; COMPUTE_PGM_RSRC2:TGID_X_EN: 1
; COMPUTE_PGM_RSRC2:TGID_Y_EN: 0
; COMPUTE_PGM_RSRC2:TGID_Z_EN: 0
; COMPUTE_PGM_RSRC2:TIDIG_COMP_CNT: 0
	.section	.text._ZN2at6native12_GLOBAL__N_16kernel16gru_cell_forwardIN3c104HalfEfiLi2EEEvNS_4cuda6detail10TensorInfoIT_T1_EESB_SB_SB_SB_SB_SB_SA_SA_,"axG",@progbits,_ZN2at6native12_GLOBAL__N_16kernel16gru_cell_forwardIN3c104HalfEfiLi2EEEvNS_4cuda6detail10TensorInfoIT_T1_EESB_SB_SB_SB_SB_SB_SA_SA_,comdat
	.globl	_ZN2at6native12_GLOBAL__N_16kernel16gru_cell_forwardIN3c104HalfEfiLi2EEEvNS_4cuda6detail10TensorInfoIT_T1_EESB_SB_SB_SB_SB_SB_SA_SA_ ; -- Begin function _ZN2at6native12_GLOBAL__N_16kernel16gru_cell_forwardIN3c104HalfEfiLi2EEEvNS_4cuda6detail10TensorInfoIT_T1_EESB_SB_SB_SB_SB_SB_SA_SA_
	.p2align	8
	.type	_ZN2at6native12_GLOBAL__N_16kernel16gru_cell_forwardIN3c104HalfEfiLi2EEEvNS_4cuda6detail10TensorInfoIT_T1_EESB_SB_SB_SB_SB_SB_SA_SA_,@function
_ZN2at6native12_GLOBAL__N_16kernel16gru_cell_forwardIN3c104HalfEfiLi2EEEvNS_4cuda6detail10TensorInfoIT_T1_EESB_SB_SB_SB_SB_SB_SA_SA_: ; @_ZN2at6native12_GLOBAL__N_16kernel16gru_cell_forwardIN3c104HalfEfiLi2EEEvNS_4cuda6detail10TensorInfoIT_T1_EESB_SB_SB_SB_SB_SB_SA_SA_
; %bb.0:
	s_clause 0x1
	s_load_b32 s6, s[0:1], 0x5fc
	s_load_b64 s[4:5], s[0:1], 0x5e8
	s_add_u32 s2, s0, 0x5f0
	s_addc_u32 s3, s1, 0
	s_waitcnt lgkmcnt(0)
	s_and_b32 s37, s6, 0xffff
	s_mov_b32 s6, exec_lo
	v_mad_u64_u32 v[1:2], null, s15, s37, v[0:1]
	s_delay_alu instid0(VALU_DEP_1)
	v_cmpx_gt_i32_e64 s5, v1
	s_cbranch_execz .LBB41_9
; %bb.1:
	s_clause 0x2
	s_load_b64 s[6:7], s[0:1], 0x1b0
	s_load_b32 s30, s[0:1], 0xe4
	s_load_b64 s[8:9], s[0:1], 0x144
	s_load_b32 s2, s[2:3], 0x0
	s_clause 0xf
	s_load_b64 s[10:11], s[0:1], 0x0
	s_load_b32 s3, s[0:1], 0xc
	s_load_b32 s53, s[0:1], 0x36c
	s_load_b64 s[12:13], s[0:1], 0x288
	s_load_b32 s31, s[0:1], 0x2f4
	s_load_b64 s[14:15], s[0:1], 0x360
	s_load_b64 s[16:17], s[0:1], 0x3cc
	s_load_b64 s[18:19], s[0:1], 0x438
	s_load_b32 s54, s[0:1], 0x444
	s_load_b32 s33, s[0:1], 0x51c
	s_load_b64 s[20:21], s[0:1], 0x510
	s_load_b64 s[22:23], s[0:1], 0x6c
	;; [unrolled: 1-line block ×3, first 2 shown]
	s_load_b32 s34, s[0:1], 0x21c
	s_load_b64 s[26:27], s[0:1], 0x4a4
	s_load_b64 s[28:29], s[0:1], 0x57c
	s_waitcnt lgkmcnt(0)
	s_cmp_lg_u64 s[6:7], 0
	s_mov_b32 s44, 0
	s_cselect_b32 s35, -1, 0
	s_abs_i32 s36, s4
	s_abs_i32 s40, s30
	v_cvt_f32_u32_e32 v0, s36
	v_cvt_f32_u32_e32 v3, s40
	s_abs_i32 s39, s3
	s_abs_i32 s41, s53
	v_cvt_f32_u32_e32 v2, s39
	v_rcp_iflag_f32_e32 v0, v0
	v_rcp_iflag_f32_e32 v3, v3
	s_abs_i32 s42, s54
	s_abs_i32 s43, s33
	v_rcp_iflag_f32_e32 v2, v2
	v_cvt_f32_u32_e32 v5, s42
	v_cvt_f32_u32_e32 v4, s41
	s_mul_i32 s37, s2, s37
	v_cvt_f32_u32_e32 v6, s43
	s_sub_i32 s2, 0, s40
	s_waitcnt_depctr 0xfff
	v_dual_mul_f32 v0, 0x4f7ffffe, v0 :: v_dual_mul_f32 v3, 0x4f7ffffe, v3
	v_rcp_iflag_f32_e32 v5, v5
	v_rcp_iflag_f32_e32 v4, v4
	;; [unrolled: 1-line block ×3, first 2 shown]
	v_mul_f32_e32 v2, 0x4f7ffffe, v2
	v_cvt_u32_f32_e32 v3, v3
	v_cvt_u32_f32_e32 v0, v0
	s_sub_i32 s0, 0, s36
	s_sub_i32 s1, 0, s39
	s_ashr_i32 s38, s4, 31
	v_mul_lo_u32 v9, s2, v3
	v_mul_f32_e32 v5, 0x4f7ffffe, v5
	v_cvt_u32_f32_e32 v2, v2
	v_mul_f32_e32 v6, 0x4f7ffffe, v6
	v_mul_lo_u32 v7, s0, v0
	s_sub_i32 s0, 0, s41
	v_cvt_u32_f32_e32 v5, v5
	v_mul_lo_u32 v8, s1, v2
	v_mul_hi_u32 v9, v3, v9
	v_mul_f32_e32 v4, 0x4f7ffffe, v4
	v_cvt_u32_f32_e32 v6, v6
	s_sub_i32 s1, 0, s42
	v_mul_hi_u32 v7, v0, v7
	v_mul_lo_u32 v11, s1, v5
	s_ashr_i32 s45, s3, 31
	v_mul_hi_u32 v8, v2, v8
	v_add_nc_u32_e32 v3, v3, v9
	v_cvt_u32_f32_e32 v4, v4
	s_ashr_i32 s46, s30, 31
	s_ashr_i32 s47, s53, 31
	v_add_nc_u32_e32 v0, v0, v7
	s_ashr_i32 s48, s54, 31
	v_mul_lo_u32 v10, s0, v4
	s_sub_i32 s0, 0, s43
	v_add_nc_u32_e32 v2, v2, v8
	v_mul_lo_u32 v12, s0, v6
	s_ashr_i32 s49, s33, 31
	s_lshl_b32 s50, s4, 1
	s_lshl_b32 s51, s4, 2
	s_sub_i32 s52, 0, s4
	v_mul_hi_u32 v7, v4, v10
	v_mul_hi_u32 v10, v5, v11
	s_sub_i32 s53, 0, s53
	v_mul_hi_u32 v8, v6, v12
	s_sub_i32 s54, 0, s54
	s_mov_b32 s55, 0xbbbac73d
	s_delay_alu instid0(VALU_DEP_3) | instskip(NEXT) | instid1(VALU_DEP_3)
	v_add_nc_u32_e32 v4, v4, v7
	v_add_nc_u32_e32 v5, v5, v10
	s_delay_alu instid0(VALU_DEP_3)
	v_add_nc_u32_e32 v6, v6, v8
	s_branch .LBB41_3
.LBB41_2:                               ;   in Loop: Header=BB41_3 Depth=1
	s_or_b32 exec_lo, exec_lo, s0
	v_cvt_f32_f16_e32 v17, v17
	v_cvt_f32_f16_e32 v18, v18
	;; [unrolled: 1-line block ×3, first 2 shown]
	v_lshlrev_b32_e32 v11, 2, v11
	v_mul_lo_u32 v14, s51, v14
	v_xor_b32_e32 v8, s48, v8
	v_add_f32_e32 v17, v17, v18
	v_cvt_f32_f16_e32 v18, v19
	v_lshlrev_b32_e32 v10, 2, v10
	v_mul_hi_u32 v19, v7, v5
	s_delay_alu instid0(VALU_DEP_4) | instskip(NEXT) | instid1(VALU_DEP_3)
	v_add_f32_e32 v17, v17, v20
	v_sub_nc_u32_e32 v10, v11, v10
	s_delay_alu instid0(VALU_DEP_2) | instskip(SKIP_2) | instid1(VALU_DEP_4)
	v_add_f32_e32 v11, v17, v18
	v_add_nc_u32_e32 v17, v1, v14
	v_mul_lo_u32 v18, v19, s42
	v_or_b32_e32 v21, 1, v10
	v_or_b32_e32 v23, 2, v10
	v_mul_f32_e32 v22, 0xbfb8aa3b, v11
	v_or_b32_e32 v24, 3, v10
	v_ashrrev_i32_e32 v17, 31, v17
	v_add_nc_u32_e32 v20, 1, v19
	v_mul_lo_u32 v21, s4, v21
	v_fma_f32 v25, 0xbfb8aa3b, v11, -v22
	v_rndne_f32_e32 v26, v22
	v_add_nc_u32_e32 v10, 4, v10
	v_sub_nc_u32_e32 v7, v7, v18
	v_xor_b32_e32 v27, s49, v17
	s_delay_alu instid0(VALU_DEP_4) | instskip(NEXT) | instid1(VALU_DEP_4)
	v_dual_fmac_f32 v25, 0xb2a5705f, v11 :: v_dual_sub_f32 v22, v22, v26
	v_mul_lo_u32 v18, s4, v10
	v_add3_u32 v10, v17, v14, v1
	v_cmp_le_u32_e32 vcc_lo, s42, v7
	v_cvt_i32_f32_e32 v26, v26
	v_add_f32_e32 v22, v22, v25
	v_mul_lo_u32 v24, s4, v24
	v_xor_b32_e32 v10, v10, v17
	v_cndmask_b32_e32 v19, v19, v20, vcc_lo
	v_subrev_nc_u32_e32 v20, s42, v7
	v_exp_f32_e32 v17, v22
	v_add_nc_u32_e32 v22, v1, v21
	v_mul_hi_u32 v30, v10, v6
	v_add_nc_u32_e32 v29, v1, v18
	v_dual_cndmask_b32 v7, v7, v20 :: v_dual_add_nc_u32 v20, 1, v19
	v_cmp_nlt_f32_e32 vcc_lo, 0x42ce8ed0, v11
	v_ashrrev_i32_e32 v22, 31, v22
	v_mul_lo_u32 v23, s4, v23
	s_delay_alu instid0(TRANS32_DEP_1) | instskip(NEXT) | instid1(VALU_DEP_1)
	v_ldexp_f32 v17, v17, v26
	v_dual_cndmask_b32 v17, 0, v17 :: v_dual_add_nc_u32 v28, v1, v24
	v_cmp_le_u32_e32 vcc_lo, s42, v7
	s_delay_alu instid0(VALU_DEP_2)
	v_ashrrev_i32_e32 v26, 31, v28
	v_ashrrev_i32_e32 v28, 31, v29
	v_mul_lo_u32 v29, v30, s43
	v_cndmask_b32_e32 v7, v19, v20, vcc_lo
	v_cmp_ngt_f32_e32 vcc_lo, 0xc2b17218, v11
	v_xor_b32_e32 v19, s49, v22
	v_cndmask_b32_e32 v11, 0x7f800000, v17, vcc_lo
	v_add3_u32 v17, v22, v21, v1
	v_sub_nc_u32_e32 v10, v10, v29
	s_delay_alu instid0(VALU_DEP_3) | instskip(NEXT) | instid1(VALU_DEP_3)
	v_add_f32_e32 v31, 1.0, v11
	v_xor_b32_e32 v17, v17, v22
	v_add_nc_u32_e32 v11, 1, v30
	s_delay_alu instid0(VALU_DEP_4) | instskip(NEXT) | instid1(VALU_DEP_4)
	v_cmp_le_u32_e32 vcc_lo, s43, v10
	v_div_scale_f32 v22, null, v31, v31, 1.0
	s_delay_alu instid0(VALU_DEP_4) | instskip(NEXT) | instid1(VALU_DEP_4)
	v_mul_hi_u32 v33, v17, v6
	v_cndmask_b32_e32 v11, v30, v11, vcc_lo
	v_subrev_nc_u32_e32 v30, s43, v10
	v_add_nc_u32_e32 v25, v1, v23
	v_rcp_f32_e32 v29, v22
	s_delay_alu instid0(VALU_DEP_2)
	v_cndmask_b32_e32 v10, v10, v30, vcc_lo
	v_add_nc_u32_e32 v36, 1, v33
	v_xor_b32_e32 v7, v7, v8
	v_ashrrev_i32_e32 v25, 31, v25
	v_mul_lo_u32 v35, v33, s43
	v_div_scale_f32 v39, vcc_lo, 1.0, v31, 1.0
	s_delay_alu instid0(VALU_DEP_4) | instskip(NEXT) | instid1(VALU_DEP_4)
	v_sub_nc_u32_e32 v32, v7, v8
	v_add3_u32 v20, v25, v23, v1
	s_delay_alu instid0(TRANS32_DEP_1) | instskip(SKIP_3) | instid1(VALU_DEP_4)
	v_fma_f32 v38, -v22, v29, 1.0
	v_add_nc_u32_e32 v30, 1, v11
	v_cmp_le_u32_e64 s0, s43, v10
	v_mad_u64_u32 v[7:8], null, s54, v32, v[1:2]
	v_fmac_f32_e32 v29, v38, v29
	v_xor_b32_e32 v20, v20, v25
	v_add3_u32 v8, v26, v24, v1
	v_sub_nc_u32_e32 v17, v17, v35
	v_cndmask_b32_e64 v30, v11, v30, s0
	v_mul_f32_e32 v35, v39, v29
	v_mul_hi_u32 v34, v20, v6
	v_mul_lo_u32 v7, v7, s27
	v_cmp_le_u32_e64 s0, s43, v17
	v_xor_b32_e32 v25, s49, v25
	s_delay_alu instid0(VALU_DEP_4) | instskip(NEXT) | instid1(VALU_DEP_4)
	v_mul_lo_u32 v37, v34, s43
	v_mad_u64_u32 v[10:11], null, v32, s26, v[7:8]
	v_fma_f32 v11, -v22, v35, v39
	v_xor_b32_e32 v7, v30, v27
	v_subrev_nc_u32_e32 v32, s43, v17
	v_add_nc_u32_e32 v38, 1, v34
	v_cndmask_b32_e64 v30, v33, v36, s0
	v_sub_nc_u32_e32 v20, v20, v37
	v_fmac_f32_e32 v35, v11, v29
	v_sub_nc_u32_e32 v27, v7, v27
	v_cndmask_b32_e64 v17, v17, v32, s0
	v_ashrrev_i32_e32 v11, 31, v10
	v_cmp_le_u32_e64 s1, s43, v20
	v_fma_f32 v7, -v22, v35, v39
	v_mul_lo_u32 v32, v27, s33
	v_subrev_nc_u32_e32 v22, s43, v20
	v_add3_u32 v36, v28, v18, v1
	v_cndmask_b32_e64 v33, v34, v38, s1
	v_xor_b32_e32 v34, v8, v26
	v_div_fmas_f32 v29, v7, v29, v35
	v_add_nc_u32_e32 v35, 1, v30
	v_cndmask_b32_e64 v20, v20, v22, s1
	v_lshlrev_b64 v[7:8], 1, v[10:11]
	v_sub_nc_u32_e32 v10, v14, v32
	v_mul_hi_u32 v11, v34, v6
	v_add_nc_u32_e32 v14, 1, v33
	v_div_fixup_f32 v22, v29, v31, 1.0
	v_cmp_le_u32_e32 vcc_lo, s43, v17
	v_xor_b32_e32 v29, v36, v28
	v_add_nc_u32_e32 v10, v1, v10
	v_xor_b32_e32 v26, s49, v26
	v_xor_b32_e32 v28, s49, v28
	v_add_nc_u32_e32 v32, 1, v11
	v_cndmask_b32_e32 v17, v30, v35, vcc_lo
	v_mul_hi_u32 v30, v29, v6
	v_cmp_le_u32_e32 vcc_lo, s43, v20
	v_mul_lo_u32 v20, v11, s43
	v_mul_lo_u32 v10, v10, s29
	v_xor_b32_e32 v17, v17, v19
	v_cndmask_b32_e32 v14, v33, v14, vcc_lo
	v_add_co_u32 v7, vcc_lo, s18, v7
	v_mul_lo_u32 v31, v30, s43
	v_sub_nc_u32_e32 v20, v34, v20
	s_delay_alu instid0(VALU_DEP_4) | instskip(SKIP_2) | instid1(VALU_DEP_4)
	v_xor_b32_e32 v14, v14, v25
	v_add_co_ci_u32_e32 v8, vcc_lo, s19, v8, vcc_lo
	v_sub_nc_u32_e32 v17, v17, v19
	v_cmp_le_u32_e32 vcc_lo, s43, v20
	s_delay_alu instid0(VALU_DEP_4) | instskip(SKIP_3) | instid1(VALU_DEP_3)
	v_sub_nc_u32_e32 v19, v14, v25
	v_subrev_nc_u32_e32 v14, s43, v20
	v_sub_nc_u32_e32 v25, v29, v31
	v_add_nc_u32_e32 v29, 1, v30
	v_dual_cndmask_b32 v11, v11, v32 :: v_dual_cndmask_b32 v14, v20, v14
	s_delay_alu instid0(VALU_DEP_3) | instskip(SKIP_1) | instid1(VALU_DEP_3)
	v_subrev_nc_u32_e32 v31, s43, v25
	v_cmp_le_u32_e32 vcc_lo, s43, v25
	v_add_nc_u32_e32 v20, 1, v11
	s_delay_alu instid0(VALU_DEP_4) | instskip(NEXT) | instid1(VALU_DEP_4)
	v_cmp_le_u32_e64 s0, s43, v14
	v_dual_cndmask_b32 v29, v30, v29 :: v_dual_cndmask_b32 v14, v25, v31
	v_mul_lo_u32 v30, v19, s33
	s_delay_alu instid0(VALU_DEP_3) | instskip(SKIP_1) | instid1(VALU_DEP_4)
	v_cndmask_b32_e64 v11, v11, v20, s0
	v_mul_lo_u32 v20, v17, s33
	v_add_nc_u32_e32 v25, 1, v29
	v_cmp_le_u32_e32 vcc_lo, s43, v14
	s_delay_alu instid0(VALU_DEP_4) | instskip(NEXT) | instid1(VALU_DEP_3)
	v_xor_b32_e32 v11, v11, v26
	v_cndmask_b32_e32 v25, v29, v25, vcc_lo
	v_bfi_b32 v29, 0x7fffffff, v16, v15
	s_delay_alu instid0(VALU_DEP_3) | instskip(SKIP_1) | instid1(VALU_DEP_4)
	v_mad_u64_u32 v[14:15], null, v27, s28, v[10:11]
	v_sub_nc_u32_e32 v26, v11, v26
	v_xor_b32_e32 v10, v25, v28
	v_sub_nc_u32_e32 v11, v21, v20
	v_cvt_f32_f16_e32 v15, v9
	v_sub_nc_u32_e32 v16, v23, v30
	v_mul_lo_u32 v20, v26, s33
	v_sub_nc_u32_e32 v21, v10, v28
	s_delay_alu instid0(VALU_DEP_4) | instskip(NEXT) | instid1(VALU_DEP_4)
	v_dual_sub_f32 v11, v15, v29 :: v_dual_add_nc_u32 v10, v1, v11
	v_add_nc_u32_e32 v16, v1, v16
	v_ashrrev_i32_e32 v15, 31, v14
	s_delay_alu instid0(VALU_DEP_4) | instskip(NEXT) | instid1(VALU_DEP_4)
	v_mul_lo_u32 v23, v21, s33
	v_mul_lo_u32 v10, v10, s29
	v_sub_nc_u32_e32 v20, v24, v20
	v_fma_mixlo_f16 v24, v22, v11, v29
	v_mul_lo_u32 v11, v16, s29
	v_cvt_f16_f32_e32 v25, v13
	v_lshlrev_b64 v[13:14], 1, v[14:15]
	v_add_nc_u32_e32 v20, v1, v20
	v_sub_nc_u32_e32 v23, v18, v23
	v_cvt_f16_f32_e32 v22, v22
	v_mad_u64_u32 v[15:16], null, v17, s28, v[10:11]
	v_mad_u64_u32 v[17:18], null, v19, s28, v[11:12]
	s_delay_alu instid0(VALU_DEP_4) | instskip(SKIP_3) | instid1(VALU_DEP_4)
	v_add_nc_u32_e32 v11, v1, v23
	v_mul_lo_u32 v10, v20, s29
	v_add_co_u32 v13, vcc_lo, s20, v13
	v_ashrrev_i32_e32 v16, 31, v15
	v_mul_lo_u32 v11, v11, s29
	v_add_co_ci_u32_e32 v14, vcc_lo, s21, v14, vcc_lo
	global_store_b16 v[7:8], v24, off
	global_store_b16 v[13:14], v25, off
	v_lshlrev_b64 v[7:8], 1, v[15:16]
	v_ashrrev_i32_e32 v18, 31, v17
	v_mad_u64_u32 v[19:20], null, v26, s28, v[10:11]
	v_mad_u64_u32 v[15:16], null, v21, s28, v[11:12]
	s_delay_alu instid0(VALU_DEP_3)
	v_lshlrev_b64 v[13:14], 1, v[17:18]
	v_add_co_u32 v7, vcc_lo, s20, v7
	v_add_co_ci_u32_e32 v8, vcc_lo, s21, v8, vcc_lo
	v_ashrrev_i32_e32 v20, 31, v19
	v_ashrrev_i32_e32 v16, 31, v15
	v_add_co_u32 v13, vcc_lo, s20, v13
	v_add_nc_u32_e32 v1, s37, v1
	s_delay_alu instid0(VALU_DEP_4) | instskip(NEXT) | instid1(VALU_DEP_4)
	v_lshlrev_b64 v[10:11], 1, v[19:20]
	v_lshlrev_b64 v[15:16], 1, v[15:16]
	v_add_co_ci_u32_e32 v14, vcc_lo, s21, v14, vcc_lo
	v_cvt_f16_f32_e32 v17, v29
	v_cvt_f16_f32_e32 v12, v12
	v_add_co_u32 v10, vcc_lo, s20, v10
	v_add_co_ci_u32_e32 v11, vcc_lo, s21, v11, vcc_lo
	v_cmp_le_i32_e32 vcc_lo, s5, v1
	v_add_co_u32 v15, s0, s20, v15
	s_delay_alu instid0(VALU_DEP_1)
	v_add_co_ci_u32_e64 v16, s0, s21, v16, s0
	s_or_b32 s44, vcc_lo, s44
	s_clause 0x3
	global_store_b16 v[7:8], v22, off
	global_store_b16 v[13:14], v17, off
	;; [unrolled: 1-line block ×4, first 2 shown]
	s_and_not1_b32 exec_lo, exec_lo, s44
	s_cbranch_execz .LBB41_9
.LBB41_3:                               ; =>This Inner Loop Header: Depth=1
	v_sub_nc_u32_e32 v7, 0, v1
	s_delay_alu instid0(VALU_DEP_1) | instskip(NEXT) | instid1(VALU_DEP_1)
	v_max_i32_e32 v7, v1, v7
	v_mul_hi_u32 v8, v7, v0
	v_mul_hi_u32 v13, v7, v4
	s_delay_alu instid0(VALU_DEP_2) | instskip(NEXT) | instid1(VALU_DEP_2)
	v_mul_lo_u32 v9, v8, s36
	v_add_nc_u32_e32 v16, 1, v13
	s_delay_alu instid0(VALU_DEP_2) | instskip(NEXT) | instid1(VALU_DEP_1)
	v_sub_nc_u32_e32 v9, v7, v9
	v_subrev_nc_u32_e32 v11, s36, v9
	v_cmp_le_u32_e32 vcc_lo, s36, v9
	s_delay_alu instid0(VALU_DEP_2) | instskip(NEXT) | instid1(VALU_DEP_1)
	v_dual_cndmask_b32 v9, v9, v11 :: v_dual_add_nc_u32 v10, 1, v8
	v_cndmask_b32_e32 v12, v8, v10, vcc_lo
	v_ashrrev_i32_e32 v8, 31, v1
	s_delay_alu instid0(VALU_DEP_3) | instskip(NEXT) | instid1(VALU_DEP_3)
	v_cmp_le_u32_e32 vcc_lo, s36, v9
	v_add_nc_u32_e32 v11, 1, v12
	s_delay_alu instid0(VALU_DEP_3) | instskip(SKIP_1) | instid1(VALU_DEP_3)
	v_xor_b32_e32 v10, s38, v8
	v_xor_b32_e32 v19, s47, v8
	v_cndmask_b32_e32 v9, v12, v11, vcc_lo
	v_mul_lo_u32 v12, v13, s41
	s_delay_alu instid0(VALU_DEP_2) | instskip(NEXT) | instid1(VALU_DEP_2)
	v_xor_b32_e32 v11, v9, v10
	v_sub_nc_u32_e32 v12, v7, v12
	s_delay_alu instid0(VALU_DEP_2) | instskip(SKIP_1) | instid1(VALU_DEP_3)
	v_sub_nc_u32_e32 v14, v11, v10
	v_lshlrev_b32_e32 v15, 1, v11
	v_cmp_le_u32_e32 vcc_lo, s41, v12
	s_delay_alu instid0(VALU_DEP_3) | instskip(SKIP_1) | instid1(VALU_DEP_1)
	v_mul_lo_u32 v18, s50, v14
	v_subrev_nc_u32_e32 v17, s41, v12
	v_dual_cndmask_b32 v13, v13, v16 :: v_dual_cndmask_b32 v12, v12, v17
	s_delay_alu instid0(VALU_DEP_3) | instskip(NEXT) | instid1(VALU_DEP_2)
	v_add_nc_u32_e32 v16, v1, v18
	v_add_nc_u32_e32 v17, 1, v13
	s_delay_alu instid0(VALU_DEP_3) | instskip(NEXT) | instid1(VALU_DEP_3)
	v_cmp_le_u32_e32 vcc_lo, s41, v12
	v_ashrrev_i32_e32 v16, 31, v16
	s_delay_alu instid0(VALU_DEP_1) | instskip(SKIP_1) | instid1(VALU_DEP_2)
	v_add3_u32 v12, v16, v18, v1
	v_xor_b32_e32 v21, s45, v16
	v_xor_b32_e32 v12, v12, v16
	;; [unrolled: 1-line block ×3, first 2 shown]
	s_delay_alu instid0(VALU_DEP_2) | instskip(SKIP_1) | instid1(VALU_DEP_2)
	v_mul_hi_u32 v22, v12, v2
	v_mul_hi_u32 v25, v12, v3
	v_add_nc_u32_e32 v31, 1, v22
	v_lshlrev_b32_e32 v9, 1, v10
	s_delay_alu instid0(VALU_DEP_3) | instskip(SKIP_1) | instid1(VALU_DEP_3)
	v_mul_lo_u32 v29, v25, s40
	v_add_nc_u32_e32 v33, 1, v25
	v_sub_nc_u32_e32 v9, v15, v9
	s_delay_alu instid0(VALU_DEP_1) | instskip(SKIP_1) | instid1(VALU_DEP_2)
	v_or_b32_e32 v15, 1, v9
	v_add_nc_u32_e32 v9, 2, v9
	v_mul_lo_u32 v15, s4, v15
	s_delay_alu instid0(VALU_DEP_2) | instskip(SKIP_1) | instid1(VALU_DEP_3)
	v_mul_lo_u32 v20, s4, v9
	v_cndmask_b32_e32 v9, v13, v17, vcc_lo
	v_add_nc_u32_e32 v13, v1, v15
	s_delay_alu instid0(VALU_DEP_3) | instskip(NEXT) | instid1(VALU_DEP_2)
	v_add_nc_u32_e32 v17, v1, v20
	v_ashrrev_i32_e32 v13, 31, v13
	s_delay_alu instid0(VALU_DEP_2) | instskip(NEXT) | instid1(VALU_DEP_2)
	v_ashrrev_i32_e32 v17, 31, v17
	v_add3_u32 v24, v13, v15, v1
	s_delay_alu instid0(VALU_DEP_2)
	v_add3_u32 v26, v17, v20, v1
	v_xor_b32_e32 v23, s45, v13
	v_xor_b32_e32 v27, s45, v17
	;; [unrolled: 1-line block ×6, first 2 shown]
	v_mul_lo_u32 v26, v22, s39
	s_delay_alu instid0(VALU_DEP_4) | instskip(SKIP_1) | instid1(VALU_DEP_4)
	v_mul_hi_u32 v30, v13, v2
	v_mul_hi_u32 v34, v13, v3
	;; [unrolled: 1-line block ×4, first 2 shown]
	v_sub_nc_u32_e32 v26, v12, v26
	v_sub_nc_u32_e32 v12, v12, v29
	v_mul_lo_u32 v29, v30, s39
	v_add_nc_u32_e32 v36, 1, v30
	v_mul_lo_u32 v37, v32, s39
	v_subrev_nc_u32_e32 v43, s39, v26
	v_cmp_le_u32_e32 vcc_lo, s39, v26
	v_cmp_le_u32_e64 s0, s40, v12
	v_mul_lo_u32 v39, v34, s40
	v_mul_lo_u32 v41, v35, s40
	v_sub_nc_u32_e32 v29, v13, v29
	v_cndmask_b32_e32 v22, v22, v31, vcc_lo
	v_cndmask_b32_e32 v26, v26, v43, vcc_lo
	v_cndmask_b32_e64 v25, v25, v33, s0
	v_subrev_nc_u32_e32 v31, s40, v12
	v_sub_nc_u32_e32 v37, v17, v37
	v_add_nc_u32_e32 v33, 1, v22
	v_cmp_le_u32_e32 vcc_lo, s39, v26
	v_add_nc_u32_e32 v38, 1, v32
	v_cndmask_b32_e64 v12, v12, v31, s0
	v_add_nc_u32_e32 v31, 1, v25
	v_sub_nc_u32_e32 v13, v13, v39
	v_cndmask_b32_e32 v22, v22, v33, vcc_lo
	v_cmp_le_u32_e32 vcc_lo, s39, v29
	v_sub_nc_u32_e32 v17, v17, v41
	v_cmp_le_u32_e64 s0, s39, v37
	v_subrev_nc_u32_e32 v33, s39, v37
	v_cmp_le_u32_e64 s1, s40, v12
	v_cndmask_b32_e32 v26, v30, v36, vcc_lo
	v_subrev_nc_u32_e32 v30, s39, v29
	v_add_nc_u32_e32 v42, 1, v35
	v_add_nc_u32_e32 v40, 1, v34
	v_cndmask_b32_e64 v32, v32, v38, s0
	v_cndmask_b32_e64 v12, v25, v31, s1
	v_cndmask_b32_e32 v29, v29, v30, vcc_lo
	v_cmp_le_u32_e64 s1, s40, v13
	v_subrev_nc_u32_e32 v31, s40, v13
	v_cmp_le_u32_e64 s2, s40, v17
	v_xor_b32_e32 v22, v22, v21
	v_add_nc_u32_e32 v30, 1, v26
	v_cndmask_b32_e64 v33, v37, v33, s0
	v_cmp_le_u32_e32 vcc_lo, s39, v29
	v_cndmask_b32_e64 v25, v34, v40, s1
	v_cndmask_b32_e64 v34, v35, v42, s2
	v_subrev_nc_u32_e32 v35, s40, v17
	v_add_nc_u32_e32 v36, 1, v32
	v_cndmask_b32_e64 v13, v13, v31, s1
	v_sub_nc_u32_e32 v21, v22, v21
	v_cndmask_b32_e32 v22, v26, v30, vcc_lo
	v_cmp_le_u32_e32 vcc_lo, s39, v33
	v_xor_b32_e32 v12, v12, v16
	v_add_nc_u32_e32 v31, 1, v25
	v_cndmask_b32_e64 v17, v17, v35, s2
	v_dual_cndmask_b32 v26, v32, v36 :: v_dual_add_nc_u32 v35, 1, v34
	v_cmp_le_u32_e32 vcc_lo, s40, v13
	v_sub_nc_u32_e32 v29, v12, v16
	v_xor_b32_e32 v16, v22, v23
	v_xor_b32_e32 v9, v9, v19
	;; [unrolled: 1-line block ×3, first 2 shown]
	v_cndmask_b32_e32 v12, v25, v31, vcc_lo
	v_cmp_le_u32_e32 vcc_lo, s40, v17
	v_mul_lo_u32 v17, v21, s3
	v_sub_nc_u32_e32 v23, v16, v23
	v_sub_nc_u32_e32 v26, v22, v27
	v_xor_b32_e32 v12, v12, v28
	v_cndmask_b32_e32 v13, v34, v35, vcc_lo
	v_mul_lo_u32 v25, v29, s30
	v_mul_lo_u32 v16, v23, s3
	v_sub_nc_u32_e32 v30, v9, v19
	v_sub_nc_u32_e32 v27, v12, v28
	v_xor_b32_e32 v13, v13, v24
	v_sub_nc_u32_e32 v12, v18, v17
	v_mul_lo_u32 v17, v26, s3
	s_delay_alu instid0(VALU_DEP_3)
	v_sub_nc_u32_e32 v28, v13, v24
	v_sub_nc_u32_e32 v13, v18, v25
	v_mul_lo_u32 v18, v27, s30
	v_add_nc_u32_e32 v12, v1, v12
	v_sub_nc_u32_e32 v16, v15, v16
	v_sub_nc_u32_e32 v17, v20, v17
	v_mul_lo_u32 v19, v28, s30
	v_add_nc_u32_e32 v13, v1, v13
	v_mul_lo_u32 v9, v12, s23
	v_add_nc_u32_e32 v16, v1, v16
	v_sub_nc_u32_e32 v15, v15, v18
	v_add_nc_u32_e32 v17, v1, v17
	v_mul_lo_u32 v12, v13, s9
	v_sub_nc_u32_e32 v18, v20, v19
	s_delay_alu instid0(VALU_DEP_4) | instskip(SKIP_4) | instid1(VALU_DEP_4)
	v_add_nc_u32_e32 v19, v1, v15
	v_mul_lo_u32 v13, v16, s23
	v_mad_u64_u32 v[15:16], null, v21, s22, v[9:10]
	v_mul_lo_u32 v9, v17, s23
	v_add_nc_u32_e32 v25, v1, v18
	v_mad_u64_u32 v[17:18], null, v29, s8, v[12:13]
	v_mul_lo_u32 v12, v19, s9
	v_mad_u64_u32 v[19:20], null, v23, s22, v[13:14]
	v_mad_u64_u32 v[21:22], null, v26, s22, v[9:10]
	;; [unrolled: 1-line block ×3, first 2 shown]
	v_mul_lo_u32 v9, v25, s9
	v_ashrrev_i32_e32 v16, 31, v15
	v_ashrrev_i32_e32 v20, 31, v19
	v_mad_u64_u32 v[24:25], null, v27, s8, v[12:13]
	v_ashrrev_i32_e32 v22, 31, v21
	s_delay_alu instid0(VALU_DEP_4) | instskip(NEXT) | instid1(VALU_DEP_4)
	v_lshlrev_b64 v[15:16], 1, v[15:16]
	v_lshlrev_b64 v[12:13], 1, v[19:20]
	v_ashrrev_i32_e32 v18, 31, v17
	s_delay_alu instid0(VALU_DEP_4)
	v_lshlrev_b64 v[19:20], 1, v[21:22]
	v_mul_lo_u32 v21, v23, s17
	v_mad_u64_u32 v[22:23], null, v28, s8, v[9:10]
	v_add_co_u32 v15, vcc_lo, s10, v15
	v_add_co_ci_u32_e32 v16, vcc_lo, s11, v16, vcc_lo
	v_add_co_u32 v12, vcc_lo, s10, v12
	s_delay_alu instid0(VALU_DEP_4)
	v_mad_u64_u32 v[26:27], null, v30, s16, v[21:22]
	v_ashrrev_i32_e32 v25, 31, v24
	v_lshlrev_b64 v[17:18], 1, v[17:18]
	v_add_co_ci_u32_e32 v13, vcc_lo, s11, v13, vcc_lo
	v_add_co_u32 v19, vcc_lo, s10, v19
	v_ashrrev_i32_e32 v23, 31, v22
	v_add_co_ci_u32_e32 v20, vcc_lo, s11, v20, vcc_lo
	v_lshlrev_b64 v[24:25], 1, v[24:25]
	v_add_co_u32 v28, vcc_lo, s24, v17
	v_ashrrev_i32_e32 v27, 31, v26
	v_add_co_ci_u32_e32 v29, vcc_lo, s25, v18, vcc_lo
	v_lshlrev_b64 v[17:18], 1, v[22:23]
	v_add_co_u32 v21, vcc_lo, s24, v24
	s_delay_alu instid0(VALU_DEP_4) | instskip(SKIP_1) | instid1(VALU_DEP_4)
	v_lshlrev_b64 v[23:24], 1, v[26:27]
	v_add_co_ci_u32_e32 v22, vcc_lo, s25, v25, vcc_lo
	v_add_co_u32 v25, vcc_lo, s24, v17
	v_add_co_ci_u32_e32 v26, vcc_lo, s25, v18, vcc_lo
	s_delay_alu instid0(VALU_DEP_4)
	v_add_co_u32 v23, vcc_lo, s14, v23
	v_add_co_ci_u32_e32 v24, vcc_lo, s15, v24, vcc_lo
	s_clause 0x2
	global_load_u16 v15, v[15:16], off
	global_load_u16 v17, v[12:13], off
	;; [unrolled: 1-line block ×3, first 2 shown]
	s_clause 0x2
	global_load_u16 v16, v[28:29], off
	global_load_u16 v18, v[21:22], off
	;; [unrolled: 1-line block ×4, first 2 shown]
	v_dual_mov_b32 v24, 0 :: v_dual_mov_b32 v21, 0
	v_mov_b32_e32 v19, 0
	v_dual_mov_b32 v23, 0 :: v_dual_mov_b32 v22, 0
	v_mov_b32_e32 v20, 0
	s_and_not1_b32 vcc_lo, exec_lo, s35
	s_cbranch_vccnz .LBB41_5
; %bb.4:                                ;   in Loop: Header=BB41_3 Depth=1
	v_sub_nc_u32_e32 v21, v10, v11
	v_mad_u64_u32 v[19:20], null, s52, v14, v[1:2]
	s_delay_alu instid0(VALU_DEP_2) | instskip(SKIP_1) | instid1(VALU_DEP_3)
	v_mul_lo_u32 v23, s4, v21
	v_add_nc_u32_e32 v21, 2, v21
	v_mul_lo_u32 v20, v19, s34
	v_mul_lo_u32 v22, v19, s31
	s_delay_alu instid0(VALU_DEP_3) | instskip(SKIP_1) | instid1(VALU_DEP_4)
	v_mad_u64_u32 v[24:25], null, s4, v21, v[1:2]
	v_add3_u32 v26, v23, s4, v1
	v_ashrrev_i32_e32 v21, 31, v20
	s_delay_alu instid0(VALU_DEP_2) | instskip(NEXT) | instid1(VALU_DEP_4)
	v_mul_lo_u32 v19, v26, s34
	v_mul_lo_u32 v25, v24, s34
	v_ashrrev_i32_e32 v23, 31, v22
	v_mul_lo_u32 v27, v26, s31
	v_lshlrev_b64 v[31:32], 1, v[20:21]
	v_mul_lo_u32 v29, v24, s31
	s_delay_alu instid0(VALU_DEP_4) | instskip(SKIP_4) | instid1(VALU_DEP_4)
	v_lshlrev_b64 v[21:22], 1, v[22:23]
	v_ashrrev_i32_e32 v20, 31, v19
	v_ashrrev_i32_e32 v26, 31, v25
	v_add_co_u32 v23, vcc_lo, s6, v31
	v_add_co_ci_u32_e32 v24, vcc_lo, s7, v32, vcc_lo
	v_lshlrev_b64 v[19:20], 1, v[19:20]
	s_delay_alu instid0(VALU_DEP_4) | instskip(SKIP_2) | instid1(VALU_DEP_4)
	v_lshlrev_b64 v[25:26], 1, v[25:26]
	v_ashrrev_i32_e32 v28, 31, v27
	v_ashrrev_i32_e32 v30, 31, v29
	v_add_co_u32 v19, vcc_lo, s6, v19
	v_add_co_ci_u32_e32 v20, vcc_lo, s7, v20, vcc_lo
	v_add_co_u32 v25, vcc_lo, s6, v25
	v_lshlrev_b64 v[27:28], 1, v[27:28]
	v_add_co_ci_u32_e32 v26, vcc_lo, s7, v26, vcc_lo
	v_add_co_u32 v31, vcc_lo, s12, v21
	v_add_co_ci_u32_e32 v32, vcc_lo, s13, v22, vcc_lo
	v_lshlrev_b64 v[21:22], 1, v[29:30]
	v_add_co_u32 v27, vcc_lo, s12, v27
	v_add_co_ci_u32_e32 v28, vcc_lo, s13, v28, vcc_lo
	s_delay_alu instid0(VALU_DEP_3) | instskip(NEXT) | instid1(VALU_DEP_4)
	v_add_co_u32 v29, vcc_lo, s12, v21
	v_add_co_ci_u32_e32 v30, vcc_lo, s13, v22, vcc_lo
	s_clause 0x2
	global_load_u16 v24, v[23:24], off
	global_load_u16 v20, v[19:20], off
	;; [unrolled: 1-line block ×3, first 2 shown]
	s_clause 0x2
	global_load_u16 v23, v[31:32], off
	global_load_u16 v19, v[27:28], off
	;; [unrolled: 1-line block ×3, first 2 shown]
.LBB41_5:                               ;   in Loop: Header=BB41_3 Depth=1
	s_waitcnt vmcnt(6)
	v_cvt_f32_f16_e32 v15, v15
	s_waitcnt vmcnt(3)
	v_cvt_f32_f16_e32 v16, v16
	v_cvt_f32_f16_e32 v24, v24
	;; [unrolled: 1-line block ×4, first 2 shown]
	s_waitcnt vmcnt(1)
	v_cvt_f32_f16_e32 v12, v12
	v_add_f32_e32 v15, v15, v16
	v_cvt_f32_f16_e32 v16, v23
	s_waitcnt vmcnt(0)
	v_cvt_f32_f16_e32 v21, v21
	s_delay_alu instid0(VALU_DEP_1) | instskip(NEXT) | instid1(VALU_DEP_1)
	v_dual_add_f32 v15, v15, v24 :: v_dual_add_f32 v12, v12, v21
	v_add_f32_e32 v15, v15, v16
	s_delay_alu instid0(VALU_DEP_1) | instskip(SKIP_1) | instid1(VALU_DEP_2)
	v_mul_f32_e32 v16, 0xbfb8aa3b, v15
	v_cmp_nlt_f32_e32 vcc_lo, 0x42ce8ed0, v15
	v_fma_f32 v23, 0xbfb8aa3b, v15, -v16
	v_rndne_f32_e32 v24, v16
	s_delay_alu instid0(VALU_DEP_1) | instskip(NEXT) | instid1(VALU_DEP_1)
	v_dual_fmac_f32 v23, 0xb2a5705f, v15 :: v_dual_sub_f32 v16, v16, v24
	v_add_f32_e32 v16, v16, v23
	v_cvt_i32_f32_e32 v23, v24
	s_delay_alu instid0(VALU_DEP_2) | instskip(SKIP_2) | instid1(VALU_DEP_1)
	v_exp_f32_e32 v16, v16
	s_waitcnt_depctr 0xfff
	v_ldexp_f32 v16, v16, v23
	v_cndmask_b32_e32 v16, 0, v16, vcc_lo
	v_cmp_ngt_f32_e32 vcc_lo, 0xc2b17218, v15
	s_delay_alu instid0(VALU_DEP_2) | instskip(NEXT) | instid1(VALU_DEP_1)
	v_cndmask_b32_e32 v15, 0x7f800000, v16, vcc_lo
	v_add_f32_e32 v16, 1.0, v15
	s_delay_alu instid0(VALU_DEP_1) | instskip(SKIP_1) | instid1(VALU_DEP_2)
	v_div_scale_f32 v15, null, v16, v16, 1.0
	v_div_scale_f32 v25, vcc_lo, 1.0, v16, 1.0
	v_rcp_f32_e32 v23, v15
	s_waitcnt_depctr 0xfff
	v_fma_f32 v24, -v15, v23, 1.0
	s_delay_alu instid0(VALU_DEP_1) | instskip(NEXT) | instid1(VALU_DEP_1)
	v_fmac_f32_e32 v23, v24, v23
	v_mul_f32_e32 v24, v25, v23
	s_delay_alu instid0(VALU_DEP_1) | instskip(NEXT) | instid1(VALU_DEP_1)
	v_fma_f32 v26, -v15, v24, v25
	v_fmac_f32_e32 v24, v26, v23
	s_delay_alu instid0(VALU_DEP_1) | instskip(NEXT) | instid1(VALU_DEP_1)
	v_fma_f32 v15, -v15, v24, v25
	v_div_fmas_f32 v23, v15, v23, v24
	v_add_f32_e32 v15, v13, v22
	s_delay_alu instid0(VALU_DEP_2) | instskip(NEXT) | instid1(VALU_DEP_1)
	v_div_fixup_f32 v13, v23, v16, 1.0
                                        ; implicit-def: $vgpr16
	v_fmac_f32_e32 v15, v12, v13
	s_delay_alu instid0(VALU_DEP_1) | instskip(NEXT) | instid1(VALU_DEP_1)
	v_cmp_ngt_f32_e64 s0, 0x3f200000, |v15|
	s_and_saveexec_b32 s1, s0
	s_delay_alu instid0(SALU_CYCLE_1)
	s_xor_b32 s0, exec_lo, s1
	s_cbranch_execz .LBB41_7
; %bb.6:                                ;   in Loop: Header=BB41_3 Depth=1
	v_add_f32_e64 v16, |v15|, |v15|
	s_delay_alu instid0(VALU_DEP_1) | instskip(SKIP_1) | instid1(VALU_DEP_2)
	v_mul_f32_e32 v21, 0x3fb8aa3b, v16
	v_cmp_ngt_f32_e32 vcc_lo, 0xc2ce8ed0, v16
	v_rndne_f32_e32 v22, v21
	v_fma_f32 v23, 0x3fb8aa3b, v16, -v21
	s_delay_alu instid0(VALU_DEP_2) | instskip(NEXT) | instid1(VALU_DEP_2)
	v_sub_f32_e32 v21, v21, v22
	v_fmac_f32_e32 v23, 0x32a5705f, v16
	v_cvt_i32_f32_e32 v22, v22
	s_delay_alu instid0(VALU_DEP_2) | instskip(NEXT) | instid1(VALU_DEP_1)
	v_add_f32_e32 v21, v21, v23
	v_exp_f32_e32 v21, v21
	s_waitcnt_depctr 0xfff
	v_ldexp_f32 v21, v21, v22
	s_delay_alu instid0(VALU_DEP_1) | instskip(SKIP_1) | instid1(VALU_DEP_2)
	v_cndmask_b32_e32 v21, 0, v21, vcc_lo
	v_cmp_nlt_f32_e32 vcc_lo, 0x42b17218, v16
	v_cndmask_b32_e32 v16, 0x7f800000, v21, vcc_lo
	s_delay_alu instid0(VALU_DEP_1) | instskip(NEXT) | instid1(VALU_DEP_1)
	v_add_f32_e32 v16, 1.0, v16
	v_rcp_f32_e32 v16, v16
	s_waitcnt_depctr 0xfff
	v_fma_f32 v16, v16, -2.0, 1.0
.LBB41_7:                               ;   in Loop: Header=BB41_3 Depth=1
	s_and_not1_saveexec_b32 s0, s0
	s_cbranch_execz .LBB41_2
; %bb.8:                                ;   in Loop: Header=BB41_3 Depth=1
	v_mul_f32_e32 v16, v15, v15
	s_delay_alu instid0(VALU_DEP_1) | instskip(NEXT) | instid1(VALU_DEP_1)
	v_fmaak_f32 v21, s55, v16, 0x3ca908c9
	v_fmaak_f32 v21, v16, v21, 0xbd5c1c4e
	s_delay_alu instid0(VALU_DEP_1) | instskip(NEXT) | instid1(VALU_DEP_1)
	v_fmaak_f32 v21, v16, v21, 0x3e088382
	v_fmaak_f32 v21, v16, v21, 0xbeaaaa99
	s_delay_alu instid0(VALU_DEP_1) | instskip(NEXT) | instid1(VALU_DEP_1)
	v_mul_f32_e64 v21, |v15|, v21
	v_fma_f32 v16, v16, v21, |v15|
	s_branch .LBB41_2
.LBB41_9:
	s_nop 0
	s_sendmsg sendmsg(MSG_DEALLOC_VGPRS)
	s_endpgm
	.section	.rodata,"a",@progbits
	.p2align	6, 0x0
	.amdhsa_kernel _ZN2at6native12_GLOBAL__N_16kernel16gru_cell_forwardIN3c104HalfEfiLi2EEEvNS_4cuda6detail10TensorInfoIT_T1_EESB_SB_SB_SB_SB_SB_SA_SA_
		.amdhsa_group_segment_fixed_size 0
		.amdhsa_private_segment_fixed_size 0
		.amdhsa_kernarg_size 1776
		.amdhsa_user_sgpr_count 15
		.amdhsa_user_sgpr_dispatch_ptr 0
		.amdhsa_user_sgpr_queue_ptr 0
		.amdhsa_user_sgpr_kernarg_segment_ptr 1
		.amdhsa_user_sgpr_dispatch_id 0
		.amdhsa_user_sgpr_private_segment_size 0
		.amdhsa_wavefront_size32 1
		.amdhsa_uses_dynamic_stack 0
		.amdhsa_enable_private_segment 0
		.amdhsa_system_sgpr_workgroup_id_x 1
		.amdhsa_system_sgpr_workgroup_id_y 0
		.amdhsa_system_sgpr_workgroup_id_z 0
		.amdhsa_system_sgpr_workgroup_info 0
		.amdhsa_system_vgpr_workitem_id 0
		.amdhsa_next_free_vgpr 44
		.amdhsa_next_free_sgpr 56
		.amdhsa_reserve_vcc 1
		.amdhsa_float_round_mode_32 0
		.amdhsa_float_round_mode_16_64 0
		.amdhsa_float_denorm_mode_32 3
		.amdhsa_float_denorm_mode_16_64 3
		.amdhsa_dx10_clamp 1
		.amdhsa_ieee_mode 1
		.amdhsa_fp16_overflow 0
		.amdhsa_workgroup_processor_mode 1
		.amdhsa_memory_ordered 1
		.amdhsa_forward_progress 0
		.amdhsa_shared_vgpr_count 0
		.amdhsa_exception_fp_ieee_invalid_op 0
		.amdhsa_exception_fp_denorm_src 0
		.amdhsa_exception_fp_ieee_div_zero 0
		.amdhsa_exception_fp_ieee_overflow 0
		.amdhsa_exception_fp_ieee_underflow 0
		.amdhsa_exception_fp_ieee_inexact 0
		.amdhsa_exception_int_div_zero 0
	.end_amdhsa_kernel
	.section	.text._ZN2at6native12_GLOBAL__N_16kernel16gru_cell_forwardIN3c104HalfEfiLi2EEEvNS_4cuda6detail10TensorInfoIT_T1_EESB_SB_SB_SB_SB_SB_SA_SA_,"axG",@progbits,_ZN2at6native12_GLOBAL__N_16kernel16gru_cell_forwardIN3c104HalfEfiLi2EEEvNS_4cuda6detail10TensorInfoIT_T1_EESB_SB_SB_SB_SB_SB_SA_SA_,comdat
.Lfunc_end41:
	.size	_ZN2at6native12_GLOBAL__N_16kernel16gru_cell_forwardIN3c104HalfEfiLi2EEEvNS_4cuda6detail10TensorInfoIT_T1_EESB_SB_SB_SB_SB_SB_SA_SA_, .Lfunc_end41-_ZN2at6native12_GLOBAL__N_16kernel16gru_cell_forwardIN3c104HalfEfiLi2EEEvNS_4cuda6detail10TensorInfoIT_T1_EESB_SB_SB_SB_SB_SB_SA_SA_
                                        ; -- End function
	.section	.AMDGPU.csdata,"",@progbits
; Kernel info:
; codeLenInByte = 4064
; NumSgprs: 58
; NumVgprs: 44
; ScratchSize: 0
; MemoryBound: 0
; FloatMode: 240
; IeeeMode: 1
; LDSByteSize: 0 bytes/workgroup (compile time only)
; SGPRBlocks: 7
; VGPRBlocks: 5
; NumSGPRsForWavesPerEU: 58
; NumVGPRsForWavesPerEU: 44
; Occupancy: 16
; WaveLimiterHint : 1
; COMPUTE_PGM_RSRC2:SCRATCH_EN: 0
; COMPUTE_PGM_RSRC2:USER_SGPR: 15
; COMPUTE_PGM_RSRC2:TRAP_HANDLER: 0
; COMPUTE_PGM_RSRC2:TGID_X_EN: 1
; COMPUTE_PGM_RSRC2:TGID_Y_EN: 0
; COMPUTE_PGM_RSRC2:TGID_Z_EN: 0
; COMPUTE_PGM_RSRC2:TIDIG_COMP_CNT: 0
	.section	.text._ZN2at6native12_GLOBAL__N_16kernel16gru_cell_forwardIN3c104HalfEflLi1EEEvNS_4cuda6detail10TensorInfoIT_T1_EESB_SB_SB_SB_SB_SB_SA_SA_,"axG",@progbits,_ZN2at6native12_GLOBAL__N_16kernel16gru_cell_forwardIN3c104HalfEflLi1EEEvNS_4cuda6detail10TensorInfoIT_T1_EESB_SB_SB_SB_SB_SB_SA_SA_,comdat
	.globl	_ZN2at6native12_GLOBAL__N_16kernel16gru_cell_forwardIN3c104HalfEflLi1EEEvNS_4cuda6detail10TensorInfoIT_T1_EESB_SB_SB_SB_SB_SB_SA_SA_ ; -- Begin function _ZN2at6native12_GLOBAL__N_16kernel16gru_cell_forwardIN3c104HalfEflLi1EEEvNS_4cuda6detail10TensorInfoIT_T1_EESB_SB_SB_SB_SB_SB_SA_SA_
	.p2align	8
	.type	_ZN2at6native12_GLOBAL__N_16kernel16gru_cell_forwardIN3c104HalfEflLi1EEEvNS_4cuda6detail10TensorInfoIT_T1_EESB_SB_SB_SB_SB_SB_SA_SA_,@function
_ZN2at6native12_GLOBAL__N_16kernel16gru_cell_forwardIN3c104HalfEflLi1EEEvNS_4cuda6detail10TensorInfoIT_T1_EESB_SB_SB_SB_SB_SB_SA_SA_: ; @_ZN2at6native12_GLOBAL__N_16kernel16gru_cell_forwardIN3c104HalfEflLi1EEEvNS_4cuda6detail10TensorInfoIT_T1_EESB_SB_SB_SB_SB_SB_SA_SA_
; %bb.0:
	s_clause 0x1
	s_load_b32 s2, s[0:1], 0xb7c
	s_load_b128 s[4:7], s[0:1], 0xb60
	v_mov_b32_e32 v1, 0
	s_add_u32 s8, s0, 0xb70
	s_addc_u32 s9, s1, 0
	s_waitcnt lgkmcnt(0)
	s_and_b32 s26, s2, 0xffff
	s_mov_b32 s2, exec_lo
	v_mad_u64_u32 v[3:4], null, s15, s26, v[0:1]
	v_mov_b32_e32 v4, v1
	s_delay_alu instid0(VALU_DEP_1)
	v_cmpx_gt_i64_e64 s[6:7], v[3:4]
	s_cbranch_execz .LBB42_13
; %bb.1:
	s_clause 0x2
	s_load_b64 s[30:31], s[0:1], 0x750
	s_load_b64 s[34:35], s[0:1], 0x680
	;; [unrolled: 1-line block ×3, first 2 shown]
	s_load_b32 s27, s[8:9], 0x0
	s_clause 0x5
	s_load_b64 s[36:37], s[0:1], 0x8f0
	s_load_b64 s[38:39], s[0:1], 0x820
	s_load_b64 s[8:9], s[0:1], 0x0
	s_load_b64 s[10:11], s[0:1], 0xd0
	s_load_b64 s[12:13], s[0:1], 0x1a0
	s_load_b64 s[14:15], s[0:1], 0x270
	v_cvt_f32_u32_e32 v0, s4
	s_clause 0x4
	s_load_b64 s[16:17], s[0:1], 0x410
	s_load_b64 s[18:19], s[0:1], 0x4e0
	;; [unrolled: 1-line block ×5, first 2 shown]
	s_mov_b32 s1, 0
	v_rcp_iflag_f32_e32 v0, v0
	s_waitcnt lgkmcnt(0)
	v_mul_lo_u32 v2, 0, s30
	v_mul_lo_u32 v7, v3, s31
	v_mad_u64_u32 v[5:6], null, v3, s30, 0
	v_mul_lo_u32 v9, 0, s36
	s_waitcnt_depctr 0xfff
	v_mul_f32_e32 v0, 0x4f7ffffe, v0
	s_cmp_lg_u64 s[2:3], 0
	s_mul_i32 s33, s27, s26
	s_cselect_b32 s40, -1, 0
	s_lshl_b64 s[26:27], s[4:5], 1
	v_add3_u32 v6, v6, v7, v2
	v_mul_lo_u32 v2, v3, s37
	v_mad_u64_u32 v[7:8], null, v3, s36, 0
	v_cvt_u32_f32_e32 v0, v0
	s_lshl_b64 s[28:29], s[4:5], 2
	s_sub_u32 s41, 0, s4
	s_subb_u32 s42, 0, s5
	s_sub_i32 s43, 0, s4
	v_lshlrev_b64 v[5:6], 1, v[5:6]
	s_delay_alu instid0(VALU_DEP_3)
	v_add3_u32 v8, v8, v2, v9
	v_mul_lo_u32 v2, s43, v0
	s_mul_i32 s0, s33, s31
	s_mul_hi_u32 s31, s33, s30
	s_mul_i32 s30, s33, s30
	v_lshlrev_b64 v[7:8], 1, v[7:8]
	v_add_co_u32 v5, vcc_lo, s34, v5
	v_add_co_ci_u32_e32 v6, vcc_lo, s35, v6, vcc_lo
	s_delay_alu instid0(VALU_DEP_4) | instskip(NEXT) | instid1(VALU_DEP_4)
	v_mul_hi_u32 v2, v0, v2
	v_add_co_u32 v7, vcc_lo, s38, v7
	s_add_i32 s31, s31, s0
	s_mul_i32 s0, s33, s37
	s_mul_hi_u32 s34, s33, s36
	v_add_co_ci_u32_e32 v8, vcc_lo, s39, v8, vcc_lo
	s_delay_alu instid0(VALU_DEP_3)
	v_add_nc_u32_e32 v0, v0, v2
	s_add_i32 s35, s34, s0
	s_mul_i32 s34, s33, s36
	s_lshl_b64 s[30:31], s[30:31], 1
	s_lshl_b64 s[34:35], s[34:35], 1
	s_ashr_i32 s36, s5, 31
	s_mov_b32 s43, 0xbbbac73d
	s_branch .LBB42_3
.LBB42_2:                               ;   in Loop: Header=BB42_3 Depth=1
	s_or_b32 exec_lo, exec_lo, s0
	v_cvt_f32_f16_e32 v11, v11
	v_cvt_f32_f16_e32 v12, v12
	;; [unrolled: 1-line block ×3, first 2 shown]
	s_waitcnt_depctr 0xfff
	v_bfi_b32 v21, 0x7fffffff, v16, v15
	v_cvt_f32_f16_e32 v15, v2
	v_cvt_f16_f32_e32 v22, v14
	v_add_f32_e32 v11, v11, v12
	v_cvt_f32_f16_e32 v12, v17
	v_cvt_f16_f32_e32 v23, v13
	v_mul_lo_u32 v17, s28, v10
	v_cvt_f16_f32_e32 v25, v21
	v_add_f32_e32 v11, v11, v18
	v_mul_lo_u32 v18, s29, v9
	s_delay_alu instid0(VALU_DEP_2) | instskip(SKIP_2) | instid1(VALU_DEP_3)
	v_add_f32_e32 v19, v11, v12
	v_mad_u64_u32 v[11:12], null, s28, v9, v[3:4]
	v_lshlrev_b64 v[9:10], 2, v[9:10]
	v_mul_f32_e32 v20, 0xbfb8aa3b, v19
	s_delay_alu instid0(VALU_DEP_2) | instskip(NEXT) | instid1(VALU_DEP_2)
	v_add_co_u32 v28, vcc_lo, v9, 4
	v_fma_f32 v14, 0xbfb8aa3b, v19, -v20
	v_rndne_f32_e32 v16, v20
	v_sub_f32_e32 v24, v15, v21
	v_or_b32_e32 v15, 1, v9
	v_add3_u32 v30, v18, v12, v17
	s_delay_alu instid0(VALU_DEP_4)
	v_dual_fmac_f32 v14, 0xb2a5705f, v19 :: v_dual_sub_f32 v13, v20, v16
	v_mul_lo_u32 v26, s4, v10
	v_or_b32_e32 v20, 2, v9
	v_or_b32_e32 v27, 3, v9
	v_add_co_ci_u32_e32 v29, vcc_lo, 0, v10, vcc_lo
	v_add_f32_e32 v13, v13, v14
	v_mul_lo_u32 v31, v11, s25
	v_mad_u64_u32 v[9:10], null, v11, s24, 0
	v_mul_lo_u32 v32, s5, v15
	s_delay_alu instid0(VALU_DEP_4)
	v_exp_f32_e32 v17, v13
	v_mad_u64_u32 v[11:12], null, s4, v15, v[3:4]
	v_cvt_i32_f32_e32 v15, v16
	v_cmp_nlt_f32_e32 vcc_lo, 0x42ce8ed0, v19
	v_mul_lo_u32 v33, s5, v20
	v_mad_u64_u32 v[13:14], null, s4, v20, v[3:4]
	v_mul_lo_u32 v34, s5, v27
	v_mul_lo_u32 v30, v30, s24
	s_delay_alu instid0(TRANS32_DEP_1) | instskip(SKIP_3) | instid1(VALU_DEP_4)
	v_ldexp_f32 v17, v17, v15
	v_mad_u64_u32 v[15:16], null, s4, v27, v[3:4]
	v_mul_lo_u32 v27, s4, v29
	v_mul_lo_u32 v29, s5, v28
	v_cndmask_b32_e32 v20, 0, v17, vcc_lo
	v_cmp_ngt_f32_e32 vcc_lo, 0xc2b17218, v19
	v_mad_u64_u32 v[17:18], null, s4, v28, v[3:4]
	v_add3_u32 v32, v32, v12, v26
	v_mul_lo_u32 v35, v11, s25
	v_cndmask_b32_e32 v19, 0x7f800000, v20, vcc_lo
	v_add3_u32 v33, v33, v14, v26
	v_mul_lo_u32 v37, v13, s25
	v_add3_u32 v26, v34, v16, v26
	v_mul_lo_u32 v34, v15, s25
	v_add_f32_e32 v28, 1.0, v19
	v_mad_u64_u32 v[19:20], null, v11, s24, 0
	v_mad_u64_u32 v[11:12], null, v13, s24, 0
	s_delay_alu instid0(VALU_DEP_3) | instskip(SKIP_2) | instid1(VALU_DEP_3)
	v_div_scale_f32 v36, null, v28, v28, 1.0
	v_mad_u64_u32 v[13:14], null, v15, s24, 0
	v_add3_u32 v18, v29, v18, v27
	v_rcp_f32_e32 v38, v36
	v_mul_lo_u32 v27, v17, s25
	v_mad_u64_u32 v[15:16], null, v17, s24, 0
	v_add_co_u32 v3, vcc_lo, v3, s33
	v_add_co_ci_u32_e32 v4, vcc_lo, 0, v4, vcc_lo
	v_add3_u32 v10, v10, v31, v30
	v_div_scale_f32 v30, vcc_lo, 1.0, v28, 1.0
	s_delay_alu instid0(TRANS32_DEP_1)
	v_fma_f32 v17, -v36, v38, 1.0
	v_mul_lo_u32 v29, v32, s24
	v_mul_lo_u32 v26, v26, s24
	;; [unrolled: 1-line block ×3, first 2 shown]
	v_lshlrev_b64 v[9:10], 1, v[9:10]
	v_fmac_f32_e32 v38, v17, v38
	v_mul_lo_u32 v17, v33, s24
	v_add3_u32 v20, v20, v35, v29
	s_delay_alu instid0(VALU_DEP_3) | instskip(SKIP_3) | instid1(VALU_DEP_4)
	v_mul_f32_e32 v31, v30, v38
	v_add3_u32 v14, v14, v34, v26
	v_add3_u32 v16, v16, v27, v18
	v_add_co_u32 v9, s0, s22, v9
	v_fma_f32 v32, -v36, v31, v30
	v_add3_u32 v12, v12, v37, v17
	v_lshlrev_b64 v[17:18], 1, v[19:20]
	v_lshlrev_b64 v[13:14], 1, v[13:14]
	;; [unrolled: 1-line block ×3, first 2 shown]
	v_fmac_f32_e32 v31, v32, v38
	v_lshlrev_b64 v[11:12], 1, v[11:12]
	v_add_co_ci_u32_e64 v10, s0, s23, v10, s0
	v_add_co_u32 v17, s0, s22, v17
	s_delay_alu instid0(VALU_DEP_4) | instskip(SKIP_1) | instid1(VALU_DEP_2)
	v_fma_f32 v19, -v36, v31, v30
	v_add_co_ci_u32_e64 v18, s0, s23, v18, s0
	v_div_fmas_f32 v19, v19, v38, v31
	v_add_co_u32 v11, vcc_lo, s22, v11
	v_add_co_ci_u32_e32 v12, vcc_lo, s23, v12, vcc_lo
	s_delay_alu instid0(VALU_DEP_3) | instskip(SKIP_3) | instid1(VALU_DEP_4)
	v_div_fixup_f32 v19, v19, v28, 1.0
	v_add_co_u32 v13, vcc_lo, s22, v13
	v_add_co_ci_u32_e32 v14, vcc_lo, s23, v14, vcc_lo
	v_add_co_u32 v15, vcc_lo, s22, v15
	v_fma_mixlo_f16 v20, v19, v24, v21
	v_add_co_ci_u32_e32 v16, vcc_lo, s23, v16, vcc_lo
	v_add_co_u32 v5, vcc_lo, v5, s30
	v_cvt_f16_f32_e32 v19, v19
	v_add_co_ci_u32_e32 v6, vcc_lo, s31, v6, vcc_lo
	v_cmp_le_i64_e32 vcc_lo, s[6:7], v[3:4]
	global_store_b16 v[7:8], v20, off
	s_clause 0x1
	global_store_b16 v[9:10], v22, off
	global_store_b16 v[17:18], v19, off
	v_add_co_u32 v7, s0, v7, s34
	s_delay_alu instid0(VALU_DEP_1)
	v_add_co_ci_u32_e64 v8, s0, s35, v8, s0
	s_or_b32 s1, vcc_lo, s1
	s_clause 0x2
	global_store_b16 v[11:12], v25, off
	global_store_b16 v[13:14], v2, off
	global_store_b16 v[15:16], v23, off
	s_and_not1_b32 exec_lo, exec_lo, s1
	s_cbranch_execz .LBB42_13
.LBB42_3:                               ; =>This Inner Loop Header: Depth=1
	v_or_b32_e32 v2, s5, v4
                                        ; implicit-def: $vgpr9_vgpr10
	s_mov_b32 s0, exec_lo
	s_delay_alu instid0(VALU_DEP_1)
	v_cmpx_ne_u64_e32 0, v[1:2]
	s_xor_b32 s44, exec_lo, s0
	s_cbranch_execz .LBB42_5
; %bb.4:                                ;   in Loop: Header=BB42_3 Depth=1
	s_add_u32 s38, s4, s36
	s_mov_b32 s37, s36
	s_addc_u32 s39, s5, s36
	s_delay_alu instid0(SALU_CYCLE_1) | instskip(NEXT) | instid1(SALU_CYCLE_1)
	s_xor_b64 s[38:39], s[38:39], s[36:37]
	v_cvt_f32_u32_e32 v2, s38
	v_cvt_f32_u32_e32 v9, s39
	s_sub_u32 s0, 0, s38
	s_subb_u32 s37, 0, s39
	s_delay_alu instid0(VALU_DEP_1) | instskip(NEXT) | instid1(VALU_DEP_1)
	v_fmac_f32_e32 v2, 0x4f800000, v9
	v_rcp_f32_e32 v2, v2
	s_waitcnt_depctr 0xfff
	v_mul_f32_e32 v2, 0x5f7ffffc, v2
	s_delay_alu instid0(VALU_DEP_1) | instskip(NEXT) | instid1(VALU_DEP_1)
	v_mul_f32_e32 v9, 0x2f800000, v2
	v_trunc_f32_e32 v9, v9
	s_delay_alu instid0(VALU_DEP_1) | instskip(SKIP_1) | instid1(VALU_DEP_2)
	v_fmac_f32_e32 v2, 0xcf800000, v9
	v_cvt_u32_f32_e32 v9, v9
	v_cvt_u32_f32_e32 v2, v2
	s_delay_alu instid0(VALU_DEP_2) | instskip(NEXT) | instid1(VALU_DEP_2)
	v_mul_lo_u32 v10, s0, v9
	v_mul_hi_u32 v11, s0, v2
	v_mul_lo_u32 v12, s37, v2
	s_delay_alu instid0(VALU_DEP_2) | instskip(SKIP_1) | instid1(VALU_DEP_2)
	v_add_nc_u32_e32 v10, v11, v10
	v_mul_lo_u32 v11, s0, v2
	v_add_nc_u32_e32 v10, v10, v12
	s_delay_alu instid0(VALU_DEP_2) | instskip(NEXT) | instid1(VALU_DEP_2)
	v_mul_hi_u32 v12, v2, v11
	v_mul_lo_u32 v13, v2, v10
	v_mul_hi_u32 v14, v2, v10
	v_mul_hi_u32 v15, v9, v11
	v_mul_lo_u32 v11, v9, v11
	v_mul_hi_u32 v16, v9, v10
	v_mul_lo_u32 v10, v9, v10
	v_add_co_u32 v12, vcc_lo, v12, v13
	v_add_co_ci_u32_e32 v13, vcc_lo, 0, v14, vcc_lo
	s_delay_alu instid0(VALU_DEP_2) | instskip(NEXT) | instid1(VALU_DEP_2)
	v_add_co_u32 v11, vcc_lo, v12, v11
	v_add_co_ci_u32_e32 v11, vcc_lo, v13, v15, vcc_lo
	v_add_co_ci_u32_e32 v12, vcc_lo, 0, v16, vcc_lo
	v_ashrrev_i32_e32 v15, 31, v4
	s_delay_alu instid0(VALU_DEP_3) | instskip(NEXT) | instid1(VALU_DEP_3)
	v_add_co_u32 v10, vcc_lo, v11, v10
	v_add_co_ci_u32_e32 v11, vcc_lo, 0, v12, vcc_lo
	s_delay_alu instid0(VALU_DEP_2) | instskip(NEXT) | instid1(VALU_DEP_2)
	v_add_co_u32 v2, vcc_lo, v2, v10
	v_add_co_ci_u32_e32 v9, vcc_lo, v9, v11, vcc_lo
	s_delay_alu instid0(VALU_DEP_2) | instskip(SKIP_1) | instid1(VALU_DEP_3)
	v_mul_hi_u32 v10, s0, v2
	v_mul_lo_u32 v12, s37, v2
	v_mul_lo_u32 v11, s0, v9
	s_delay_alu instid0(VALU_DEP_1) | instskip(SKIP_1) | instid1(VALU_DEP_2)
	v_add_nc_u32_e32 v10, v10, v11
	v_mul_lo_u32 v11, s0, v2
	v_add_nc_u32_e32 v10, v10, v12
	s_delay_alu instid0(VALU_DEP_2) | instskip(NEXT) | instid1(VALU_DEP_2)
	v_mul_hi_u32 v12, v2, v11
	v_mul_lo_u32 v13, v2, v10
	v_mul_hi_u32 v14, v2, v10
	v_mul_hi_u32 v16, v9, v11
	v_mul_lo_u32 v11, v9, v11
	v_mul_hi_u32 v17, v9, v10
	v_mul_lo_u32 v10, v9, v10
	v_add_co_u32 v12, vcc_lo, v12, v13
	v_add_co_ci_u32_e32 v13, vcc_lo, 0, v14, vcc_lo
	s_delay_alu instid0(VALU_DEP_2) | instskip(NEXT) | instid1(VALU_DEP_2)
	v_add_co_u32 v11, vcc_lo, v12, v11
	v_add_co_ci_u32_e32 v11, vcc_lo, v13, v16, vcc_lo
	v_add_co_ci_u32_e32 v12, vcc_lo, 0, v17, vcc_lo
	v_add_co_u32 v13, vcc_lo, v3, v15
	v_add_co_ci_u32_e32 v14, vcc_lo, v4, v15, vcc_lo
	s_delay_alu instid0(VALU_DEP_4) | instskip(NEXT) | instid1(VALU_DEP_4)
	v_add_co_u32 v10, vcc_lo, v11, v10
	v_add_co_ci_u32_e32 v11, vcc_lo, 0, v12, vcc_lo
	s_delay_alu instid0(VALU_DEP_4) | instskip(NEXT) | instid1(VALU_DEP_3)
	v_xor_b32_e32 v16, v13, v15
	v_add_co_u32 v2, vcc_lo, v2, v10
	s_delay_alu instid0(VALU_DEP_3) | instskip(SKIP_1) | instid1(VALU_DEP_3)
	v_add_co_ci_u32_e32 v17, vcc_lo, v9, v11, vcc_lo
	v_xor_b32_e32 v18, v14, v15
	v_mul_hi_u32 v19, v16, v2
	s_delay_alu instid0(VALU_DEP_3) | instskip(NEXT) | instid1(VALU_DEP_3)
	v_mad_u64_u32 v[9:10], null, v16, v17, 0
	v_mad_u64_u32 v[11:12], null, v18, v2, 0
	;; [unrolled: 1-line block ×3, first 2 shown]
	s_delay_alu instid0(VALU_DEP_3) | instskip(NEXT) | instid1(VALU_DEP_4)
	v_add_co_u32 v2, vcc_lo, v19, v9
	v_add_co_ci_u32_e32 v9, vcc_lo, 0, v10, vcc_lo
	s_delay_alu instid0(VALU_DEP_2) | instskip(NEXT) | instid1(VALU_DEP_2)
	v_add_co_u32 v2, vcc_lo, v2, v11
	v_add_co_ci_u32_e32 v2, vcc_lo, v9, v12, vcc_lo
	v_add_co_ci_u32_e32 v9, vcc_lo, 0, v14, vcc_lo
	s_delay_alu instid0(VALU_DEP_2) | instskip(NEXT) | instid1(VALU_DEP_2)
	v_add_co_u32 v2, vcc_lo, v2, v13
	v_add_co_ci_u32_e32 v11, vcc_lo, 0, v9, vcc_lo
	s_delay_alu instid0(VALU_DEP_2) | instskip(SKIP_1) | instid1(VALU_DEP_3)
	v_mul_lo_u32 v12, s39, v2
	v_mad_u64_u32 v[9:10], null, s38, v2, 0
	v_mul_lo_u32 v13, s38, v11
	s_delay_alu instid0(VALU_DEP_2) | instskip(NEXT) | instid1(VALU_DEP_2)
	v_sub_co_u32 v9, vcc_lo, v16, v9
	v_add3_u32 v10, v10, v13, v12
	s_delay_alu instid0(VALU_DEP_1) | instskip(NEXT) | instid1(VALU_DEP_1)
	v_sub_nc_u32_e32 v12, v18, v10
	v_subrev_co_ci_u32_e64 v12, s0, s39, v12, vcc_lo
	v_add_co_u32 v13, s0, v2, 2
	s_delay_alu instid0(VALU_DEP_1) | instskip(SKIP_3) | instid1(VALU_DEP_3)
	v_add_co_ci_u32_e64 v14, s0, 0, v11, s0
	v_sub_co_u32 v16, s0, v9, s38
	v_sub_co_ci_u32_e32 v10, vcc_lo, v18, v10, vcc_lo
	v_subrev_co_ci_u32_e64 v12, s0, 0, v12, s0
	v_cmp_le_u32_e32 vcc_lo, s38, v16
	s_delay_alu instid0(VALU_DEP_3) | instskip(SKIP_1) | instid1(VALU_DEP_4)
	v_cmp_eq_u32_e64 s0, s39, v10
	v_cndmask_b32_e64 v16, 0, -1, vcc_lo
	v_cmp_le_u32_e32 vcc_lo, s39, v12
	v_cndmask_b32_e64 v17, 0, -1, vcc_lo
	v_cmp_le_u32_e32 vcc_lo, s38, v9
	;; [unrolled: 2-line block ×3, first 2 shown]
	v_cndmask_b32_e64 v18, 0, -1, vcc_lo
	v_cmp_eq_u32_e32 vcc_lo, s39, v12
	s_delay_alu instid0(VALU_DEP_2) | instskip(SKIP_3) | instid1(VALU_DEP_3)
	v_cndmask_b32_e64 v9, v18, v9, s0
	v_cndmask_b32_e32 v12, v17, v16, vcc_lo
	v_add_co_u32 v16, vcc_lo, v2, 1
	v_add_co_ci_u32_e32 v17, vcc_lo, 0, v11, vcc_lo
	v_cmp_ne_u32_e32 vcc_lo, 0, v12
	s_delay_alu instid0(VALU_DEP_2) | instskip(NEXT) | instid1(VALU_DEP_4)
	v_cndmask_b32_e32 v10, v17, v14, vcc_lo
	v_cndmask_b32_e32 v12, v16, v13, vcc_lo
	v_cmp_ne_u32_e32 vcc_lo, 0, v9
	v_xor_b32_e32 v13, s36, v15
	s_delay_alu instid0(VALU_DEP_3) | instskip(NEXT) | instid1(VALU_DEP_1)
	v_dual_cndmask_b32 v2, v2, v12 :: v_dual_cndmask_b32 v9, v11, v10
	v_xor_b32_e32 v2, v2, v13
	s_delay_alu instid0(VALU_DEP_2) | instskip(NEXT) | instid1(VALU_DEP_2)
	v_xor_b32_e32 v10, v9, v13
	v_sub_co_u32 v9, vcc_lo, v2, v13
	s_delay_alu instid0(VALU_DEP_2)
	v_sub_co_ci_u32_e32 v10, vcc_lo, v10, v13, vcc_lo
.LBB42_5:                               ;   in Loop: Header=BB42_3 Depth=1
	s_and_not1_saveexec_b32 s0, s44
; %bb.6:                                ;   in Loop: Header=BB42_3 Depth=1
	v_mul_hi_u32 v2, v3, v0
	s_delay_alu instid0(VALU_DEP_1) | instskip(NEXT) | instid1(VALU_DEP_1)
	v_mul_lo_u32 v9, v2, s4
	v_sub_nc_u32_e32 v9, v3, v9
	s_delay_alu instid0(VALU_DEP_1) | instskip(SKIP_1) | instid1(VALU_DEP_2)
	v_subrev_nc_u32_e32 v11, s4, v9
	v_cmp_le_u32_e32 vcc_lo, s4, v9
	v_dual_cndmask_b32 v9, v9, v11 :: v_dual_add_nc_u32 v10, 1, v2
	s_delay_alu instid0(VALU_DEP_1) | instskip(NEXT) | instid1(VALU_DEP_2)
	v_cndmask_b32_e32 v2, v2, v10, vcc_lo
	v_cmp_le_u32_e32 vcc_lo, s4, v9
	s_delay_alu instid0(VALU_DEP_2) | instskip(NEXT) | instid1(VALU_DEP_1)
	v_add_nc_u32_e32 v10, 1, v2
	v_dual_cndmask_b32 v9, v2, v10 :: v_dual_mov_b32 v10, v1
; %bb.7:                                ;   in Loop: Header=BB42_3 Depth=1
	s_or_b32 exec_lo, exec_lo, s0
	s_delay_alu instid0(VALU_DEP_1) | instskip(SKIP_3) | instid1(VALU_DEP_4)
	v_lshlrev_b64 v[13:14], 1, v[9:10]
	v_mad_u64_u32 v[11:12], null, s26, v9, v[3:4]
	v_mul_lo_u32 v2, s26, v10
	v_mul_lo_u32 v15, s27, v9
	v_or_b32_e32 v17, 1, v13
	v_mul_lo_u32 v18, s4, v14
	v_add_co_u32 v21, vcc_lo, v13, 2
	v_mul_lo_u32 v19, v11, s11
	s_delay_alu instid0(VALU_DEP_4) | instskip(SKIP_3) | instid1(VALU_DEP_3)
	v_mul_lo_u32 v20, s5, v17
	v_add3_u32 v2, v15, v12, v2
	v_mad_u64_u32 v[15:16], null, s4, v17, v[3:4]
	v_mad_u64_u32 v[12:13], null, v11, s10, 0
	v_mul_lo_u32 v22, v2, s10
	v_add_co_ci_u32_e32 v14, vcc_lo, 0, v14, vcc_lo
	v_mul_lo_u32 v26, v11, s15
	v_add3_u32 v23, v20, v16, v18
	v_mul_lo_u32 v20, s5, v21
	s_delay_alu instid0(VALU_DEP_4)
	v_mul_lo_u32 v14, s4, v14
	v_mad_u64_u32 v[16:17], null, s4, v21, v[3:4]
	v_add3_u32 v13, v13, v19, v22
	v_mul_lo_u32 v21, v23, s10
	v_mul_lo_u32 v22, v15, s11
	v_mad_u64_u32 v[18:19], null, v15, s10, 0
	v_mul_lo_u32 v2, v2, s14
	v_add3_u32 v25, v20, v17, v14
	v_mul_lo_u32 v24, v16, s11
	v_lshlrev_b64 v[12:13], 1, v[12:13]
	v_mul_lo_u32 v27, v15, s15
	v_mul_lo_u32 v28, v16, s15
	v_add3_u32 v19, v19, v22, v21
	v_mul_lo_u32 v14, v25, s10
	v_mad_u64_u32 v[21:22], null, v11, s14, 0
	v_mul_lo_u32 v11, v23, s14
	s_delay_alu instid0(VALU_DEP_4)
	v_lshlrev_b64 v[17:18], 1, v[18:19]
	v_mad_u64_u32 v[19:20], null, v16, s10, 0
	v_add_co_u32 v12, vcc_lo, s8, v12
	v_add3_u32 v22, v22, v26, v2
	v_mul_lo_u32 v2, v25, s14
	v_add_co_ci_u32_e32 v13, vcc_lo, s9, v13, vcc_lo
	v_add3_u32 v20, v20, v24, v14
	v_mad_u64_u32 v[23:24], null, v15, s14, 0
	v_add_co_u32 v17, vcc_lo, s8, v17
	s_delay_alu instid0(VALU_DEP_3)
	v_lshlrev_b64 v[14:15], 1, v[19:20]
	v_mad_u64_u32 v[19:20], null, v16, s14, 0
	v_add_co_ci_u32_e32 v18, vcc_lo, s9, v18, vcc_lo
	v_add3_u32 v24, v24, v27, v11
	v_lshlrev_b64 v[21:22], 1, v[21:22]
	v_add_co_u32 v25, vcc_lo, s8, v14
	v_add3_u32 v20, v20, v28, v2
	v_add_co_ci_u32_e32 v26, vcc_lo, s9, v15, vcc_lo
	v_lshlrev_b64 v[14:15], 1, v[23:24]
	v_add_co_u32 v21, vcc_lo, s12, v21
	s_delay_alu instid0(VALU_DEP_4) | instskip(SKIP_1) | instid1(VALU_DEP_4)
	v_lshlrev_b64 v[19:20], 1, v[19:20]
	v_add_co_ci_u32_e32 v22, vcc_lo, s13, v22, vcc_lo
	v_add_co_u32 v23, vcc_lo, s12, v14
	v_add_co_ci_u32_e32 v24, vcc_lo, s13, v15, vcc_lo
	s_delay_alu instid0(VALU_DEP_4)
	v_add_co_u32 v19, vcc_lo, s12, v19
	v_add_co_ci_u32_e32 v20, vcc_lo, s13, v20, vcc_lo
	s_clause 0x2
	global_load_u16 v15, v[12:13], off
	global_load_u16 v11, v[17:18], off
	;; [unrolled: 1-line block ×3, first 2 shown]
	s_clause 0x2
	global_load_u16 v16, v[21:22], off
	global_load_u16 v12, v[23:24], off
	;; [unrolled: 1-line block ×4, first 2 shown]
	v_dual_mov_b32 v19, 0 :: v_dual_mov_b32 v20, 0
	v_dual_mov_b32 v17, 0 :: v_dual_mov_b32 v18, 0
	;; [unrolled: 1-line block ×3, first 2 shown]
	s_and_not1_b32 vcc_lo, exec_lo, s40
	s_cbranch_vccnz .LBB42_9
; %bb.8:                                ;   in Loop: Header=BB42_3 Depth=1
	v_mad_u64_u32 v[17:18], null, s41, v9, v[3:4]
	v_mul_lo_u32 v19, s41, v10
	v_mul_lo_u32 v20, s42, v9
	v_sub_co_u32 v22, vcc_lo, 1, v9
	v_sub_co_ci_u32_e32 v21, vcc_lo, 0, v10, vcc_lo
	v_mul_lo_u32 v23, v17, s17
	s_delay_alu instid0(VALU_DEP_3)
	v_mul_lo_u32 v25, s5, v22
	v_mul_lo_u32 v34, v17, s21
	v_add3_u32 v26, v20, v18, v19
	v_mul_lo_u32 v24, s4, v21
	v_mad_u64_u32 v[20:21], null, s4, v22, v[3:4]
	v_mad_u64_u32 v[18:19], null, v17, s16, 0
	s_delay_alu instid0(VALU_DEP_4) | instskip(SKIP_1) | instid1(VALU_DEP_4)
	v_mul_lo_u32 v22, v26, s16
	v_mul_lo_u32 v35, v26, s20
	v_add3_u32 v30, v25, v21, v24
	v_sub_co_u32 v25, vcc_lo, 2, v9
	v_mul_lo_u32 v28, v20, s17
	v_add3_u32 v19, v19, v23, v22
	v_sub_co_ci_u32_e32 v23, vcc_lo, 0, v10, vcc_lo
	v_mul_lo_u32 v27, v30, s16
	v_mad_u64_u32 v[21:22], null, v20, s16, 0
	s_delay_alu instid0(VALU_DEP_3)
	v_mul_lo_u32 v29, s4, v23
	v_mul_lo_u32 v31, s5, v25
	v_mad_u64_u32 v[23:24], null, s4, v25, v[3:4]
	v_lshlrev_b64 v[18:19], 1, v[18:19]
	v_add3_u32 v22, v22, v28, v27
	v_mad_u64_u32 v[26:27], null, v17, s20, 0
	v_mul_lo_u32 v17, v30, s20
	v_add3_u32 v31, v31, v24, v29
	s_delay_alu instid0(VALU_DEP_4) | instskip(SKIP_2) | instid1(VALU_DEP_4)
	v_lshlrev_b64 v[21:22], 1, v[21:22]
	v_mul_lo_u32 v33, v23, s17
	v_mad_u64_u32 v[24:25], null, v23, s16, 0
	v_mul_lo_u32 v32, v31, s16
	v_add_co_u32 v18, vcc_lo, s2, v18
	v_add_co_ci_u32_e32 v19, vcc_lo, s3, v19, vcc_lo
	v_add_co_u32 v28, vcc_lo, s2, v21
	v_add_co_ci_u32_e32 v29, vcc_lo, s3, v22, vcc_lo
	v_add3_u32 v25, v25, v33, v32
	v_mul_lo_u32 v32, v20, s21
	v_mad_u64_u32 v[21:22], null, v20, s20, 0
	v_add3_u32 v27, v27, v34, v35
	v_mul_lo_u32 v33, v31, s20
	v_mul_lo_u32 v34, v23, s21
	v_mad_u64_u32 v[30:31], null, v23, s20, 0
	v_lshlrev_b64 v[24:25], 1, v[24:25]
	v_add3_u32 v22, v22, v32, v17
	v_lshlrev_b64 v[26:27], 1, v[26:27]
	s_delay_alu instid0(VALU_DEP_4) | instskip(NEXT) | instid1(VALU_DEP_4)
	v_add3_u32 v31, v31, v34, v33
	v_add_co_u32 v23, vcc_lo, s2, v24
	s_delay_alu instid0(VALU_DEP_4)
	v_lshlrev_b64 v[20:21], 1, v[21:22]
	v_add_co_ci_u32_e32 v24, vcc_lo, s3, v25, vcc_lo
	v_add_co_u32 v25, vcc_lo, s18, v26
	v_lshlrev_b64 v[30:31], 1, v[30:31]
	v_add_co_ci_u32_e32 v26, vcc_lo, s19, v27, vcc_lo
	v_add_co_u32 v32, vcc_lo, s18, v20
	v_add_co_ci_u32_e32 v33, vcc_lo, s19, v21, vcc_lo
	s_delay_alu instid0(VALU_DEP_4)
	v_add_co_u32 v30, vcc_lo, s18, v30
	v_add_co_ci_u32_e32 v31, vcc_lo, s19, v31, vcc_lo
	s_clause 0x2
	global_load_u16 v22, v[18:19], off
	global_load_u16 v18, v[28:29], off
	;; [unrolled: 1-line block ×3, first 2 shown]
	s_clause 0x2
	global_load_u16 v21, v[25:26], off
	global_load_u16 v17, v[32:33], off
	;; [unrolled: 1-line block ×3, first 2 shown]
.LBB42_9:                               ;   in Loop: Header=BB42_3 Depth=1
	s_waitcnt vmcnt(6)
	v_cvt_f32_f16_e32 v15, v15
	s_waitcnt vmcnt(3)
	v_cvt_f32_f16_e32 v16, v16
	v_cvt_f32_f16_e32 v22, v22
	;; [unrolled: 1-line block ×4, first 2 shown]
	s_waitcnt vmcnt(0)
	v_cvt_f32_f16_e32 v19, v19
	v_add_f32_e32 v15, v15, v16
	v_cvt_f32_f16_e32 v16, v21
	s_delay_alu instid0(VALU_DEP_2) | instskip(NEXT) | instid1(VALU_DEP_1)
	v_add_f32_e32 v15, v15, v22
	v_add_f32_e32 v15, v15, v16
	s_delay_alu instid0(VALU_DEP_1) | instskip(SKIP_1) | instid1(VALU_DEP_2)
	v_mul_f32_e32 v16, 0xbfb8aa3b, v15
	v_cmp_nlt_f32_e32 vcc_lo, 0x42ce8ed0, v15
	v_fma_f32 v21, 0xbfb8aa3b, v15, -v16
	v_rndne_f32_e32 v22, v16
	s_delay_alu instid0(VALU_DEP_1) | instskip(NEXT) | instid1(VALU_DEP_1)
	v_dual_fmac_f32 v21, 0xb2a5705f, v15 :: v_dual_sub_f32 v16, v16, v22
	v_add_f32_e32 v16, v16, v21
	v_cvt_i32_f32_e32 v21, v22
	s_delay_alu instid0(VALU_DEP_2) | instskip(SKIP_2) | instid1(VALU_DEP_1)
	v_exp_f32_e32 v16, v16
	s_waitcnt_depctr 0xfff
	v_ldexp_f32 v16, v16, v21
	v_cndmask_b32_e32 v16, 0, v16, vcc_lo
	v_cmp_ngt_f32_e32 vcc_lo, 0xc2b17218, v15
	s_delay_alu instid0(VALU_DEP_2) | instskip(NEXT) | instid1(VALU_DEP_1)
	v_cndmask_b32_e32 v15, 0x7f800000, v16, vcc_lo
	v_add_f32_e32 v16, 1.0, v15
	s_delay_alu instid0(VALU_DEP_1) | instskip(SKIP_1) | instid1(VALU_DEP_2)
	v_div_scale_f32 v15, null, v16, v16, 1.0
	v_div_scale_f32 v23, vcc_lo, 1.0, v16, 1.0
	v_rcp_f32_e32 v21, v15
	s_waitcnt_depctr 0xfff
	v_fma_f32 v22, -v15, v21, 1.0
	s_delay_alu instid0(VALU_DEP_1) | instskip(NEXT) | instid1(VALU_DEP_1)
	v_fmac_f32_e32 v21, v22, v21
	v_mul_f32_e32 v22, v23, v21
	s_delay_alu instid0(VALU_DEP_1) | instskip(NEXT) | instid1(VALU_DEP_1)
	v_fma_f32 v24, -v15, v22, v23
	v_fmac_f32_e32 v22, v24, v21
	s_delay_alu instid0(VALU_DEP_1) | instskip(SKIP_1) | instid1(VALU_DEP_2)
	v_fma_f32 v15, -v15, v22, v23
	v_cvt_f32_f16_e32 v23, v14
	v_div_fmas_f32 v14, v15, v21, v22
	v_add_f32_e32 v15, v13, v20
	s_delay_alu instid0(VALU_DEP_3) | instskip(NEXT) | instid1(VALU_DEP_3)
	v_add_f32_e32 v13, v23, v19
	v_div_fixup_f32 v14, v14, v16, 1.0
                                        ; implicit-def: $vgpr16
	s_delay_alu instid0(VALU_DEP_1) | instskip(NEXT) | instid1(VALU_DEP_1)
	v_fmac_f32_e32 v15, v13, v14
	v_cmp_ngt_f32_e64 s0, 0x3f200000, |v15|
	s_delay_alu instid0(VALU_DEP_1) | instskip(NEXT) | instid1(SALU_CYCLE_1)
	s_and_saveexec_b32 s37, s0
	s_xor_b32 s0, exec_lo, s37
	s_cbranch_execz .LBB42_11
; %bb.10:                               ;   in Loop: Header=BB42_3 Depth=1
	v_add_f32_e64 v16, |v15|, |v15|
	s_delay_alu instid0(VALU_DEP_1) | instskip(SKIP_1) | instid1(VALU_DEP_2)
	v_mul_f32_e32 v19, 0x3fb8aa3b, v16
	v_cmp_ngt_f32_e32 vcc_lo, 0xc2ce8ed0, v16
	v_rndne_f32_e32 v20, v19
	v_fma_f32 v21, 0x3fb8aa3b, v16, -v19
	s_delay_alu instid0(VALU_DEP_2) | instskip(NEXT) | instid1(VALU_DEP_2)
	v_sub_f32_e32 v19, v19, v20
	v_fmac_f32_e32 v21, 0x32a5705f, v16
	v_cvt_i32_f32_e32 v20, v20
	s_delay_alu instid0(VALU_DEP_2) | instskip(NEXT) | instid1(VALU_DEP_1)
	v_add_f32_e32 v19, v19, v21
	v_exp_f32_e32 v19, v19
	s_waitcnt_depctr 0xfff
	v_ldexp_f32 v19, v19, v20
	s_delay_alu instid0(VALU_DEP_1) | instskip(SKIP_1) | instid1(VALU_DEP_2)
	v_cndmask_b32_e32 v19, 0, v19, vcc_lo
	v_cmp_nlt_f32_e32 vcc_lo, 0x42b17218, v16
	v_cndmask_b32_e32 v16, 0x7f800000, v19, vcc_lo
	s_delay_alu instid0(VALU_DEP_1) | instskip(NEXT) | instid1(VALU_DEP_1)
	v_add_f32_e32 v16, 1.0, v16
	v_rcp_f32_e32 v16, v16
	s_waitcnt_depctr 0xfff
	v_fma_f32 v16, v16, -2.0, 1.0
.LBB42_11:                              ;   in Loop: Header=BB42_3 Depth=1
	s_and_not1_saveexec_b32 s0, s0
	s_cbranch_execz .LBB42_2
; %bb.12:                               ;   in Loop: Header=BB42_3 Depth=1
	v_mul_f32_e32 v16, v15, v15
	s_delay_alu instid0(VALU_DEP_1) | instskip(NEXT) | instid1(VALU_DEP_1)
	v_fmaak_f32 v19, s43, v16, 0x3ca908c9
	v_fmaak_f32 v19, v16, v19, 0xbd5c1c4e
	s_delay_alu instid0(VALU_DEP_1) | instskip(NEXT) | instid1(VALU_DEP_1)
	v_fmaak_f32 v19, v16, v19, 0x3e088382
	v_fmaak_f32 v19, v16, v19, 0xbeaaaa99
	s_delay_alu instid0(VALU_DEP_1) | instskip(NEXT) | instid1(VALU_DEP_1)
	v_mul_f32_e64 v19, |v15|, v19
	v_fma_f32 v16, v16, v19, |v15|
	s_branch .LBB42_2
.LBB42_13:
	s_nop 0
	s_sendmsg sendmsg(MSG_DEALLOC_VGPRS)
	s_endpgm
	.section	.rodata,"a",@progbits
	.p2align	6, 0x0
	.amdhsa_kernel _ZN2at6native12_GLOBAL__N_16kernel16gru_cell_forwardIN3c104HalfEflLi1EEEvNS_4cuda6detail10TensorInfoIT_T1_EESB_SB_SB_SB_SB_SB_SA_SA_
		.amdhsa_group_segment_fixed_size 0
		.amdhsa_private_segment_fixed_size 0
		.amdhsa_kernarg_size 3184
		.amdhsa_user_sgpr_count 15
		.amdhsa_user_sgpr_dispatch_ptr 0
		.amdhsa_user_sgpr_queue_ptr 0
		.amdhsa_user_sgpr_kernarg_segment_ptr 1
		.amdhsa_user_sgpr_dispatch_id 0
		.amdhsa_user_sgpr_private_segment_size 0
		.amdhsa_wavefront_size32 1
		.amdhsa_uses_dynamic_stack 0
		.amdhsa_enable_private_segment 0
		.amdhsa_system_sgpr_workgroup_id_x 1
		.amdhsa_system_sgpr_workgroup_id_y 0
		.amdhsa_system_sgpr_workgroup_id_z 0
		.amdhsa_system_sgpr_workgroup_info 0
		.amdhsa_system_vgpr_workitem_id 0
		.amdhsa_next_free_vgpr 39
		.amdhsa_next_free_sgpr 45
		.amdhsa_reserve_vcc 1
		.amdhsa_float_round_mode_32 0
		.amdhsa_float_round_mode_16_64 0
		.amdhsa_float_denorm_mode_32 3
		.amdhsa_float_denorm_mode_16_64 3
		.amdhsa_dx10_clamp 1
		.amdhsa_ieee_mode 1
		.amdhsa_fp16_overflow 0
		.amdhsa_workgroup_processor_mode 1
		.amdhsa_memory_ordered 1
		.amdhsa_forward_progress 0
		.amdhsa_shared_vgpr_count 0
		.amdhsa_exception_fp_ieee_invalid_op 0
		.amdhsa_exception_fp_denorm_src 0
		.amdhsa_exception_fp_ieee_div_zero 0
		.amdhsa_exception_fp_ieee_overflow 0
		.amdhsa_exception_fp_ieee_underflow 0
		.amdhsa_exception_fp_ieee_inexact 0
		.amdhsa_exception_int_div_zero 0
	.end_amdhsa_kernel
	.section	.text._ZN2at6native12_GLOBAL__N_16kernel16gru_cell_forwardIN3c104HalfEflLi1EEEvNS_4cuda6detail10TensorInfoIT_T1_EESB_SB_SB_SB_SB_SB_SA_SA_,"axG",@progbits,_ZN2at6native12_GLOBAL__N_16kernel16gru_cell_forwardIN3c104HalfEflLi1EEEvNS_4cuda6detail10TensorInfoIT_T1_EESB_SB_SB_SB_SB_SB_SA_SA_,comdat
.Lfunc_end42:
	.size	_ZN2at6native12_GLOBAL__N_16kernel16gru_cell_forwardIN3c104HalfEflLi1EEEvNS_4cuda6detail10TensorInfoIT_T1_EESB_SB_SB_SB_SB_SB_SA_SA_, .Lfunc_end42-_ZN2at6native12_GLOBAL__N_16kernel16gru_cell_forwardIN3c104HalfEflLi1EEEvNS_4cuda6detail10TensorInfoIT_T1_EESB_SB_SB_SB_SB_SB_SA_SA_
                                        ; -- End function
	.section	.AMDGPU.csdata,"",@progbits
; Kernel info:
; codeLenInByte = 3836
; NumSgprs: 47
; NumVgprs: 39
; ScratchSize: 0
; MemoryBound: 0
; FloatMode: 240
; IeeeMode: 1
; LDSByteSize: 0 bytes/workgroup (compile time only)
; SGPRBlocks: 5
; VGPRBlocks: 4
; NumSGPRsForWavesPerEU: 47
; NumVGPRsForWavesPerEU: 39
; Occupancy: 16
; WaveLimiterHint : 1
; COMPUTE_PGM_RSRC2:SCRATCH_EN: 0
; COMPUTE_PGM_RSRC2:USER_SGPR: 15
; COMPUTE_PGM_RSRC2:TRAP_HANDLER: 0
; COMPUTE_PGM_RSRC2:TGID_X_EN: 1
; COMPUTE_PGM_RSRC2:TGID_Y_EN: 0
; COMPUTE_PGM_RSRC2:TGID_Z_EN: 0
; COMPUTE_PGM_RSRC2:TIDIG_COMP_CNT: 0
	.section	.text._ZN2at6native12_GLOBAL__N_16kernel16gru_cell_forwardIN3c104HalfEflLi2EEEvNS_4cuda6detail10TensorInfoIT_T1_EESB_SB_SB_SB_SB_SB_SA_SA_,"axG",@progbits,_ZN2at6native12_GLOBAL__N_16kernel16gru_cell_forwardIN3c104HalfEflLi2EEEvNS_4cuda6detail10TensorInfoIT_T1_EESB_SB_SB_SB_SB_SB_SA_SA_,comdat
	.globl	_ZN2at6native12_GLOBAL__N_16kernel16gru_cell_forwardIN3c104HalfEflLi2EEEvNS_4cuda6detail10TensorInfoIT_T1_EESB_SB_SB_SB_SB_SB_SA_SA_ ; -- Begin function _ZN2at6native12_GLOBAL__N_16kernel16gru_cell_forwardIN3c104HalfEflLi2EEEvNS_4cuda6detail10TensorInfoIT_T1_EESB_SB_SB_SB_SB_SB_SA_SA_
	.p2align	8
	.type	_ZN2at6native12_GLOBAL__N_16kernel16gru_cell_forwardIN3c104HalfEflLi2EEEvNS_4cuda6detail10TensorInfoIT_T1_EESB_SB_SB_SB_SB_SB_SA_SA_,@function
_ZN2at6native12_GLOBAL__N_16kernel16gru_cell_forwardIN3c104HalfEflLi2EEEvNS_4cuda6detail10TensorInfoIT_T1_EESB_SB_SB_SB_SB_SB_SA_SA_: ; @_ZN2at6native12_GLOBAL__N_16kernel16gru_cell_forwardIN3c104HalfEflLi2EEEvNS_4cuda6detail10TensorInfoIT_T1_EESB_SB_SB_SB_SB_SB_SA_SA_
; %bb.0:
	s_clause 0x1
	s_load_b32 s2, s[0:1], 0xb7c
	s_load_b128 s[4:7], s[0:1], 0xb60
	v_mov_b32_e32 v1, 0
	s_add_u32 s16, s0, 0xb70
	s_addc_u32 s17, s1, 0
	s_waitcnt lgkmcnt(0)
	s_and_b32 s33, s2, 0xffff
	s_mov_b32 s2, exec_lo
	v_mad_u64_u32 v[3:4], null, s15, s33, v[0:1]
	v_mov_b32_e32 v4, v1
	s_delay_alu instid0(VALU_DEP_1)
	v_cmpx_gt_i64_e64 s[6:7], v[3:4]
	s_cbranch_execz .LBB43_65
; %bb.1:
	v_cvt_f32_u32_e32 v0, s4
	s_clause 0x6
	s_load_b64 s[2:3], s[0:1], 0x0
	s_load_b64 s[28:29], s[0:1], 0x10
	s_load_b128 s[8:11], s[0:1], 0xd0
	s_load_b64 s[30:31], s[0:1], 0x1a0
	s_load_b64 s[34:35], s[0:1], 0x340
	;; [unrolled: 1-line block ×3, first 2 shown]
	s_load_b128 s[12:15], s[0:1], 0x270
	s_load_b32 s56, s[16:17], 0x0
	s_clause 0xb
	s_load_b64 s[38:39], s[0:1], 0x410
	s_load_b64 s[40:41], s[0:1], 0x4e0
	;; [unrolled: 1-line block ×5, first 2 shown]
	s_load_b128 s[16:19], s[0:1], 0x750
	s_load_b64 s[48:49], s[0:1], 0x820
	s_load_b64 s[50:51], s[0:1], 0x830
	s_load_b128 s[20:23], s[0:1], 0x8f0
	s_load_b64 s[52:53], s[0:1], 0x9c0
	s_load_b64 s[54:55], s[0:1], 0x9d0
	s_load_b128 s[24:27], s[0:1], 0xa90
	s_mov_b32 s64, 0
	s_mov_b32 s71, 0xbbbac73d
	v_rcp_iflag_f32_e32 v0, v0
	s_waitcnt lgkmcnt(0)
	s_cmp_lg_u64 s[34:35], 0
	s_cselect_b32 s1, -1, 0
	s_mul_i32 s33, s56, s33
	s_waitcnt_depctr 0xfff
	v_mul_f32_e32 v0, 0x4f7ffffe, v0
	s_lshl_b64 s[56:57], s[4:5], 1
	s_lshl_b64 s[58:59], s[4:5], 2
	s_sub_u32 s65, 0, s4
	s_subb_u32 s66, 0, s5
	s_sub_u32 s67, 0, s46
	v_cvt_u32_f32_e32 v0, v0
	s_subb_u32 s68, 0, s47
	s_sub_u32 s69, 0, s50
	s_subb_u32 s70, 0, s51
	s_branch .LBB43_3
.LBB43_2:                               ;   in Loop: Header=BB43_3 Depth=1
	s_or_b32 exec_lo, exec_lo, s0
	s_delay_alu instid0(VALU_DEP_1) | instskip(NEXT) | instid1(VALU_DEP_2)
	v_mul_lo_u32 v2, v8, s54
	v_mul_lo_u32 v11, v7, s55
	v_mad_u64_u32 v[9:10], null, v7, s54, 0
	v_mul_lo_u32 v12, v8, s24
	s_delay_alu instid0(VALU_DEP_2) | instskip(NEXT) | instid1(VALU_DEP_3)
	v_add3_u32 v2, v10, v11, v2
	v_sub_co_u32 v5, vcc_lo, v5, v9
	v_mul_lo_u32 v9, v7, s25
	s_delay_alu instid0(VALU_DEP_3) | instskip(NEXT) | instid1(VALU_DEP_3)
	v_sub_co_ci_u32_e32 v2, vcc_lo, v6, v2, vcc_lo
	v_add_co_u32 v10, vcc_lo, v3, v5
	v_mad_u64_u32 v[5:6], null, v7, s24, 0
	s_delay_alu instid0(VALU_DEP_3) | instskip(NEXT) | instid1(VALU_DEP_3)
	v_add_co_ci_u32_e32 v2, vcc_lo, v4, v2, vcc_lo
	v_mul_lo_u32 v11, v10, s27
	v_mad_u64_u32 v[7:8], null, v10, s26, 0
	s_delay_alu instid0(VALU_DEP_3) | instskip(SKIP_3) | instid1(VALU_DEP_3)
	v_mul_lo_u32 v2, v2, s26
	v_add3_u32 v6, v6, v9, v12
	v_add_co_u32 v3, vcc_lo, v3, s33
	v_add_co_ci_u32_e32 v4, vcc_lo, 0, v4, vcc_lo
	v_lshlrev_b64 v[5:6], 1, v[5:6]
	v_cvt_f16_f32_e32 v9, v14
	v_add3_u32 v8, v8, v11, v2
	s_delay_alu instid0(VALU_DEP_3) | instskip(NEXT) | instid1(VALU_DEP_2)
	v_add_co_u32 v2, vcc_lo, s52, v5
	v_lshlrev_b64 v[7:8], 1, v[7:8]
	v_add_co_ci_u32_e32 v6, vcc_lo, s53, v6, vcc_lo
	v_cmp_le_i64_e32 vcc_lo, s[6:7], v[3:4]
	s_delay_alu instid0(VALU_DEP_3) | instskip(NEXT) | instid1(VALU_DEP_1)
	v_add_co_u32 v5, s0, v2, v7
	v_add_co_ci_u32_e64 v6, s0, v6, v8, s0
	s_or_b32 s64, vcc_lo, s64
	global_store_b16 v[5:6], v9, off
	s_and_not1_b32 exec_lo, exec_lo, s64
	s_cbranch_execz .LBB43_65
.LBB43_3:                               ; =>This Inner Loop Header: Depth=1
	v_or_b32_e32 v2, s5, v4
	v_ashrrev_i32_e32 v15, 31, v4
                                        ; implicit-def: $vgpr5_vgpr6
	s_mov_b32 s0, exec_lo
	s_delay_alu instid0(VALU_DEP_2)
	v_cmpx_ne_u64_e32 0, v[1:2]
	s_xor_b32 s72, exec_lo, s0
	s_cbranch_execz .LBB43_5
; %bb.4:                                ;   in Loop: Header=BB43_3 Depth=1
	s_ashr_i32 s60, s5, 31
	s_delay_alu instid0(SALU_CYCLE_1) | instskip(SKIP_2) | instid1(SALU_CYCLE_1)
	s_add_u32 s62, s4, s60
	s_mov_b32 s61, s60
	s_addc_u32 s63, s5, s60
	s_xor_b64 s[62:63], s[62:63], s[60:61]
	s_delay_alu instid0(SALU_CYCLE_1) | instskip(SKIP_3) | instid1(VALU_DEP_1)
	v_cvt_f32_u32_e32 v2, s62
	v_cvt_f32_u32_e32 v5, s63
	s_sub_u32 s0, 0, s62
	s_subb_u32 s61, 0, s63
	v_fmac_f32_e32 v2, 0x4f800000, v5
	s_delay_alu instid0(VALU_DEP_1) | instskip(SKIP_2) | instid1(VALU_DEP_1)
	v_rcp_f32_e32 v2, v2
	s_waitcnt_depctr 0xfff
	v_mul_f32_e32 v2, 0x5f7ffffc, v2
	v_mul_f32_e32 v5, 0x2f800000, v2
	s_delay_alu instid0(VALU_DEP_1) | instskip(NEXT) | instid1(VALU_DEP_1)
	v_trunc_f32_e32 v5, v5
	v_fmac_f32_e32 v2, 0xcf800000, v5
	v_cvt_u32_f32_e32 v5, v5
	s_delay_alu instid0(VALU_DEP_2) | instskip(NEXT) | instid1(VALU_DEP_2)
	v_cvt_u32_f32_e32 v2, v2
	v_mul_lo_u32 v6, s0, v5
	s_delay_alu instid0(VALU_DEP_2) | instskip(SKIP_1) | instid1(VALU_DEP_2)
	v_mul_hi_u32 v7, s0, v2
	v_mul_lo_u32 v8, s61, v2
	v_add_nc_u32_e32 v6, v7, v6
	v_mul_lo_u32 v7, s0, v2
	s_delay_alu instid0(VALU_DEP_2) | instskip(NEXT) | instid1(VALU_DEP_2)
	v_add_nc_u32_e32 v6, v6, v8
	v_mul_hi_u32 v8, v2, v7
	s_delay_alu instid0(VALU_DEP_2)
	v_mul_lo_u32 v9, v2, v6
	v_mul_hi_u32 v10, v2, v6
	v_mul_hi_u32 v11, v5, v7
	v_mul_lo_u32 v7, v5, v7
	v_mul_hi_u32 v12, v5, v6
	v_mul_lo_u32 v6, v5, v6
	v_add_co_u32 v8, vcc_lo, v8, v9
	v_add_co_ci_u32_e32 v9, vcc_lo, 0, v10, vcc_lo
	s_delay_alu instid0(VALU_DEP_2) | instskip(NEXT) | instid1(VALU_DEP_2)
	v_add_co_u32 v7, vcc_lo, v8, v7
	v_add_co_ci_u32_e32 v7, vcc_lo, v9, v11, vcc_lo
	v_add_co_ci_u32_e32 v8, vcc_lo, 0, v12, vcc_lo
	s_delay_alu instid0(VALU_DEP_2) | instskip(NEXT) | instid1(VALU_DEP_2)
	v_add_co_u32 v6, vcc_lo, v7, v6
	v_add_co_ci_u32_e32 v7, vcc_lo, 0, v8, vcc_lo
	s_delay_alu instid0(VALU_DEP_2) | instskip(NEXT) | instid1(VALU_DEP_2)
	v_add_co_u32 v2, vcc_lo, v2, v6
	v_add_co_ci_u32_e32 v5, vcc_lo, v5, v7, vcc_lo
	s_delay_alu instid0(VALU_DEP_2) | instskip(SKIP_1) | instid1(VALU_DEP_3)
	v_mul_hi_u32 v6, s0, v2
	v_mul_lo_u32 v8, s61, v2
	v_mul_lo_u32 v7, s0, v5
	s_delay_alu instid0(VALU_DEP_1) | instskip(SKIP_1) | instid1(VALU_DEP_2)
	v_add_nc_u32_e32 v6, v6, v7
	v_mul_lo_u32 v7, s0, v2
	v_add_nc_u32_e32 v6, v6, v8
	s_delay_alu instid0(VALU_DEP_2) | instskip(NEXT) | instid1(VALU_DEP_2)
	v_mul_hi_u32 v8, v2, v7
	v_mul_lo_u32 v9, v2, v6
	v_mul_hi_u32 v10, v2, v6
	v_mul_hi_u32 v11, v5, v7
	v_mul_lo_u32 v7, v5, v7
	v_mul_hi_u32 v12, v5, v6
	v_mul_lo_u32 v6, v5, v6
	v_add_co_u32 v8, vcc_lo, v8, v9
	v_add_co_ci_u32_e32 v9, vcc_lo, 0, v10, vcc_lo
	s_delay_alu instid0(VALU_DEP_2) | instskip(NEXT) | instid1(VALU_DEP_2)
	v_add_co_u32 v7, vcc_lo, v8, v7
	v_add_co_ci_u32_e32 v7, vcc_lo, v9, v11, vcc_lo
	v_add_co_ci_u32_e32 v8, vcc_lo, 0, v12, vcc_lo
	v_add_co_u32 v9, vcc_lo, v3, v15
	v_add_co_ci_u32_e32 v10, vcc_lo, v4, v15, vcc_lo
	s_delay_alu instid0(VALU_DEP_4) | instskip(NEXT) | instid1(VALU_DEP_4)
	v_add_co_u32 v6, vcc_lo, v7, v6
	v_add_co_ci_u32_e32 v7, vcc_lo, 0, v8, vcc_lo
	s_delay_alu instid0(VALU_DEP_4) | instskip(NEXT) | instid1(VALU_DEP_3)
	v_xor_b32_e32 v11, v9, v15
	v_add_co_u32 v2, vcc_lo, v2, v6
	s_delay_alu instid0(VALU_DEP_3) | instskip(SKIP_1) | instid1(VALU_DEP_3)
	v_add_co_ci_u32_e32 v12, vcc_lo, v5, v7, vcc_lo
	v_xor_b32_e32 v13, v10, v15
	v_mul_hi_u32 v14, v11, v2
	s_delay_alu instid0(VALU_DEP_3) | instskip(NEXT) | instid1(VALU_DEP_3)
	v_mad_u64_u32 v[5:6], null, v11, v12, 0
	v_mad_u64_u32 v[7:8], null, v13, v2, 0
	;; [unrolled: 1-line block ×3, first 2 shown]
	s_delay_alu instid0(VALU_DEP_3) | instskip(NEXT) | instid1(VALU_DEP_4)
	v_add_co_u32 v2, vcc_lo, v14, v5
	v_add_co_ci_u32_e32 v5, vcc_lo, 0, v6, vcc_lo
	s_delay_alu instid0(VALU_DEP_2) | instskip(NEXT) | instid1(VALU_DEP_2)
	v_add_co_u32 v2, vcc_lo, v2, v7
	v_add_co_ci_u32_e32 v2, vcc_lo, v5, v8, vcc_lo
	v_add_co_ci_u32_e32 v5, vcc_lo, 0, v10, vcc_lo
	s_delay_alu instid0(VALU_DEP_2) | instskip(NEXT) | instid1(VALU_DEP_2)
	v_add_co_u32 v2, vcc_lo, v2, v9
	v_add_co_ci_u32_e32 v7, vcc_lo, 0, v5, vcc_lo
	s_delay_alu instid0(VALU_DEP_2) | instskip(SKIP_1) | instid1(VALU_DEP_3)
	v_mul_lo_u32 v8, s63, v2
	v_mad_u64_u32 v[5:6], null, s62, v2, 0
	v_mul_lo_u32 v9, s62, v7
	s_delay_alu instid0(VALU_DEP_2) | instskip(NEXT) | instid1(VALU_DEP_2)
	v_sub_co_u32 v5, vcc_lo, v11, v5
	v_add3_u32 v6, v6, v9, v8
	s_delay_alu instid0(VALU_DEP_1) | instskip(NEXT) | instid1(VALU_DEP_1)
	v_sub_nc_u32_e32 v8, v13, v6
	v_subrev_co_ci_u32_e64 v8, s0, s63, v8, vcc_lo
	v_add_co_u32 v9, s0, v2, 2
	s_delay_alu instid0(VALU_DEP_1) | instskip(SKIP_3) | instid1(VALU_DEP_3)
	v_add_co_ci_u32_e64 v10, s0, 0, v7, s0
	v_sub_co_u32 v11, s0, v5, s62
	v_sub_co_ci_u32_e32 v6, vcc_lo, v13, v6, vcc_lo
	v_subrev_co_ci_u32_e64 v8, s0, 0, v8, s0
	v_cmp_le_u32_e32 vcc_lo, s62, v11
	s_delay_alu instid0(VALU_DEP_3) | instskip(SKIP_1) | instid1(VALU_DEP_4)
	v_cmp_eq_u32_e64 s0, s63, v6
	v_cndmask_b32_e64 v11, 0, -1, vcc_lo
	v_cmp_le_u32_e32 vcc_lo, s63, v8
	v_cndmask_b32_e64 v12, 0, -1, vcc_lo
	v_cmp_le_u32_e32 vcc_lo, s62, v5
	;; [unrolled: 2-line block ×3, first 2 shown]
	v_cndmask_b32_e64 v13, 0, -1, vcc_lo
	v_cmp_eq_u32_e32 vcc_lo, s63, v8
	s_delay_alu instid0(VALU_DEP_2) | instskip(SKIP_3) | instid1(VALU_DEP_3)
	v_cndmask_b32_e64 v5, v13, v5, s0
	v_cndmask_b32_e32 v8, v12, v11, vcc_lo
	v_add_co_u32 v11, vcc_lo, v2, 1
	v_add_co_ci_u32_e32 v12, vcc_lo, 0, v7, vcc_lo
	v_cmp_ne_u32_e32 vcc_lo, 0, v8
	s_delay_alu instid0(VALU_DEP_2) | instskip(NEXT) | instid1(VALU_DEP_4)
	v_cndmask_b32_e32 v6, v12, v10, vcc_lo
	v_cndmask_b32_e32 v8, v11, v9, vcc_lo
	v_cmp_ne_u32_e32 vcc_lo, 0, v5
	v_xor_b32_e32 v9, s60, v15
	s_delay_alu instid0(VALU_DEP_3) | instskip(NEXT) | instid1(VALU_DEP_1)
	v_dual_cndmask_b32 v2, v2, v8 :: v_dual_cndmask_b32 v5, v7, v6
	v_xor_b32_e32 v2, v2, v9
	s_delay_alu instid0(VALU_DEP_2) | instskip(NEXT) | instid1(VALU_DEP_2)
	v_xor_b32_e32 v6, v5, v9
	v_sub_co_u32 v5, vcc_lo, v2, v9
	s_delay_alu instid0(VALU_DEP_2)
	v_sub_co_ci_u32_e32 v6, vcc_lo, v6, v9, vcc_lo
.LBB43_5:                               ;   in Loop: Header=BB43_3 Depth=1
	s_and_not1_saveexec_b32 s0, s72
	s_cbranch_execz .LBB43_7
; %bb.6:                                ;   in Loop: Header=BB43_3 Depth=1
	s_sub_i32 s60, 0, s4
	s_delay_alu instid0(SALU_CYCLE_1) | instskip(NEXT) | instid1(VALU_DEP_1)
	v_mul_lo_u32 v2, s60, v0
	v_mul_hi_u32 v2, v0, v2
	s_delay_alu instid0(VALU_DEP_1) | instskip(NEXT) | instid1(VALU_DEP_1)
	v_add_nc_u32_e32 v2, v0, v2
	v_mul_hi_u32 v2, v3, v2
	s_delay_alu instid0(VALU_DEP_1) | instskip(SKIP_1) | instid1(VALU_DEP_2)
	v_mul_lo_u32 v5, v2, s4
	v_add_nc_u32_e32 v6, 1, v2
	v_sub_nc_u32_e32 v5, v3, v5
	s_delay_alu instid0(VALU_DEP_1) | instskip(SKIP_1) | instid1(VALU_DEP_2)
	v_subrev_nc_u32_e32 v7, s4, v5
	v_cmp_le_u32_e32 vcc_lo, s4, v5
	v_dual_cndmask_b32 v5, v5, v7 :: v_dual_cndmask_b32 v2, v2, v6
	s_delay_alu instid0(VALU_DEP_1) | instskip(NEXT) | instid1(VALU_DEP_2)
	v_cmp_le_u32_e32 vcc_lo, s4, v5
	v_add_nc_u32_e32 v6, 1, v2
	s_delay_alu instid0(VALU_DEP_1)
	v_dual_cndmask_b32 v5, v2, v6 :: v_dual_mov_b32 v6, v1
.LBB43_7:                               ;   in Loop: Header=BB43_3 Depth=1
	s_or_b32 exec_lo, exec_lo, s0
	s_delay_alu instid0(VALU_DEP_1) | instskip(NEXT) | instid1(VALU_DEP_2)
	v_mul_lo_u32 v2, s57, v5
	v_mul_lo_u32 v9, s56, v6
	v_mad_u64_u32 v[7:8], null, s56, v5, 0
	s_mov_b32 s0, exec_lo
	s_delay_alu instid0(VALU_DEP_1) | instskip(NEXT) | instid1(VALU_DEP_2)
	v_add3_u32 v8, v8, v9, v2
	v_add_co_u32 v22, vcc_lo, v3, v7
                                        ; implicit-def: $vgpr9_vgpr10
	s_delay_alu instid0(VALU_DEP_2) | instskip(NEXT) | instid1(VALU_DEP_1)
	v_add_co_ci_u32_e32 v25, vcc_lo, v4, v8, vcc_lo
	v_or_b32_e32 v2, s29, v25
	v_ashrrev_i32_e32 v19, 31, v25
	s_delay_alu instid0(VALU_DEP_2)
	v_cmpx_ne_u64_e32 0, v[1:2]
	s_xor_b32 s72, exec_lo, s0
	s_cbranch_execz .LBB43_9
; %bb.8:                                ;   in Loop: Header=BB43_3 Depth=1
	s_ashr_i32 s60, s29, 31
	s_delay_alu instid0(SALU_CYCLE_1) | instskip(SKIP_2) | instid1(SALU_CYCLE_1)
	s_add_u32 s62, s28, s60
	s_mov_b32 s61, s60
	s_addc_u32 s63, s29, s60
	s_xor_b64 s[62:63], s[62:63], s[60:61]
	s_delay_alu instid0(SALU_CYCLE_1) | instskip(SKIP_3) | instid1(VALU_DEP_1)
	v_cvt_f32_u32_e32 v2, s62
	v_cvt_f32_u32_e32 v9, s63
	s_sub_u32 s0, 0, s62
	s_subb_u32 s61, 0, s63
	v_fmac_f32_e32 v2, 0x4f800000, v9
	s_delay_alu instid0(VALU_DEP_1) | instskip(SKIP_2) | instid1(VALU_DEP_1)
	v_rcp_f32_e32 v2, v2
	s_waitcnt_depctr 0xfff
	v_mul_f32_e32 v2, 0x5f7ffffc, v2
	v_mul_f32_e32 v9, 0x2f800000, v2
	s_delay_alu instid0(VALU_DEP_1) | instskip(NEXT) | instid1(VALU_DEP_1)
	v_trunc_f32_e32 v9, v9
	v_fmac_f32_e32 v2, 0xcf800000, v9
	v_cvt_u32_f32_e32 v9, v9
	s_delay_alu instid0(VALU_DEP_2) | instskip(NEXT) | instid1(VALU_DEP_2)
	v_cvt_u32_f32_e32 v2, v2
	v_mul_lo_u32 v10, s0, v9
	s_delay_alu instid0(VALU_DEP_2) | instskip(SKIP_1) | instid1(VALU_DEP_2)
	v_mul_hi_u32 v11, s0, v2
	v_mul_lo_u32 v12, s61, v2
	v_add_nc_u32_e32 v10, v11, v10
	v_mul_lo_u32 v11, s0, v2
	s_delay_alu instid0(VALU_DEP_2) | instskip(NEXT) | instid1(VALU_DEP_2)
	v_add_nc_u32_e32 v10, v10, v12
	v_mul_hi_u32 v12, v2, v11
	s_delay_alu instid0(VALU_DEP_2)
	v_mul_lo_u32 v13, v2, v10
	v_mul_hi_u32 v14, v2, v10
	v_mul_hi_u32 v16, v9, v11
	v_mul_lo_u32 v11, v9, v11
	v_mul_hi_u32 v17, v9, v10
	v_mul_lo_u32 v10, v9, v10
	v_add_co_u32 v12, vcc_lo, v12, v13
	v_add_co_ci_u32_e32 v13, vcc_lo, 0, v14, vcc_lo
	s_delay_alu instid0(VALU_DEP_2) | instskip(NEXT) | instid1(VALU_DEP_2)
	v_add_co_u32 v11, vcc_lo, v12, v11
	v_add_co_ci_u32_e32 v11, vcc_lo, v13, v16, vcc_lo
	v_add_co_ci_u32_e32 v12, vcc_lo, 0, v17, vcc_lo
	s_delay_alu instid0(VALU_DEP_2) | instskip(NEXT) | instid1(VALU_DEP_2)
	v_add_co_u32 v10, vcc_lo, v11, v10
	v_add_co_ci_u32_e32 v11, vcc_lo, 0, v12, vcc_lo
	s_delay_alu instid0(VALU_DEP_2) | instskip(NEXT) | instid1(VALU_DEP_2)
	v_add_co_u32 v2, vcc_lo, v2, v10
	v_add_co_ci_u32_e32 v9, vcc_lo, v9, v11, vcc_lo
	s_delay_alu instid0(VALU_DEP_2) | instskip(SKIP_1) | instid1(VALU_DEP_3)
	v_mul_hi_u32 v10, s0, v2
	v_mul_lo_u32 v12, s61, v2
	v_mul_lo_u32 v11, s0, v9
	s_delay_alu instid0(VALU_DEP_1) | instskip(SKIP_1) | instid1(VALU_DEP_2)
	v_add_nc_u32_e32 v10, v10, v11
	v_mul_lo_u32 v11, s0, v2
	v_add_nc_u32_e32 v10, v10, v12
	s_delay_alu instid0(VALU_DEP_2) | instskip(NEXT) | instid1(VALU_DEP_2)
	v_mul_hi_u32 v12, v2, v11
	v_mul_lo_u32 v13, v2, v10
	v_mul_hi_u32 v14, v2, v10
	v_mul_hi_u32 v16, v9, v11
	v_mul_lo_u32 v11, v9, v11
	v_mul_hi_u32 v17, v9, v10
	v_mul_lo_u32 v10, v9, v10
	v_add_co_u32 v12, vcc_lo, v12, v13
	v_add_co_ci_u32_e32 v13, vcc_lo, 0, v14, vcc_lo
	s_delay_alu instid0(VALU_DEP_2) | instskip(NEXT) | instid1(VALU_DEP_2)
	v_add_co_u32 v11, vcc_lo, v12, v11
	v_add_co_ci_u32_e32 v11, vcc_lo, v13, v16, vcc_lo
	v_add_co_ci_u32_e32 v12, vcc_lo, 0, v17, vcc_lo
	v_add_co_u32 v13, vcc_lo, v22, v19
	v_add_co_ci_u32_e32 v14, vcc_lo, v25, v19, vcc_lo
	s_delay_alu instid0(VALU_DEP_4) | instskip(NEXT) | instid1(VALU_DEP_4)
	v_add_co_u32 v10, vcc_lo, v11, v10
	v_add_co_ci_u32_e32 v11, vcc_lo, 0, v12, vcc_lo
	s_delay_alu instid0(VALU_DEP_4) | instskip(NEXT) | instid1(VALU_DEP_3)
	v_xor_b32_e32 v16, v13, v19
	v_add_co_u32 v2, vcc_lo, v2, v10
	s_delay_alu instid0(VALU_DEP_3) | instskip(SKIP_1) | instid1(VALU_DEP_3)
	v_add_co_ci_u32_e32 v17, vcc_lo, v9, v11, vcc_lo
	v_xor_b32_e32 v18, v14, v19
	v_mul_hi_u32 v20, v16, v2
	s_delay_alu instid0(VALU_DEP_3) | instskip(NEXT) | instid1(VALU_DEP_3)
	v_mad_u64_u32 v[9:10], null, v16, v17, 0
	v_mad_u64_u32 v[11:12], null, v18, v2, 0
	;; [unrolled: 1-line block ×3, first 2 shown]
	s_delay_alu instid0(VALU_DEP_3) | instskip(NEXT) | instid1(VALU_DEP_4)
	v_add_co_u32 v2, vcc_lo, v20, v9
	v_add_co_ci_u32_e32 v9, vcc_lo, 0, v10, vcc_lo
	s_delay_alu instid0(VALU_DEP_2) | instskip(NEXT) | instid1(VALU_DEP_2)
	v_add_co_u32 v2, vcc_lo, v2, v11
	v_add_co_ci_u32_e32 v2, vcc_lo, v9, v12, vcc_lo
	v_add_co_ci_u32_e32 v9, vcc_lo, 0, v14, vcc_lo
	s_delay_alu instid0(VALU_DEP_2) | instskip(NEXT) | instid1(VALU_DEP_2)
	v_add_co_u32 v2, vcc_lo, v2, v13
	v_add_co_ci_u32_e32 v11, vcc_lo, 0, v9, vcc_lo
	s_delay_alu instid0(VALU_DEP_2) | instskip(SKIP_1) | instid1(VALU_DEP_3)
	v_mul_lo_u32 v12, s63, v2
	v_mad_u64_u32 v[9:10], null, s62, v2, 0
	v_mul_lo_u32 v13, s62, v11
	s_delay_alu instid0(VALU_DEP_2) | instskip(NEXT) | instid1(VALU_DEP_2)
	v_sub_co_u32 v9, vcc_lo, v16, v9
	v_add3_u32 v10, v10, v13, v12
	s_delay_alu instid0(VALU_DEP_1) | instskip(NEXT) | instid1(VALU_DEP_1)
	v_sub_nc_u32_e32 v12, v18, v10
	v_subrev_co_ci_u32_e64 v12, s0, s63, v12, vcc_lo
	v_add_co_u32 v13, s0, v2, 2
	s_delay_alu instid0(VALU_DEP_1) | instskip(SKIP_3) | instid1(VALU_DEP_3)
	v_add_co_ci_u32_e64 v14, s0, 0, v11, s0
	v_sub_co_u32 v16, s0, v9, s62
	v_sub_co_ci_u32_e32 v10, vcc_lo, v18, v10, vcc_lo
	v_subrev_co_ci_u32_e64 v12, s0, 0, v12, s0
	v_cmp_le_u32_e32 vcc_lo, s62, v16
	s_delay_alu instid0(VALU_DEP_3) | instskip(SKIP_1) | instid1(VALU_DEP_4)
	v_cmp_eq_u32_e64 s0, s63, v10
	v_cndmask_b32_e64 v16, 0, -1, vcc_lo
	v_cmp_le_u32_e32 vcc_lo, s63, v12
	v_cndmask_b32_e64 v17, 0, -1, vcc_lo
	v_cmp_le_u32_e32 vcc_lo, s62, v9
	;; [unrolled: 2-line block ×3, first 2 shown]
	v_cndmask_b32_e64 v18, 0, -1, vcc_lo
	v_cmp_eq_u32_e32 vcc_lo, s63, v12
	s_delay_alu instid0(VALU_DEP_2) | instskip(SKIP_3) | instid1(VALU_DEP_3)
	v_cndmask_b32_e64 v9, v18, v9, s0
	v_cndmask_b32_e32 v12, v17, v16, vcc_lo
	v_add_co_u32 v16, vcc_lo, v2, 1
	v_add_co_ci_u32_e32 v17, vcc_lo, 0, v11, vcc_lo
	v_cmp_ne_u32_e32 vcc_lo, 0, v12
	s_delay_alu instid0(VALU_DEP_2) | instskip(NEXT) | instid1(VALU_DEP_4)
	v_cndmask_b32_e32 v10, v17, v14, vcc_lo
	v_cndmask_b32_e32 v12, v16, v13, vcc_lo
	v_cmp_ne_u32_e32 vcc_lo, 0, v9
	v_xor_b32_e32 v13, s60, v19
	s_delay_alu instid0(VALU_DEP_3) | instskip(NEXT) | instid1(VALU_DEP_1)
	v_dual_cndmask_b32 v2, v2, v12 :: v_dual_cndmask_b32 v9, v11, v10
	v_xor_b32_e32 v2, v2, v13
	s_delay_alu instid0(VALU_DEP_2) | instskip(NEXT) | instid1(VALU_DEP_2)
	v_xor_b32_e32 v10, v9, v13
	v_sub_co_u32 v9, vcc_lo, v2, v13
	s_delay_alu instid0(VALU_DEP_2)
	v_sub_co_ci_u32_e32 v10, vcc_lo, v10, v13, vcc_lo
.LBB43_9:                               ;   in Loop: Header=BB43_3 Depth=1
	s_or_saveexec_b32 s0, s72
	v_cvt_f32_u32_e32 v18, s28
	s_xor_b32 exec_lo, exec_lo, s0
	s_cbranch_execz .LBB43_11
; %bb.10:                               ;   in Loop: Header=BB43_3 Depth=1
	s_delay_alu instid0(VALU_DEP_1) | instskip(SKIP_3) | instid1(VALU_DEP_1)
	v_rcp_iflag_f32_e32 v2, v18
	s_sub_i32 s60, 0, s28
	s_waitcnt_depctr 0xfff
	v_mul_f32_e32 v2, 0x4f7ffffe, v2
	v_cvt_u32_f32_e32 v2, v2
	s_delay_alu instid0(VALU_DEP_1) | instskip(NEXT) | instid1(VALU_DEP_1)
	v_mul_lo_u32 v9, s60, v2
	v_mul_hi_u32 v9, v2, v9
	s_delay_alu instid0(VALU_DEP_1) | instskip(NEXT) | instid1(VALU_DEP_1)
	v_add_nc_u32_e32 v2, v2, v9
	v_mul_hi_u32 v2, v22, v2
	s_delay_alu instid0(VALU_DEP_1) | instskip(SKIP_1) | instid1(VALU_DEP_2)
	v_mul_lo_u32 v9, v2, s28
	v_add_nc_u32_e32 v10, 1, v2
	v_sub_nc_u32_e32 v9, v22, v9
	s_delay_alu instid0(VALU_DEP_1) | instskip(SKIP_1) | instid1(VALU_DEP_2)
	v_subrev_nc_u32_e32 v11, s28, v9
	v_cmp_le_u32_e32 vcc_lo, s28, v9
	v_dual_cndmask_b32 v9, v9, v11 :: v_dual_cndmask_b32 v2, v2, v10
	s_delay_alu instid0(VALU_DEP_1) | instskip(NEXT) | instid1(VALU_DEP_2)
	v_cmp_le_u32_e32 vcc_lo, s28, v9
	v_add_nc_u32_e32 v10, 1, v2
	s_delay_alu instid0(VALU_DEP_1)
	v_dual_cndmask_b32 v9, v2, v10 :: v_dual_mov_b32 v10, v1
.LBB43_11:                              ;   in Loop: Header=BB43_3 Depth=1
	s_or_b32 exec_lo, exec_lo, s0
	s_delay_alu instid0(VALU_DEP_1) | instskip(NEXT) | instid1(VALU_DEP_2)
	v_mul_lo_u32 v2, v10, s28
	v_mul_lo_u32 v13, v9, s29
	v_mad_u64_u32 v[11:12], null, v9, s28, 0
	v_mul_lo_u32 v14, v10, s8
	v_mul_lo_u32 v16, v9, s9
	s_mov_b32 s0, exec_lo
	s_delay_alu instid0(VALU_DEP_3) | instskip(NEXT) | instid1(VALU_DEP_4)
	v_add3_u32 v2, v12, v13, v2
	v_sub_co_u32 v10, vcc_lo, v7, v11
	s_delay_alu instid0(VALU_DEP_2) | instskip(NEXT) | instid1(VALU_DEP_2)
	v_sub_co_ci_u32_e32 v2, vcc_lo, v8, v2, vcc_lo
	v_add_co_u32 v17, vcc_lo, v3, v10
	v_mad_u64_u32 v[10:11], null, v9, s8, 0
	s_delay_alu instid0(VALU_DEP_3) | instskip(NEXT) | instid1(VALU_DEP_3)
	v_add_co_ci_u32_e32 v2, vcc_lo, v4, v2, vcc_lo
	v_mul_lo_u32 v9, v17, s11
	v_mad_u64_u32 v[12:13], null, v17, s10, 0
	s_delay_alu instid0(VALU_DEP_3) | instskip(SKIP_1) | instid1(VALU_DEP_2)
	v_mul_lo_u32 v2, v2, s10
	v_add3_u32 v11, v11, v16, v14
	v_add3_u32 v13, v13, v9, v2
	s_delay_alu instid0(VALU_DEP_2) | instskip(NEXT) | instid1(VALU_DEP_2)
	v_lshlrev_b64 v[9:10], 1, v[10:11]
	v_lshlrev_b64 v[11:12], 1, v[12:13]
	s_delay_alu instid0(VALU_DEP_2) | instskip(NEXT) | instid1(VALU_DEP_3)
	v_add_co_u32 v2, vcc_lo, s2, v9
	v_add_co_ci_u32_e32 v10, vcc_lo, s3, v10, vcc_lo
	s_delay_alu instid0(VALU_DEP_2) | instskip(NEXT) | instid1(VALU_DEP_2)
	v_add_co_u32 v9, vcc_lo, v2, v11
	v_add_co_ci_u32_e32 v10, vcc_lo, v10, v12, vcc_lo
	v_lshlrev_b64 v[11:12], 1, v[5:6]
	v_alignbit_b32 v2, v6, v5, 31
	global_load_u16 v16, v[9:10], off
	v_mul_lo_u32 v2, s4, v2
	v_mul_lo_u32 v13, s5, v11
	v_mad_u64_u32 v[9:10], null, s4, v11, s[4:5]
	s_delay_alu instid0(VALU_DEP_1) | instskip(NEXT) | instid1(VALU_DEP_2)
	v_add3_u32 v10, v13, v10, v2
	v_add_co_u32 v23, vcc_lo, v3, v9
                                        ; implicit-def: $vgpr13_vgpr14
	s_delay_alu instid0(VALU_DEP_2) | instskip(NEXT) | instid1(VALU_DEP_1)
	v_add_co_ci_u32_e32 v26, vcc_lo, v4, v10, vcc_lo
	v_or_b32_e32 v2, s29, v26
	v_ashrrev_i32_e32 v20, 31, v26
	s_delay_alu instid0(VALU_DEP_2)
	v_cmpx_ne_u64_e32 0, v[1:2]
	s_xor_b32 s72, exec_lo, s0
	s_cbranch_execz .LBB43_13
; %bb.12:                               ;   in Loop: Header=BB43_3 Depth=1
	s_ashr_i32 s60, s29, 31
	s_delay_alu instid0(SALU_CYCLE_1) | instskip(SKIP_2) | instid1(SALU_CYCLE_1)
	s_add_u32 s62, s28, s60
	s_mov_b32 s61, s60
	s_addc_u32 s63, s29, s60
	s_xor_b64 s[62:63], s[62:63], s[60:61]
	s_delay_alu instid0(SALU_CYCLE_1) | instskip(SKIP_3) | instid1(VALU_DEP_1)
	v_cvt_f32_u32_e32 v2, s62
	v_cvt_f32_u32_e32 v13, s63
	s_sub_u32 s0, 0, s62
	s_subb_u32 s61, 0, s63
	v_fmac_f32_e32 v2, 0x4f800000, v13
	s_delay_alu instid0(VALU_DEP_1) | instskip(SKIP_2) | instid1(VALU_DEP_1)
	v_rcp_f32_e32 v2, v2
	s_waitcnt_depctr 0xfff
	v_mul_f32_e32 v2, 0x5f7ffffc, v2
	v_mul_f32_e32 v13, 0x2f800000, v2
	s_delay_alu instid0(VALU_DEP_1) | instskip(NEXT) | instid1(VALU_DEP_1)
	v_trunc_f32_e32 v13, v13
	v_fmac_f32_e32 v2, 0xcf800000, v13
	v_cvt_u32_f32_e32 v13, v13
	s_delay_alu instid0(VALU_DEP_2) | instskip(NEXT) | instid1(VALU_DEP_2)
	v_cvt_u32_f32_e32 v2, v2
	v_mul_lo_u32 v14, s0, v13
	s_delay_alu instid0(VALU_DEP_2) | instskip(SKIP_1) | instid1(VALU_DEP_2)
	v_mul_hi_u32 v17, s0, v2
	v_mul_lo_u32 v21, s61, v2
	v_add_nc_u32_e32 v14, v17, v14
	v_mul_lo_u32 v17, s0, v2
	s_delay_alu instid0(VALU_DEP_2) | instskip(NEXT) | instid1(VALU_DEP_2)
	v_add_nc_u32_e32 v14, v14, v21
	v_mul_hi_u32 v21, v2, v17
	s_delay_alu instid0(VALU_DEP_2)
	v_mul_lo_u32 v24, v2, v14
	v_mul_hi_u32 v27, v2, v14
	v_mul_hi_u32 v28, v13, v17
	v_mul_lo_u32 v17, v13, v17
	v_mul_hi_u32 v29, v13, v14
	v_mul_lo_u32 v14, v13, v14
	v_add_co_u32 v21, vcc_lo, v21, v24
	v_add_co_ci_u32_e32 v24, vcc_lo, 0, v27, vcc_lo
	s_delay_alu instid0(VALU_DEP_2) | instskip(NEXT) | instid1(VALU_DEP_2)
	v_add_co_u32 v17, vcc_lo, v21, v17
	v_add_co_ci_u32_e32 v17, vcc_lo, v24, v28, vcc_lo
	v_add_co_ci_u32_e32 v21, vcc_lo, 0, v29, vcc_lo
	s_delay_alu instid0(VALU_DEP_2) | instskip(NEXT) | instid1(VALU_DEP_2)
	v_add_co_u32 v14, vcc_lo, v17, v14
	v_add_co_ci_u32_e32 v17, vcc_lo, 0, v21, vcc_lo
	s_delay_alu instid0(VALU_DEP_2) | instskip(NEXT) | instid1(VALU_DEP_2)
	v_add_co_u32 v2, vcc_lo, v2, v14
	v_add_co_ci_u32_e32 v13, vcc_lo, v13, v17, vcc_lo
	s_delay_alu instid0(VALU_DEP_2) | instskip(SKIP_1) | instid1(VALU_DEP_3)
	v_mul_hi_u32 v14, s0, v2
	v_mul_lo_u32 v21, s61, v2
	v_mul_lo_u32 v17, s0, v13
	s_delay_alu instid0(VALU_DEP_1) | instskip(SKIP_1) | instid1(VALU_DEP_2)
	v_add_nc_u32_e32 v14, v14, v17
	v_mul_lo_u32 v17, s0, v2
	v_add_nc_u32_e32 v14, v14, v21
	s_delay_alu instid0(VALU_DEP_2) | instskip(NEXT) | instid1(VALU_DEP_2)
	v_mul_hi_u32 v21, v2, v17
	v_mul_lo_u32 v24, v2, v14
	v_mul_hi_u32 v27, v2, v14
	v_mul_hi_u32 v28, v13, v17
	v_mul_lo_u32 v17, v13, v17
	v_mul_hi_u32 v29, v13, v14
	v_mul_lo_u32 v14, v13, v14
	v_add_co_u32 v21, vcc_lo, v21, v24
	v_add_co_ci_u32_e32 v24, vcc_lo, 0, v27, vcc_lo
	s_delay_alu instid0(VALU_DEP_2) | instskip(NEXT) | instid1(VALU_DEP_2)
	v_add_co_u32 v17, vcc_lo, v21, v17
	v_add_co_ci_u32_e32 v17, vcc_lo, v24, v28, vcc_lo
	v_add_co_ci_u32_e32 v21, vcc_lo, 0, v29, vcc_lo
	v_add_co_u32 v24, vcc_lo, v23, v20
	v_add_co_ci_u32_e32 v27, vcc_lo, v26, v20, vcc_lo
	s_delay_alu instid0(VALU_DEP_4) | instskip(NEXT) | instid1(VALU_DEP_4)
	v_add_co_u32 v14, vcc_lo, v17, v14
	v_add_co_ci_u32_e32 v17, vcc_lo, 0, v21, vcc_lo
	s_delay_alu instid0(VALU_DEP_4) | instskip(NEXT) | instid1(VALU_DEP_3)
	v_xor_b32_e32 v21, v24, v20
	v_add_co_u32 v2, vcc_lo, v2, v14
	s_delay_alu instid0(VALU_DEP_3) | instskip(SKIP_1) | instid1(VALU_DEP_3)
	v_add_co_ci_u32_e32 v17, vcc_lo, v13, v17, vcc_lo
	v_xor_b32_e32 v24, v27, v20
	v_mul_hi_u32 v31, v21, v2
	s_delay_alu instid0(VALU_DEP_3) | instskip(NEXT) | instid1(VALU_DEP_3)
	v_mad_u64_u32 v[13:14], null, v21, v17, 0
	v_mad_u64_u32 v[27:28], null, v24, v2, 0
	;; [unrolled: 1-line block ×3, first 2 shown]
	s_delay_alu instid0(VALU_DEP_3) | instskip(NEXT) | instid1(VALU_DEP_4)
	v_add_co_u32 v2, vcc_lo, v31, v13
	v_add_co_ci_u32_e32 v13, vcc_lo, 0, v14, vcc_lo
	s_delay_alu instid0(VALU_DEP_2) | instskip(NEXT) | instid1(VALU_DEP_2)
	v_add_co_u32 v2, vcc_lo, v2, v27
	v_add_co_ci_u32_e32 v2, vcc_lo, v13, v28, vcc_lo
	v_add_co_ci_u32_e32 v13, vcc_lo, 0, v30, vcc_lo
	s_delay_alu instid0(VALU_DEP_2) | instskip(NEXT) | instid1(VALU_DEP_2)
	v_add_co_u32 v2, vcc_lo, v2, v29
	v_add_co_ci_u32_e32 v17, vcc_lo, 0, v13, vcc_lo
	s_delay_alu instid0(VALU_DEP_2) | instskip(SKIP_1) | instid1(VALU_DEP_3)
	v_mul_lo_u32 v27, s63, v2
	v_mad_u64_u32 v[13:14], null, s62, v2, 0
	v_mul_lo_u32 v28, s62, v17
	s_delay_alu instid0(VALU_DEP_2) | instskip(NEXT) | instid1(VALU_DEP_2)
	v_sub_co_u32 v13, vcc_lo, v21, v13
	v_add3_u32 v14, v14, v28, v27
	s_delay_alu instid0(VALU_DEP_1) | instskip(NEXT) | instid1(VALU_DEP_1)
	v_sub_nc_u32_e32 v27, v24, v14
	v_subrev_co_ci_u32_e64 v21, s0, s63, v27, vcc_lo
	v_add_co_u32 v27, s0, v2, 2
	s_delay_alu instid0(VALU_DEP_1) | instskip(SKIP_3) | instid1(VALU_DEP_3)
	v_add_co_ci_u32_e64 v28, s0, 0, v17, s0
	v_sub_co_u32 v29, s0, v13, s62
	v_sub_co_ci_u32_e32 v14, vcc_lo, v24, v14, vcc_lo
	v_subrev_co_ci_u32_e64 v21, s0, 0, v21, s0
	v_cmp_le_u32_e32 vcc_lo, s62, v29
	s_delay_alu instid0(VALU_DEP_3) | instskip(SKIP_1) | instid1(VALU_DEP_4)
	v_cmp_eq_u32_e64 s0, s63, v14
	v_cndmask_b32_e64 v24, 0, -1, vcc_lo
	v_cmp_le_u32_e32 vcc_lo, s63, v21
	v_cndmask_b32_e64 v29, 0, -1, vcc_lo
	v_cmp_le_u32_e32 vcc_lo, s62, v13
	;; [unrolled: 2-line block ×3, first 2 shown]
	v_cndmask_b32_e64 v30, 0, -1, vcc_lo
	v_cmp_eq_u32_e32 vcc_lo, s63, v21
	s_delay_alu instid0(VALU_DEP_2) | instskip(SKIP_3) | instid1(VALU_DEP_3)
	v_cndmask_b32_e64 v13, v30, v13, s0
	v_cndmask_b32_e32 v21, v29, v24, vcc_lo
	v_add_co_u32 v24, vcc_lo, v2, 1
	v_add_co_ci_u32_e32 v29, vcc_lo, 0, v17, vcc_lo
	v_cmp_ne_u32_e32 vcc_lo, 0, v21
	s_delay_alu instid0(VALU_DEP_2) | instskip(SKIP_2) | instid1(VALU_DEP_3)
	v_dual_cndmask_b32 v14, v29, v28 :: v_dual_cndmask_b32 v21, v24, v27
	v_cmp_ne_u32_e32 vcc_lo, 0, v13
	v_xor_b32_e32 v24, s60, v20
	v_dual_cndmask_b32 v13, v17, v14 :: v_dual_cndmask_b32 v2, v2, v21
	s_delay_alu instid0(VALU_DEP_1) | instskip(NEXT) | instid1(VALU_DEP_2)
	v_xor_b32_e32 v14, v13, v24
	v_xor_b32_e32 v2, v2, v24
	s_delay_alu instid0(VALU_DEP_1) | instskip(NEXT) | instid1(VALU_DEP_3)
	v_sub_co_u32 v13, vcc_lo, v2, v24
	v_sub_co_ci_u32_e32 v14, vcc_lo, v14, v24, vcc_lo
.LBB43_13:                              ;   in Loop: Header=BB43_3 Depth=1
	s_and_not1_saveexec_b32 s0, s72
	s_cbranch_execz .LBB43_15
; %bb.14:                               ;   in Loop: Header=BB43_3 Depth=1
	v_rcp_iflag_f32_e32 v2, v18
	s_sub_i32 s60, 0, s28
	s_waitcnt_depctr 0xfff
	v_mul_f32_e32 v2, 0x4f7ffffe, v2
	s_delay_alu instid0(VALU_DEP_1) | instskip(NEXT) | instid1(VALU_DEP_1)
	v_cvt_u32_f32_e32 v2, v2
	v_mul_lo_u32 v13, s60, v2
	s_delay_alu instid0(VALU_DEP_1) | instskip(NEXT) | instid1(VALU_DEP_1)
	v_mul_hi_u32 v13, v2, v13
	v_add_nc_u32_e32 v2, v2, v13
	s_delay_alu instid0(VALU_DEP_1) | instskip(NEXT) | instid1(VALU_DEP_1)
	v_mul_hi_u32 v2, v23, v2
	v_mul_lo_u32 v13, v2, s28
	v_add_nc_u32_e32 v14, 1, v2
	s_delay_alu instid0(VALU_DEP_2) | instskip(NEXT) | instid1(VALU_DEP_1)
	v_sub_nc_u32_e32 v13, v23, v13
	v_subrev_nc_u32_e32 v17, s28, v13
	v_cmp_le_u32_e32 vcc_lo, s28, v13
	s_delay_alu instid0(VALU_DEP_2) | instskip(NEXT) | instid1(VALU_DEP_1)
	v_dual_cndmask_b32 v13, v13, v17 :: v_dual_cndmask_b32 v2, v2, v14
	v_cmp_le_u32_e32 vcc_lo, s28, v13
	s_delay_alu instid0(VALU_DEP_2) | instskip(NEXT) | instid1(VALU_DEP_1)
	v_add_nc_u32_e32 v14, 1, v2
	v_dual_cndmask_b32 v13, v2, v14 :: v_dual_mov_b32 v14, v1
.LBB43_15:                              ;   in Loop: Header=BB43_3 Depth=1
	s_or_b32 exec_lo, exec_lo, s0
	s_delay_alu instid0(VALU_DEP_1) | instskip(NEXT) | instid1(VALU_DEP_2)
	v_mul_lo_u32 v2, v14, s28
	v_mul_lo_u32 v17, v13, s29
	v_mad_u64_u32 v[27:28], null, v13, s28, 0
	v_mul_lo_u32 v21, v13, s9
	s_mov_b32 s0, exec_lo
	s_delay_alu instid0(VALU_DEP_2) | instskip(SKIP_1) | instid1(VALU_DEP_4)
	v_add3_u32 v2, v28, v17, v2
	v_mul_lo_u32 v17, v14, s8
	v_sub_co_u32 v14, vcc_lo, v9, v27
	v_mad_u64_u32 v[27:28], null, v13, s8, 0
	s_delay_alu instid0(VALU_DEP_4) | instskip(NEXT) | instid1(VALU_DEP_3)
	v_sub_co_ci_u32_e32 v2, vcc_lo, v10, v2, vcc_lo
	v_add_co_u32 v24, vcc_lo, v3, v14
	s_delay_alu instid0(VALU_DEP_2) | instskip(NEXT) | instid1(VALU_DEP_2)
	v_add_co_ci_u32_e32 v2, vcc_lo, v4, v2, vcc_lo
	v_mul_lo_u32 v29, v24, s11
	v_mad_u64_u32 v[13:14], null, v24, s10, 0
	s_delay_alu instid0(VALU_DEP_3) | instskip(SKIP_1) | instid1(VALU_DEP_1)
	v_mul_lo_u32 v2, v2, s10
	v_add3_u32 v28, v28, v21, v17
	v_lshlrev_b64 v[27:28], 1, v[27:28]
	s_delay_alu instid0(VALU_DEP_3) | instskip(NEXT) | instid1(VALU_DEP_2)
	v_add3_u32 v14, v14, v29, v2
	v_add_co_u32 v2, vcc_lo, s2, v27
	s_delay_alu instid0(VALU_DEP_2) | instskip(NEXT) | instid1(VALU_DEP_4)
	v_lshlrev_b64 v[13:14], 1, v[13:14]
	v_add_co_ci_u32_e32 v17, vcc_lo, s3, v28, vcc_lo
	s_delay_alu instid0(VALU_DEP_2) | instskip(NEXT) | instid1(VALU_DEP_2)
	v_add_co_u32 v13, vcc_lo, v2, v13
	v_add_co_ci_u32_e32 v14, vcc_lo, v17, v14, vcc_lo
	v_add_co_u32 v2, vcc_lo, v11, 2
	v_add_co_ci_u32_e32 v11, vcc_lo, 0, v12, vcc_lo
	global_load_u16 v17, v[13:14], off
	v_mul_lo_u32 v13, s5, v2
	v_mul_lo_u32 v14, s4, v11
	v_mad_u64_u32 v[11:12], null, s4, v2, 0
	s_delay_alu instid0(VALU_DEP_1) | instskip(NEXT) | instid1(VALU_DEP_2)
	v_add3_u32 v12, v12, v14, v13
	v_add_co_u32 v24, vcc_lo, v3, v11
                                        ; implicit-def: $vgpr13_vgpr14
	s_delay_alu instid0(VALU_DEP_2) | instskip(NEXT) | instid1(VALU_DEP_1)
	v_add_co_ci_u32_e32 v27, vcc_lo, v4, v12, vcc_lo
	v_or_b32_e32 v2, s29, v27
	v_ashrrev_i32_e32 v21, 31, v27
	s_delay_alu instid0(VALU_DEP_2)
	v_cmpx_ne_u64_e32 0, v[1:2]
	s_xor_b32 s72, exec_lo, s0
	s_cbranch_execz .LBB43_17
; %bb.16:                               ;   in Loop: Header=BB43_3 Depth=1
	s_ashr_i32 s60, s29, 31
	s_delay_alu instid0(SALU_CYCLE_1) | instskip(SKIP_2) | instid1(SALU_CYCLE_1)
	s_add_u32 s62, s28, s60
	s_mov_b32 s61, s60
	s_addc_u32 s63, s29, s60
	s_xor_b64 s[62:63], s[62:63], s[60:61]
	s_delay_alu instid0(SALU_CYCLE_1) | instskip(SKIP_3) | instid1(VALU_DEP_1)
	v_cvt_f32_u32_e32 v2, s62
	v_cvt_f32_u32_e32 v13, s63
	s_sub_u32 s0, 0, s62
	s_subb_u32 s61, 0, s63
	v_fmac_f32_e32 v2, 0x4f800000, v13
	s_delay_alu instid0(VALU_DEP_1) | instskip(SKIP_2) | instid1(VALU_DEP_1)
	v_rcp_f32_e32 v2, v2
	s_waitcnt_depctr 0xfff
	v_mul_f32_e32 v2, 0x5f7ffffc, v2
	v_mul_f32_e32 v13, 0x2f800000, v2
	s_delay_alu instid0(VALU_DEP_1) | instskip(NEXT) | instid1(VALU_DEP_1)
	v_trunc_f32_e32 v13, v13
	v_fmac_f32_e32 v2, 0xcf800000, v13
	v_cvt_u32_f32_e32 v13, v13
	s_delay_alu instid0(VALU_DEP_2) | instskip(NEXT) | instid1(VALU_DEP_2)
	v_cvt_u32_f32_e32 v2, v2
	v_mul_lo_u32 v14, s0, v13
	s_delay_alu instid0(VALU_DEP_2) | instskip(SKIP_1) | instid1(VALU_DEP_2)
	v_mul_hi_u32 v18, s0, v2
	v_mul_lo_u32 v28, s61, v2
	v_add_nc_u32_e32 v14, v18, v14
	v_mul_lo_u32 v18, s0, v2
	s_delay_alu instid0(VALU_DEP_2) | instskip(NEXT) | instid1(VALU_DEP_2)
	v_add_nc_u32_e32 v14, v14, v28
	v_mul_hi_u32 v28, v2, v18
	s_delay_alu instid0(VALU_DEP_2)
	v_mul_lo_u32 v29, v2, v14
	v_mul_hi_u32 v30, v2, v14
	v_mul_hi_u32 v31, v13, v18
	v_mul_lo_u32 v18, v13, v18
	v_mul_hi_u32 v32, v13, v14
	v_mul_lo_u32 v14, v13, v14
	v_add_co_u32 v28, vcc_lo, v28, v29
	v_add_co_ci_u32_e32 v29, vcc_lo, 0, v30, vcc_lo
	s_delay_alu instid0(VALU_DEP_2) | instskip(NEXT) | instid1(VALU_DEP_2)
	v_add_co_u32 v18, vcc_lo, v28, v18
	v_add_co_ci_u32_e32 v18, vcc_lo, v29, v31, vcc_lo
	v_add_co_ci_u32_e32 v28, vcc_lo, 0, v32, vcc_lo
	s_delay_alu instid0(VALU_DEP_2) | instskip(NEXT) | instid1(VALU_DEP_2)
	v_add_co_u32 v14, vcc_lo, v18, v14
	v_add_co_ci_u32_e32 v18, vcc_lo, 0, v28, vcc_lo
	s_delay_alu instid0(VALU_DEP_2) | instskip(NEXT) | instid1(VALU_DEP_2)
	v_add_co_u32 v2, vcc_lo, v2, v14
	v_add_co_ci_u32_e32 v13, vcc_lo, v13, v18, vcc_lo
	s_delay_alu instid0(VALU_DEP_2) | instskip(SKIP_1) | instid1(VALU_DEP_3)
	v_mul_hi_u32 v14, s0, v2
	v_mul_lo_u32 v28, s61, v2
	v_mul_lo_u32 v18, s0, v13
	s_delay_alu instid0(VALU_DEP_1) | instskip(SKIP_1) | instid1(VALU_DEP_2)
	v_add_nc_u32_e32 v14, v14, v18
	v_mul_lo_u32 v18, s0, v2
	v_add_nc_u32_e32 v14, v14, v28
	s_delay_alu instid0(VALU_DEP_2) | instskip(NEXT) | instid1(VALU_DEP_2)
	v_mul_hi_u32 v28, v2, v18
	v_mul_lo_u32 v29, v2, v14
	v_mul_hi_u32 v30, v2, v14
	v_mul_hi_u32 v31, v13, v18
	v_mul_lo_u32 v18, v13, v18
	v_mul_hi_u32 v32, v13, v14
	v_mul_lo_u32 v14, v13, v14
	v_add_co_u32 v28, vcc_lo, v28, v29
	v_add_co_ci_u32_e32 v29, vcc_lo, 0, v30, vcc_lo
	s_delay_alu instid0(VALU_DEP_2) | instskip(NEXT) | instid1(VALU_DEP_2)
	v_add_co_u32 v18, vcc_lo, v28, v18
	v_add_co_ci_u32_e32 v18, vcc_lo, v29, v31, vcc_lo
	v_add_co_ci_u32_e32 v28, vcc_lo, 0, v32, vcc_lo
	v_add_co_u32 v29, vcc_lo, v24, v21
	v_add_co_ci_u32_e32 v30, vcc_lo, v27, v21, vcc_lo
	s_delay_alu instid0(VALU_DEP_4) | instskip(NEXT) | instid1(VALU_DEP_4)
	v_add_co_u32 v14, vcc_lo, v18, v14
	v_add_co_ci_u32_e32 v18, vcc_lo, 0, v28, vcc_lo
	s_delay_alu instid0(VALU_DEP_4) | instskip(NEXT) | instid1(VALU_DEP_3)
	v_xor_b32_e32 v32, v29, v21
	v_add_co_u32 v2, vcc_lo, v2, v14
	s_delay_alu instid0(VALU_DEP_3) | instskip(SKIP_1) | instid1(VALU_DEP_3)
	v_add_co_ci_u32_e32 v18, vcc_lo, v13, v18, vcc_lo
	v_xor_b32_e32 v33, v30, v21
	v_mul_hi_u32 v34, v32, v2
	s_delay_alu instid0(VALU_DEP_3) | instskip(NEXT) | instid1(VALU_DEP_3)
	v_mad_u64_u32 v[13:14], null, v32, v18, 0
	v_mad_u64_u32 v[28:29], null, v33, v2, 0
	;; [unrolled: 1-line block ×3, first 2 shown]
	s_delay_alu instid0(VALU_DEP_3) | instskip(NEXT) | instid1(VALU_DEP_4)
	v_add_co_u32 v2, vcc_lo, v34, v13
	v_add_co_ci_u32_e32 v13, vcc_lo, 0, v14, vcc_lo
	s_delay_alu instid0(VALU_DEP_2) | instskip(NEXT) | instid1(VALU_DEP_2)
	v_add_co_u32 v2, vcc_lo, v2, v28
	v_add_co_ci_u32_e32 v2, vcc_lo, v13, v29, vcc_lo
	v_add_co_ci_u32_e32 v13, vcc_lo, 0, v31, vcc_lo
	s_delay_alu instid0(VALU_DEP_2) | instskip(NEXT) | instid1(VALU_DEP_2)
	v_add_co_u32 v2, vcc_lo, v2, v30
	v_add_co_ci_u32_e32 v18, vcc_lo, 0, v13, vcc_lo
	s_delay_alu instid0(VALU_DEP_2) | instskip(SKIP_1) | instid1(VALU_DEP_3)
	v_mul_lo_u32 v28, s63, v2
	v_mad_u64_u32 v[13:14], null, s62, v2, 0
	v_mul_lo_u32 v29, s62, v18
	s_delay_alu instid0(VALU_DEP_2) | instskip(NEXT) | instid1(VALU_DEP_2)
	v_sub_co_u32 v13, vcc_lo, v32, v13
	v_add3_u32 v14, v14, v29, v28
	s_delay_alu instid0(VALU_DEP_1) | instskip(NEXT) | instid1(VALU_DEP_1)
	v_sub_nc_u32_e32 v28, v33, v14
	v_subrev_co_ci_u32_e64 v28, s0, s63, v28, vcc_lo
	v_add_co_u32 v29, s0, v2, 2
	s_delay_alu instid0(VALU_DEP_1) | instskip(SKIP_3) | instid1(VALU_DEP_3)
	v_add_co_ci_u32_e64 v30, s0, 0, v18, s0
	v_sub_co_u32 v31, s0, v13, s62
	v_sub_co_ci_u32_e32 v14, vcc_lo, v33, v14, vcc_lo
	v_subrev_co_ci_u32_e64 v28, s0, 0, v28, s0
	v_cmp_le_u32_e32 vcc_lo, s62, v31
	s_delay_alu instid0(VALU_DEP_3) | instskip(SKIP_1) | instid1(VALU_DEP_4)
	v_cmp_eq_u32_e64 s0, s63, v14
	v_cndmask_b32_e64 v31, 0, -1, vcc_lo
	v_cmp_le_u32_e32 vcc_lo, s63, v28
	v_cndmask_b32_e64 v32, 0, -1, vcc_lo
	v_cmp_le_u32_e32 vcc_lo, s62, v13
	;; [unrolled: 2-line block ×3, first 2 shown]
	v_cndmask_b32_e64 v33, 0, -1, vcc_lo
	v_cmp_eq_u32_e32 vcc_lo, s63, v28
	s_delay_alu instid0(VALU_DEP_2) | instskip(SKIP_3) | instid1(VALU_DEP_3)
	v_cndmask_b32_e64 v13, v33, v13, s0
	v_cndmask_b32_e32 v28, v32, v31, vcc_lo
	v_add_co_u32 v31, vcc_lo, v2, 1
	v_add_co_ci_u32_e32 v32, vcc_lo, 0, v18, vcc_lo
	v_cmp_ne_u32_e32 vcc_lo, 0, v28
	s_delay_alu instid0(VALU_DEP_2) | instskip(NEXT) | instid1(VALU_DEP_4)
	v_cndmask_b32_e32 v14, v32, v30, vcc_lo
	v_cndmask_b32_e32 v28, v31, v29, vcc_lo
	v_cmp_ne_u32_e32 vcc_lo, 0, v13
	v_xor_b32_e32 v29, s60, v21
	s_delay_alu instid0(VALU_DEP_3) | instskip(SKIP_1) | instid1(VALU_DEP_2)
	v_cndmask_b32_e32 v2, v2, v28, vcc_lo
	v_cndmask_b32_e32 v13, v18, v14, vcc_lo
                                        ; implicit-def: $vgpr18
	v_xor_b32_e32 v2, v2, v29
	s_delay_alu instid0(VALU_DEP_2) | instskip(NEXT) | instid1(VALU_DEP_2)
	v_xor_b32_e32 v14, v13, v29
	v_sub_co_u32 v13, vcc_lo, v2, v29
	s_delay_alu instid0(VALU_DEP_2)
	v_sub_co_ci_u32_e32 v14, vcc_lo, v14, v29, vcc_lo
.LBB43_17:                              ;   in Loop: Header=BB43_3 Depth=1
	s_and_not1_saveexec_b32 s0, s72
	s_cbranch_execz .LBB43_19
; %bb.18:                               ;   in Loop: Header=BB43_3 Depth=1
	v_rcp_iflag_f32_e32 v2, v18
	s_sub_i32 s60, 0, s28
	s_waitcnt_depctr 0xfff
	v_mul_f32_e32 v2, 0x4f7ffffe, v2
	s_delay_alu instid0(VALU_DEP_1) | instskip(NEXT) | instid1(VALU_DEP_1)
	v_cvt_u32_f32_e32 v2, v2
	v_mul_lo_u32 v13, s60, v2
	s_delay_alu instid0(VALU_DEP_1) | instskip(NEXT) | instid1(VALU_DEP_1)
	v_mul_hi_u32 v13, v2, v13
	v_add_nc_u32_e32 v2, v2, v13
	s_delay_alu instid0(VALU_DEP_1) | instskip(NEXT) | instid1(VALU_DEP_1)
	v_mul_hi_u32 v2, v24, v2
	v_mul_lo_u32 v13, v2, s28
	v_add_nc_u32_e32 v14, 1, v2
	s_delay_alu instid0(VALU_DEP_2) | instskip(NEXT) | instid1(VALU_DEP_1)
	v_sub_nc_u32_e32 v13, v24, v13
	v_subrev_nc_u32_e32 v18, s28, v13
	v_cmp_le_u32_e32 vcc_lo, s28, v13
	s_delay_alu instid0(VALU_DEP_2) | instskip(SKIP_1) | instid1(VALU_DEP_2)
	v_cndmask_b32_e32 v13, v13, v18, vcc_lo
	v_cndmask_b32_e32 v2, v2, v14, vcc_lo
	v_cmp_le_u32_e32 vcc_lo, s28, v13
	s_delay_alu instid0(VALU_DEP_2) | instskip(NEXT) | instid1(VALU_DEP_1)
	v_add_nc_u32_e32 v14, 1, v2
	v_dual_cndmask_b32 v13, v2, v14 :: v_dual_mov_b32 v14, v1
.LBB43_19:                              ;   in Loop: Header=BB43_3 Depth=1
	s_or_b32 exec_lo, exec_lo, s0
	s_delay_alu instid0(VALU_DEP_1) | instskip(NEXT) | instid1(VALU_DEP_2)
	v_mul_lo_u32 v2, v14, s28
	v_mul_lo_u32 v18, v13, s29
	v_mad_u64_u32 v[28:29], null, v13, s28, 0
	v_mul_lo_u32 v30, v13, s9
	s_mov_b32 s0, exec_lo
	s_delay_alu instid0(VALU_DEP_2) | instskip(SKIP_1) | instid1(VALU_DEP_4)
	v_add3_u32 v2, v29, v18, v2
	v_mul_lo_u32 v18, v14, s8
	v_sub_co_u32 v14, vcc_lo, v11, v28
	v_mad_u64_u32 v[28:29], null, v13, s8, 0
	s_delay_alu instid0(VALU_DEP_4) | instskip(NEXT) | instid1(VALU_DEP_3)
	v_sub_co_ci_u32_e32 v2, vcc_lo, v12, v2, vcc_lo
	v_add_co_u32 v31, vcc_lo, v3, v14
	s_delay_alu instid0(VALU_DEP_2) | instskip(NEXT) | instid1(VALU_DEP_2)
	v_add_co_ci_u32_e32 v2, vcc_lo, v4, v2, vcc_lo
	v_mul_lo_u32 v32, v31, s11
	v_mad_u64_u32 v[13:14], null, v31, s10, 0
	s_delay_alu instid0(VALU_DEP_3) | instskip(SKIP_1) | instid1(VALU_DEP_1)
	v_mul_lo_u32 v2, v2, s10
	v_add3_u32 v29, v29, v30, v18
	v_lshlrev_b64 v[28:29], 1, v[28:29]
	s_delay_alu instid0(VALU_DEP_3) | instskip(NEXT) | instid1(VALU_DEP_2)
	v_add3_u32 v14, v14, v32, v2
	v_add_co_u32 v2, vcc_lo, s2, v28
	s_delay_alu instid0(VALU_DEP_2) | instskip(NEXT) | instid1(VALU_DEP_4)
	v_lshlrev_b64 v[13:14], 1, v[13:14]
	v_add_co_ci_u32_e32 v18, vcc_lo, s3, v29, vcc_lo
	s_delay_alu instid0(VALU_DEP_2) | instskip(NEXT) | instid1(VALU_DEP_2)
	v_add_co_u32 v13, vcc_lo, v2, v13
	v_add_co_ci_u32_e32 v14, vcc_lo, v18, v14, vcc_lo
	v_or_b32_e32 v2, s37, v25
	global_load_u16 v18, v[13:14], off
                                        ; implicit-def: $vgpr13_vgpr14
	v_cmpx_ne_u64_e32 0, v[1:2]
	s_xor_b32 s72, exec_lo, s0
	s_cbranch_execz .LBB43_21
; %bb.20:                               ;   in Loop: Header=BB43_3 Depth=1
	s_ashr_i32 s60, s37, 31
	s_delay_alu instid0(SALU_CYCLE_1) | instskip(SKIP_2) | instid1(SALU_CYCLE_1)
	s_add_u32 s62, s36, s60
	s_mov_b32 s61, s60
	s_addc_u32 s63, s37, s60
	s_xor_b64 s[62:63], s[62:63], s[60:61]
	s_delay_alu instid0(SALU_CYCLE_1) | instskip(SKIP_3) | instid1(VALU_DEP_1)
	v_cvt_f32_u32_e32 v2, s62
	v_cvt_f32_u32_e32 v13, s63
	s_sub_u32 s0, 0, s62
	s_subb_u32 s61, 0, s63
	v_fmac_f32_e32 v2, 0x4f800000, v13
	s_delay_alu instid0(VALU_DEP_1) | instskip(SKIP_2) | instid1(VALU_DEP_1)
	v_rcp_f32_e32 v2, v2
	s_waitcnt_depctr 0xfff
	v_mul_f32_e32 v2, 0x5f7ffffc, v2
	v_mul_f32_e32 v13, 0x2f800000, v2
	s_delay_alu instid0(VALU_DEP_1) | instskip(NEXT) | instid1(VALU_DEP_1)
	v_trunc_f32_e32 v13, v13
	v_fmac_f32_e32 v2, 0xcf800000, v13
	v_cvt_u32_f32_e32 v13, v13
	s_delay_alu instid0(VALU_DEP_2) | instskip(NEXT) | instid1(VALU_DEP_2)
	v_cvt_u32_f32_e32 v2, v2
	v_mul_lo_u32 v14, s0, v13
	s_delay_alu instid0(VALU_DEP_2) | instskip(SKIP_1) | instid1(VALU_DEP_2)
	v_mul_hi_u32 v28, s0, v2
	v_mul_lo_u32 v29, s61, v2
	v_add_nc_u32_e32 v14, v28, v14
	v_mul_lo_u32 v28, s0, v2
	s_delay_alu instid0(VALU_DEP_2) | instskip(NEXT) | instid1(VALU_DEP_2)
	v_add_nc_u32_e32 v14, v14, v29
	v_mul_hi_u32 v29, v2, v28
	s_delay_alu instid0(VALU_DEP_2)
	v_mul_lo_u32 v30, v2, v14
	v_mul_hi_u32 v31, v2, v14
	v_mul_hi_u32 v32, v13, v28
	v_mul_lo_u32 v28, v13, v28
	v_mul_hi_u32 v33, v13, v14
	v_mul_lo_u32 v14, v13, v14
	v_add_co_u32 v29, vcc_lo, v29, v30
	v_add_co_ci_u32_e32 v30, vcc_lo, 0, v31, vcc_lo
	s_delay_alu instid0(VALU_DEP_2) | instskip(NEXT) | instid1(VALU_DEP_2)
	v_add_co_u32 v28, vcc_lo, v29, v28
	v_add_co_ci_u32_e32 v28, vcc_lo, v30, v32, vcc_lo
	v_add_co_ci_u32_e32 v29, vcc_lo, 0, v33, vcc_lo
	s_delay_alu instid0(VALU_DEP_2) | instskip(NEXT) | instid1(VALU_DEP_2)
	v_add_co_u32 v14, vcc_lo, v28, v14
	v_add_co_ci_u32_e32 v28, vcc_lo, 0, v29, vcc_lo
	s_delay_alu instid0(VALU_DEP_2) | instskip(NEXT) | instid1(VALU_DEP_2)
	v_add_co_u32 v2, vcc_lo, v2, v14
	v_add_co_ci_u32_e32 v13, vcc_lo, v13, v28, vcc_lo
	s_delay_alu instid0(VALU_DEP_2) | instskip(SKIP_1) | instid1(VALU_DEP_3)
	v_mul_hi_u32 v14, s0, v2
	v_mul_lo_u32 v29, s61, v2
	v_mul_lo_u32 v28, s0, v13
	s_delay_alu instid0(VALU_DEP_1) | instskip(SKIP_1) | instid1(VALU_DEP_2)
	v_add_nc_u32_e32 v14, v14, v28
	v_mul_lo_u32 v28, s0, v2
	v_add_nc_u32_e32 v14, v14, v29
	s_delay_alu instid0(VALU_DEP_2) | instskip(NEXT) | instid1(VALU_DEP_2)
	v_mul_hi_u32 v29, v2, v28
	v_mul_lo_u32 v30, v2, v14
	v_mul_hi_u32 v31, v2, v14
	v_mul_hi_u32 v32, v13, v28
	v_mul_lo_u32 v28, v13, v28
	v_mul_hi_u32 v33, v13, v14
	v_mul_lo_u32 v14, v13, v14
	v_add_co_u32 v29, vcc_lo, v29, v30
	v_add_co_ci_u32_e32 v30, vcc_lo, 0, v31, vcc_lo
	s_delay_alu instid0(VALU_DEP_2) | instskip(NEXT) | instid1(VALU_DEP_2)
	v_add_co_u32 v28, vcc_lo, v29, v28
	v_add_co_ci_u32_e32 v28, vcc_lo, v30, v32, vcc_lo
	v_add_co_ci_u32_e32 v29, vcc_lo, 0, v33, vcc_lo
	v_add_co_u32 v22, vcc_lo, v22, v19
	v_add_co_ci_u32_e32 v25, vcc_lo, v25, v19, vcc_lo
	s_delay_alu instid0(VALU_DEP_4) | instskip(NEXT) | instid1(VALU_DEP_4)
	v_add_co_u32 v14, vcc_lo, v28, v14
	v_add_co_ci_u32_e32 v28, vcc_lo, 0, v29, vcc_lo
	s_delay_alu instid0(VALU_DEP_4) | instskip(NEXT) | instid1(VALU_DEP_3)
	v_xor_b32_e32 v22, v22, v19
	v_add_co_u32 v2, vcc_lo, v2, v14
	s_delay_alu instid0(VALU_DEP_3) | instskip(SKIP_1) | instid1(VALU_DEP_3)
	v_add_co_ci_u32_e32 v32, vcc_lo, v13, v28, vcc_lo
	v_xor_b32_e32 v25, v25, v19
	v_mul_hi_u32 v33, v22, v2
	v_xor_b32_e32 v19, s60, v19
	s_delay_alu instid0(VALU_DEP_4) | instskip(NEXT) | instid1(VALU_DEP_4)
	v_mad_u64_u32 v[13:14], null, v22, v32, 0
	v_mad_u64_u32 v[28:29], null, v25, v2, 0
	v_mad_u64_u32 v[30:31], null, v25, v32, 0
	s_delay_alu instid0(VALU_DEP_3) | instskip(NEXT) | instid1(VALU_DEP_4)
	v_add_co_u32 v2, vcc_lo, v33, v13
	v_add_co_ci_u32_e32 v13, vcc_lo, 0, v14, vcc_lo
	s_delay_alu instid0(VALU_DEP_2) | instskip(NEXT) | instid1(VALU_DEP_2)
	v_add_co_u32 v2, vcc_lo, v2, v28
	v_add_co_ci_u32_e32 v2, vcc_lo, v13, v29, vcc_lo
	v_add_co_ci_u32_e32 v13, vcc_lo, 0, v31, vcc_lo
	s_delay_alu instid0(VALU_DEP_2) | instskip(NEXT) | instid1(VALU_DEP_2)
	v_add_co_u32 v2, vcc_lo, v2, v30
	v_add_co_ci_u32_e32 v28, vcc_lo, 0, v13, vcc_lo
	s_delay_alu instid0(VALU_DEP_2) | instskip(SKIP_1) | instid1(VALU_DEP_3)
	v_mul_lo_u32 v29, s63, v2
	v_mad_u64_u32 v[13:14], null, s62, v2, 0
	v_mul_lo_u32 v30, s62, v28
	s_delay_alu instid0(VALU_DEP_2) | instskip(NEXT) | instid1(VALU_DEP_2)
	v_sub_co_u32 v13, vcc_lo, v22, v13
	v_add3_u32 v14, v14, v30, v29
	s_delay_alu instid0(VALU_DEP_1) | instskip(NEXT) | instid1(VALU_DEP_1)
	v_sub_nc_u32_e32 v29, v25, v14
	v_subrev_co_ci_u32_e64 v22, s0, s63, v29, vcc_lo
	v_add_co_u32 v29, s0, v2, 2
	s_delay_alu instid0(VALU_DEP_1) | instskip(SKIP_3) | instid1(VALU_DEP_3)
	v_add_co_ci_u32_e64 v30, s0, 0, v28, s0
	v_sub_co_u32 v31, s0, v13, s62
	v_sub_co_ci_u32_e32 v14, vcc_lo, v25, v14, vcc_lo
	v_subrev_co_ci_u32_e64 v22, s0, 0, v22, s0
	v_cmp_le_u32_e32 vcc_lo, s62, v31
	s_delay_alu instid0(VALU_DEP_3) | instskip(SKIP_1) | instid1(VALU_DEP_4)
	v_cmp_eq_u32_e64 s0, s63, v14
	v_cndmask_b32_e64 v25, 0, -1, vcc_lo
	v_cmp_le_u32_e32 vcc_lo, s63, v22
	v_cndmask_b32_e64 v31, 0, -1, vcc_lo
	v_cmp_le_u32_e32 vcc_lo, s62, v13
	;; [unrolled: 2-line block ×3, first 2 shown]
	v_cndmask_b32_e64 v32, 0, -1, vcc_lo
	v_cmp_eq_u32_e32 vcc_lo, s63, v22
	s_delay_alu instid0(VALU_DEP_2) | instskip(SKIP_3) | instid1(VALU_DEP_3)
	v_cndmask_b32_e64 v13, v32, v13, s0
	v_cndmask_b32_e32 v22, v31, v25, vcc_lo
	v_add_co_u32 v25, vcc_lo, v2, 1
	v_add_co_ci_u32_e32 v31, vcc_lo, 0, v28, vcc_lo
	v_cmp_ne_u32_e32 vcc_lo, 0, v22
	s_delay_alu instid0(VALU_DEP_2) | instskip(NEXT) | instid1(VALU_DEP_4)
	v_cndmask_b32_e32 v14, v31, v30, vcc_lo
	v_cndmask_b32_e32 v22, v25, v29, vcc_lo
	v_cmp_ne_u32_e32 vcc_lo, 0, v13
	s_delay_alu instid0(VALU_DEP_2) | instskip(NEXT) | instid1(VALU_DEP_4)
	v_cndmask_b32_e32 v2, v2, v22, vcc_lo
	v_cndmask_b32_e32 v13, v28, v14, vcc_lo
                                        ; implicit-def: $vgpr22
	s_delay_alu instid0(VALU_DEP_2) | instskip(NEXT) | instid1(VALU_DEP_2)
	v_xor_b32_e32 v2, v2, v19
	v_xor_b32_e32 v14, v13, v19
	s_delay_alu instid0(VALU_DEP_2) | instskip(NEXT) | instid1(VALU_DEP_2)
	v_sub_co_u32 v13, vcc_lo, v2, v19
	v_sub_co_ci_u32_e32 v14, vcc_lo, v14, v19, vcc_lo
.LBB43_21:                              ;   in Loop: Header=BB43_3 Depth=1
	s_or_saveexec_b32 s0, s72
	v_cvt_f32_u32_e32 v19, s36
	s_xor_b32 exec_lo, exec_lo, s0
	s_cbranch_execz .LBB43_23
; %bb.22:                               ;   in Loop: Header=BB43_3 Depth=1
	s_delay_alu instid0(VALU_DEP_1) | instskip(SKIP_3) | instid1(VALU_DEP_1)
	v_rcp_iflag_f32_e32 v2, v19
	s_sub_i32 s60, 0, s36
	s_waitcnt_depctr 0xfff
	v_mul_f32_e32 v2, 0x4f7ffffe, v2
	v_cvt_u32_f32_e32 v2, v2
	s_delay_alu instid0(VALU_DEP_1) | instskip(NEXT) | instid1(VALU_DEP_1)
	v_mul_lo_u32 v13, s60, v2
	v_mul_hi_u32 v13, v2, v13
	s_delay_alu instid0(VALU_DEP_1) | instskip(NEXT) | instid1(VALU_DEP_1)
	v_add_nc_u32_e32 v2, v2, v13
	v_mul_hi_u32 v2, v22, v2
	s_delay_alu instid0(VALU_DEP_1) | instskip(SKIP_1) | instid1(VALU_DEP_2)
	v_mul_lo_u32 v13, v2, s36
	v_add_nc_u32_e32 v14, 1, v2
	v_sub_nc_u32_e32 v13, v22, v13
	s_delay_alu instid0(VALU_DEP_1) | instskip(SKIP_1) | instid1(VALU_DEP_2)
	v_subrev_nc_u32_e32 v22, s36, v13
	v_cmp_le_u32_e32 vcc_lo, s36, v13
	v_cndmask_b32_e32 v13, v13, v22, vcc_lo
	v_cndmask_b32_e32 v2, v2, v14, vcc_lo
	s_delay_alu instid0(VALU_DEP_2) | instskip(NEXT) | instid1(VALU_DEP_2)
	v_cmp_le_u32_e32 vcc_lo, s36, v13
	v_add_nc_u32_e32 v14, 1, v2
	s_delay_alu instid0(VALU_DEP_1)
	v_dual_cndmask_b32 v13, v2, v14 :: v_dual_mov_b32 v14, v1
.LBB43_23:                              ;   in Loop: Header=BB43_3 Depth=1
	s_or_b32 exec_lo, exec_lo, s0
	s_delay_alu instid0(VALU_DEP_1) | instskip(NEXT) | instid1(VALU_DEP_2)
	v_mul_lo_u32 v2, v14, s36
	v_mul_lo_u32 v22, v13, s37
	v_mad_u64_u32 v[28:29], null, v13, s36, 0
	v_mul_lo_u32 v25, v13, s13
	s_mov_b32 s0, exec_lo
	s_delay_alu instid0(VALU_DEP_2) | instskip(NEXT) | instid1(VALU_DEP_3)
	v_add3_u32 v2, v29, v22, v2
	v_sub_co_u32 v7, vcc_lo, v7, v28
	v_mul_lo_u32 v22, v14, s12
	s_delay_alu instid0(VALU_DEP_3) | instskip(NEXT) | instid1(VALU_DEP_3)
	v_sub_co_ci_u32_e32 v2, vcc_lo, v8, v2, vcc_lo
	v_add_co_u32 v28, vcc_lo, v3, v7
	v_mad_u64_u32 v[7:8], null, v13, s12, 0
	s_delay_alu instid0(VALU_DEP_3) | instskip(NEXT) | instid1(VALU_DEP_3)
	v_add_co_ci_u32_e32 v2, vcc_lo, v4, v2, vcc_lo
	v_mul_lo_u32 v29, v28, s15
	v_mad_u64_u32 v[13:14], null, v28, s14, 0
	s_delay_alu instid0(VALU_DEP_3) | instskip(SKIP_1) | instid1(VALU_DEP_1)
	v_mul_lo_u32 v2, v2, s14
	v_add3_u32 v8, v8, v25, v22
	v_lshlrev_b64 v[7:8], 1, v[7:8]
	s_delay_alu instid0(VALU_DEP_3) | instskip(NEXT) | instid1(VALU_DEP_2)
	v_add3_u32 v14, v14, v29, v2
	v_add_co_u32 v2, vcc_lo, s30, v7
	s_delay_alu instid0(VALU_DEP_2) | instskip(NEXT) | instid1(VALU_DEP_4)
	v_lshlrev_b64 v[13:14], 1, v[13:14]
	v_add_co_ci_u32_e32 v8, vcc_lo, s31, v8, vcc_lo
	s_delay_alu instid0(VALU_DEP_2) | instskip(NEXT) | instid1(VALU_DEP_2)
	v_add_co_u32 v7, vcc_lo, v2, v13
	v_add_co_ci_u32_e32 v8, vcc_lo, v8, v14, vcc_lo
	v_or_b32_e32 v2, s37, v26
	global_load_u16 v14, v[7:8], off
                                        ; implicit-def: $vgpr7_vgpr8
	v_cmpx_ne_u64_e32 0, v[1:2]
	s_xor_b32 s72, exec_lo, s0
	s_cbranch_execz .LBB43_25
; %bb.24:                               ;   in Loop: Header=BB43_3 Depth=1
	s_ashr_i32 s60, s37, 31
	s_delay_alu instid0(SALU_CYCLE_1) | instskip(SKIP_2) | instid1(SALU_CYCLE_1)
	s_add_u32 s62, s36, s60
	s_mov_b32 s61, s60
	s_addc_u32 s63, s37, s60
	s_xor_b64 s[62:63], s[62:63], s[60:61]
	s_delay_alu instid0(SALU_CYCLE_1) | instskip(SKIP_3) | instid1(VALU_DEP_1)
	v_cvt_f32_u32_e32 v2, s62
	v_cvt_f32_u32_e32 v7, s63
	s_sub_u32 s0, 0, s62
	s_subb_u32 s61, 0, s63
	v_fmac_f32_e32 v2, 0x4f800000, v7
	s_delay_alu instid0(VALU_DEP_1) | instskip(SKIP_2) | instid1(VALU_DEP_1)
	v_rcp_f32_e32 v2, v2
	s_waitcnt_depctr 0xfff
	v_mul_f32_e32 v2, 0x5f7ffffc, v2
	v_mul_f32_e32 v7, 0x2f800000, v2
	s_delay_alu instid0(VALU_DEP_1) | instskip(NEXT) | instid1(VALU_DEP_1)
	v_trunc_f32_e32 v7, v7
	v_fmac_f32_e32 v2, 0xcf800000, v7
	v_cvt_u32_f32_e32 v7, v7
	s_delay_alu instid0(VALU_DEP_2) | instskip(NEXT) | instid1(VALU_DEP_2)
	v_cvt_u32_f32_e32 v2, v2
	v_mul_lo_u32 v8, s0, v7
	s_delay_alu instid0(VALU_DEP_2) | instskip(SKIP_1) | instid1(VALU_DEP_2)
	v_mul_hi_u32 v13, s0, v2
	v_mul_lo_u32 v22, s61, v2
	v_add_nc_u32_e32 v8, v13, v8
	v_mul_lo_u32 v13, s0, v2
	s_delay_alu instid0(VALU_DEP_2) | instskip(NEXT) | instid1(VALU_DEP_2)
	v_add_nc_u32_e32 v8, v8, v22
	v_mul_hi_u32 v22, v2, v13
	s_delay_alu instid0(VALU_DEP_2)
	v_mul_lo_u32 v25, v2, v8
	v_mul_hi_u32 v28, v2, v8
	v_mul_hi_u32 v29, v7, v13
	v_mul_lo_u32 v13, v7, v13
	v_mul_hi_u32 v30, v7, v8
	v_mul_lo_u32 v8, v7, v8
	v_add_co_u32 v22, vcc_lo, v22, v25
	v_add_co_ci_u32_e32 v25, vcc_lo, 0, v28, vcc_lo
	s_delay_alu instid0(VALU_DEP_2) | instskip(NEXT) | instid1(VALU_DEP_2)
	v_add_co_u32 v13, vcc_lo, v22, v13
	v_add_co_ci_u32_e32 v13, vcc_lo, v25, v29, vcc_lo
	v_add_co_ci_u32_e32 v22, vcc_lo, 0, v30, vcc_lo
	s_delay_alu instid0(VALU_DEP_2) | instskip(NEXT) | instid1(VALU_DEP_2)
	v_add_co_u32 v8, vcc_lo, v13, v8
	v_add_co_ci_u32_e32 v13, vcc_lo, 0, v22, vcc_lo
	s_delay_alu instid0(VALU_DEP_2) | instskip(NEXT) | instid1(VALU_DEP_2)
	v_add_co_u32 v2, vcc_lo, v2, v8
	v_add_co_ci_u32_e32 v7, vcc_lo, v7, v13, vcc_lo
	s_delay_alu instid0(VALU_DEP_2) | instskip(SKIP_1) | instid1(VALU_DEP_3)
	v_mul_hi_u32 v8, s0, v2
	v_mul_lo_u32 v22, s61, v2
	v_mul_lo_u32 v13, s0, v7
	s_delay_alu instid0(VALU_DEP_1) | instskip(SKIP_1) | instid1(VALU_DEP_2)
	v_add_nc_u32_e32 v8, v8, v13
	v_mul_lo_u32 v13, s0, v2
	v_add_nc_u32_e32 v8, v8, v22
	s_delay_alu instid0(VALU_DEP_2) | instskip(NEXT) | instid1(VALU_DEP_2)
	v_mul_hi_u32 v22, v2, v13
	v_mul_lo_u32 v25, v2, v8
	v_mul_hi_u32 v28, v2, v8
	v_mul_hi_u32 v29, v7, v13
	v_mul_lo_u32 v13, v7, v13
	v_mul_hi_u32 v30, v7, v8
	v_mul_lo_u32 v8, v7, v8
	v_add_co_u32 v22, vcc_lo, v22, v25
	v_add_co_ci_u32_e32 v25, vcc_lo, 0, v28, vcc_lo
	s_delay_alu instid0(VALU_DEP_2) | instskip(NEXT) | instid1(VALU_DEP_2)
	v_add_co_u32 v13, vcc_lo, v22, v13
	v_add_co_ci_u32_e32 v13, vcc_lo, v25, v29, vcc_lo
	v_add_co_ci_u32_e32 v22, vcc_lo, 0, v30, vcc_lo
	v_add_co_u32 v23, vcc_lo, v23, v20
	v_add_co_ci_u32_e32 v25, vcc_lo, v26, v20, vcc_lo
	s_delay_alu instid0(VALU_DEP_4) | instskip(NEXT) | instid1(VALU_DEP_4)
	v_add_co_u32 v8, vcc_lo, v13, v8
	v_add_co_ci_u32_e32 v13, vcc_lo, 0, v22, vcc_lo
	s_delay_alu instid0(VALU_DEP_4) | instskip(NEXT) | instid1(VALU_DEP_3)
	v_xor_b32_e32 v28, v23, v20
	v_add_co_u32 v2, vcc_lo, v2, v8
	s_delay_alu instid0(VALU_DEP_3) | instskip(SKIP_1) | instid1(VALU_DEP_3)
	v_add_co_ci_u32_e32 v13, vcc_lo, v7, v13, vcc_lo
	v_xor_b32_e32 v29, v25, v20
	v_mul_hi_u32 v30, v28, v2
	v_xor_b32_e32 v20, s60, v20
	s_delay_alu instid0(VALU_DEP_4) | instskip(NEXT) | instid1(VALU_DEP_4)
	v_mad_u64_u32 v[7:8], null, v28, v13, 0
	v_mad_u64_u32 v[22:23], null, v29, v2, 0
	;; [unrolled: 1-line block ×3, first 2 shown]
	s_delay_alu instid0(VALU_DEP_3) | instskip(NEXT) | instid1(VALU_DEP_4)
	v_add_co_u32 v2, vcc_lo, v30, v7
	v_add_co_ci_u32_e32 v7, vcc_lo, 0, v8, vcc_lo
	s_delay_alu instid0(VALU_DEP_2) | instskip(NEXT) | instid1(VALU_DEP_2)
	v_add_co_u32 v2, vcc_lo, v2, v22
	v_add_co_ci_u32_e32 v2, vcc_lo, v7, v23, vcc_lo
	v_add_co_ci_u32_e32 v7, vcc_lo, 0, v26, vcc_lo
	s_delay_alu instid0(VALU_DEP_2) | instskip(NEXT) | instid1(VALU_DEP_2)
	v_add_co_u32 v2, vcc_lo, v2, v25
	v_add_co_ci_u32_e32 v13, vcc_lo, 0, v7, vcc_lo
	s_delay_alu instid0(VALU_DEP_2) | instskip(SKIP_1) | instid1(VALU_DEP_3)
	v_mul_lo_u32 v22, s63, v2
	v_mad_u64_u32 v[7:8], null, s62, v2, 0
	v_mul_lo_u32 v23, s62, v13
	s_delay_alu instid0(VALU_DEP_2) | instskip(NEXT) | instid1(VALU_DEP_2)
	v_sub_co_u32 v7, vcc_lo, v28, v7
	v_add3_u32 v8, v8, v23, v22
	s_delay_alu instid0(VALU_DEP_1) | instskip(NEXT) | instid1(VALU_DEP_1)
	v_sub_nc_u32_e32 v22, v29, v8
	v_subrev_co_ci_u32_e64 v22, s0, s63, v22, vcc_lo
	v_add_co_u32 v23, s0, v2, 2
	s_delay_alu instid0(VALU_DEP_1) | instskip(SKIP_3) | instid1(VALU_DEP_3)
	v_add_co_ci_u32_e64 v25, s0, 0, v13, s0
	v_sub_co_u32 v26, s0, v7, s62
	v_sub_co_ci_u32_e32 v8, vcc_lo, v29, v8, vcc_lo
	v_subrev_co_ci_u32_e64 v22, s0, 0, v22, s0
	v_cmp_le_u32_e32 vcc_lo, s62, v26
	s_delay_alu instid0(VALU_DEP_3) | instskip(SKIP_1) | instid1(VALU_DEP_4)
	v_cmp_eq_u32_e64 s0, s63, v8
	v_cndmask_b32_e64 v26, 0, -1, vcc_lo
	v_cmp_le_u32_e32 vcc_lo, s63, v22
	v_cndmask_b32_e64 v28, 0, -1, vcc_lo
	v_cmp_le_u32_e32 vcc_lo, s62, v7
	;; [unrolled: 2-line block ×3, first 2 shown]
	v_cndmask_b32_e64 v29, 0, -1, vcc_lo
	v_cmp_eq_u32_e32 vcc_lo, s63, v22
	s_delay_alu instid0(VALU_DEP_2) | instskip(SKIP_3) | instid1(VALU_DEP_3)
	v_cndmask_b32_e64 v7, v29, v7, s0
	v_cndmask_b32_e32 v22, v28, v26, vcc_lo
	v_add_co_u32 v26, vcc_lo, v2, 1
	v_add_co_ci_u32_e32 v28, vcc_lo, 0, v13, vcc_lo
	v_cmp_ne_u32_e32 vcc_lo, 0, v22
	s_delay_alu instid0(VALU_DEP_2) | instskip(NEXT) | instid1(VALU_DEP_4)
	v_cndmask_b32_e32 v8, v28, v25, vcc_lo
	v_cndmask_b32_e32 v22, v26, v23, vcc_lo
	v_cmp_ne_u32_e32 vcc_lo, 0, v7
                                        ; implicit-def: $vgpr23
	s_delay_alu instid0(VALU_DEP_2) | instskip(NEXT) | instid1(VALU_DEP_1)
	v_dual_cndmask_b32 v2, v2, v22 :: v_dual_cndmask_b32 v7, v13, v8
	v_xor_b32_e32 v2, v2, v20
	s_delay_alu instid0(VALU_DEP_2) | instskip(NEXT) | instid1(VALU_DEP_2)
	v_xor_b32_e32 v8, v7, v20
	v_sub_co_u32 v7, vcc_lo, v2, v20
	s_delay_alu instid0(VALU_DEP_2)
	v_sub_co_ci_u32_e32 v8, vcc_lo, v8, v20, vcc_lo
.LBB43_25:                              ;   in Loop: Header=BB43_3 Depth=1
	s_and_not1_saveexec_b32 s0, s72
	s_cbranch_execz .LBB43_27
; %bb.26:                               ;   in Loop: Header=BB43_3 Depth=1
	v_rcp_iflag_f32_e32 v2, v19
	s_sub_i32 s60, 0, s36
	s_waitcnt_depctr 0xfff
	v_mul_f32_e32 v2, 0x4f7ffffe, v2
	s_delay_alu instid0(VALU_DEP_1) | instskip(NEXT) | instid1(VALU_DEP_1)
	v_cvt_u32_f32_e32 v2, v2
	v_mul_lo_u32 v7, s60, v2
	s_delay_alu instid0(VALU_DEP_1) | instskip(NEXT) | instid1(VALU_DEP_1)
	v_mul_hi_u32 v7, v2, v7
	v_add_nc_u32_e32 v2, v2, v7
	s_delay_alu instid0(VALU_DEP_1) | instskip(NEXT) | instid1(VALU_DEP_1)
	v_mul_hi_u32 v2, v23, v2
	v_mul_lo_u32 v7, v2, s36
	v_add_nc_u32_e32 v8, 1, v2
	s_delay_alu instid0(VALU_DEP_2) | instskip(NEXT) | instid1(VALU_DEP_1)
	v_sub_nc_u32_e32 v7, v23, v7
	v_subrev_nc_u32_e32 v13, s36, v7
	v_cmp_le_u32_e32 vcc_lo, s36, v7
	s_delay_alu instid0(VALU_DEP_2) | instskip(NEXT) | instid1(VALU_DEP_1)
	v_dual_cndmask_b32 v7, v7, v13 :: v_dual_cndmask_b32 v2, v2, v8
	v_cmp_le_u32_e32 vcc_lo, s36, v7
	s_delay_alu instid0(VALU_DEP_2) | instskip(NEXT) | instid1(VALU_DEP_1)
	v_add_nc_u32_e32 v8, 1, v2
	v_dual_cndmask_b32 v7, v2, v8 :: v_dual_mov_b32 v8, v1
.LBB43_27:                              ;   in Loop: Header=BB43_3 Depth=1
	s_or_b32 exec_lo, exec_lo, s0
	s_delay_alu instid0(VALU_DEP_1) | instskip(NEXT) | instid1(VALU_DEP_2)
	v_mul_lo_u32 v2, v8, s36
	v_mul_lo_u32 v13, v7, s37
	v_mad_u64_u32 v[22:23], null, v7, s36, 0
	s_mov_b32 s0, exec_lo
	s_delay_alu instid0(VALU_DEP_1) | instskip(SKIP_1) | instid1(VALU_DEP_3)
	v_add3_u32 v2, v23, v13, v2
	v_mul_lo_u32 v13, v8, s12
	v_sub_co_u32 v8, vcc_lo, v9, v22
	s_delay_alu instid0(VALU_DEP_3) | instskip(NEXT) | instid1(VALU_DEP_2)
	v_sub_co_ci_u32_e32 v2, vcc_lo, v10, v2, vcc_lo
	v_add_co_u32 v20, vcc_lo, v3, v8
	v_mul_lo_u32 v10, v7, s13
	s_delay_alu instid0(VALU_DEP_3) | instskip(SKIP_1) | instid1(VALU_DEP_4)
	v_add_co_ci_u32_e32 v2, vcc_lo, v4, v2, vcc_lo
	v_mad_u64_u32 v[8:9], null, v7, s12, 0
	v_mul_lo_u32 v7, v20, s15
	v_mad_u64_u32 v[22:23], null, v20, s14, 0
	s_delay_alu instid0(VALU_DEP_4) | instskip(NEXT) | instid1(VALU_DEP_4)
	v_mul_lo_u32 v2, v2, s14
	v_add3_u32 v9, v9, v10, v13
	s_delay_alu instid0(VALU_DEP_2) | instskip(NEXT) | instid1(VALU_DEP_2)
	v_add3_u32 v23, v23, v7, v2
	v_lshlrev_b64 v[7:8], 1, v[8:9]
	s_delay_alu instid0(VALU_DEP_2) | instskip(NEXT) | instid1(VALU_DEP_2)
	v_lshlrev_b64 v[9:10], 1, v[22:23]
	v_add_co_u32 v2, vcc_lo, s30, v7
	s_delay_alu instid0(VALU_DEP_3) | instskip(NEXT) | instid1(VALU_DEP_2)
	v_add_co_ci_u32_e32 v8, vcc_lo, s31, v8, vcc_lo
	v_add_co_u32 v7, vcc_lo, v2, v9
	s_delay_alu instid0(VALU_DEP_2)
	v_add_co_ci_u32_e32 v8, vcc_lo, v8, v10, vcc_lo
	v_or_b32_e32 v2, s37, v27
	global_load_u16 v9, v[7:8], off
                                        ; implicit-def: $vgpr7_vgpr8
	v_cmpx_ne_u64_e32 0, v[1:2]
	s_xor_b32 s72, exec_lo, s0
	s_cbranch_execz .LBB43_29
; %bb.28:                               ;   in Loop: Header=BB43_3 Depth=1
	s_ashr_i32 s60, s37, 31
	s_delay_alu instid0(SALU_CYCLE_1) | instskip(SKIP_2) | instid1(SALU_CYCLE_1)
	s_add_u32 s62, s36, s60
	s_mov_b32 s61, s60
	s_addc_u32 s63, s37, s60
	s_xor_b64 s[62:63], s[62:63], s[60:61]
	s_delay_alu instid0(SALU_CYCLE_1) | instskip(SKIP_3) | instid1(VALU_DEP_1)
	v_cvt_f32_u32_e32 v2, s62
	v_cvt_f32_u32_e32 v7, s63
	s_sub_u32 s0, 0, s62
	s_subb_u32 s61, 0, s63
	v_fmac_f32_e32 v2, 0x4f800000, v7
	s_delay_alu instid0(VALU_DEP_1) | instskip(SKIP_2) | instid1(VALU_DEP_1)
	v_rcp_f32_e32 v2, v2
	s_waitcnt_depctr 0xfff
	v_mul_f32_e32 v2, 0x5f7ffffc, v2
	v_mul_f32_e32 v7, 0x2f800000, v2
	s_delay_alu instid0(VALU_DEP_1) | instskip(NEXT) | instid1(VALU_DEP_1)
	v_trunc_f32_e32 v7, v7
	v_fmac_f32_e32 v2, 0xcf800000, v7
	v_cvt_u32_f32_e32 v7, v7
	s_delay_alu instid0(VALU_DEP_2) | instskip(NEXT) | instid1(VALU_DEP_2)
	v_cvt_u32_f32_e32 v2, v2
	v_mul_lo_u32 v8, s0, v7
	s_delay_alu instid0(VALU_DEP_2) | instskip(SKIP_1) | instid1(VALU_DEP_2)
	v_mul_hi_u32 v10, s0, v2
	v_mul_lo_u32 v13, s61, v2
	v_add_nc_u32_e32 v8, v10, v8
	v_mul_lo_u32 v10, s0, v2
	s_delay_alu instid0(VALU_DEP_2) | instskip(NEXT) | instid1(VALU_DEP_2)
	v_add_nc_u32_e32 v8, v8, v13
	v_mul_hi_u32 v13, v2, v10
	s_delay_alu instid0(VALU_DEP_2)
	v_mul_lo_u32 v19, v2, v8
	v_mul_hi_u32 v20, v2, v8
	v_mul_hi_u32 v22, v7, v10
	v_mul_lo_u32 v10, v7, v10
	v_mul_hi_u32 v23, v7, v8
	v_mul_lo_u32 v8, v7, v8
	v_add_co_u32 v13, vcc_lo, v13, v19
	v_add_co_ci_u32_e32 v19, vcc_lo, 0, v20, vcc_lo
	s_delay_alu instid0(VALU_DEP_2) | instskip(NEXT) | instid1(VALU_DEP_2)
	v_add_co_u32 v10, vcc_lo, v13, v10
	v_add_co_ci_u32_e32 v10, vcc_lo, v19, v22, vcc_lo
	v_add_co_ci_u32_e32 v13, vcc_lo, 0, v23, vcc_lo
	s_delay_alu instid0(VALU_DEP_2) | instskip(NEXT) | instid1(VALU_DEP_2)
	v_add_co_u32 v8, vcc_lo, v10, v8
	v_add_co_ci_u32_e32 v10, vcc_lo, 0, v13, vcc_lo
	s_delay_alu instid0(VALU_DEP_2) | instskip(NEXT) | instid1(VALU_DEP_2)
	v_add_co_u32 v2, vcc_lo, v2, v8
	v_add_co_ci_u32_e32 v7, vcc_lo, v7, v10, vcc_lo
	s_delay_alu instid0(VALU_DEP_2) | instskip(SKIP_1) | instid1(VALU_DEP_3)
	v_mul_hi_u32 v8, s0, v2
	v_mul_lo_u32 v13, s61, v2
	v_mul_lo_u32 v10, s0, v7
	s_delay_alu instid0(VALU_DEP_1) | instskip(SKIP_1) | instid1(VALU_DEP_2)
	v_add_nc_u32_e32 v8, v8, v10
	v_mul_lo_u32 v10, s0, v2
	v_add_nc_u32_e32 v8, v8, v13
	s_delay_alu instid0(VALU_DEP_2) | instskip(NEXT) | instid1(VALU_DEP_2)
	v_mul_hi_u32 v13, v2, v10
	v_mul_lo_u32 v19, v2, v8
	v_mul_hi_u32 v20, v2, v8
	v_mul_hi_u32 v22, v7, v10
	v_mul_lo_u32 v10, v7, v10
	v_mul_hi_u32 v23, v7, v8
	v_mul_lo_u32 v8, v7, v8
	v_add_co_u32 v13, vcc_lo, v13, v19
	v_add_co_ci_u32_e32 v19, vcc_lo, 0, v20, vcc_lo
	s_delay_alu instid0(VALU_DEP_2) | instskip(NEXT) | instid1(VALU_DEP_2)
	v_add_co_u32 v10, vcc_lo, v13, v10
	v_add_co_ci_u32_e32 v10, vcc_lo, v19, v22, vcc_lo
	v_add_co_ci_u32_e32 v13, vcc_lo, 0, v23, vcc_lo
	v_add_co_u32 v19, vcc_lo, v24, v21
	v_add_co_ci_u32_e32 v20, vcc_lo, v27, v21, vcc_lo
	s_delay_alu instid0(VALU_DEP_4) | instskip(NEXT) | instid1(VALU_DEP_4)
	v_add_co_u32 v8, vcc_lo, v10, v8
	v_add_co_ci_u32_e32 v10, vcc_lo, 0, v13, vcc_lo
	s_delay_alu instid0(VALU_DEP_4) | instskip(NEXT) | instid1(VALU_DEP_3)
	v_xor_b32_e32 v13, v19, v21
	v_add_co_u32 v2, vcc_lo, v2, v8
	s_delay_alu instid0(VALU_DEP_3) | instskip(SKIP_1) | instid1(VALU_DEP_3)
	v_add_co_ci_u32_e32 v10, vcc_lo, v7, v10, vcc_lo
	v_xor_b32_e32 v24, v20, v21
	v_mul_hi_u32 v25, v13, v2
	s_delay_alu instid0(VALU_DEP_3) | instskip(NEXT) | instid1(VALU_DEP_3)
	v_mad_u64_u32 v[7:8], null, v13, v10, 0
	v_mad_u64_u32 v[19:20], null, v24, v2, 0
	v_mad_u64_u32 v[22:23], null, v24, v10, 0
	s_delay_alu instid0(VALU_DEP_3) | instskip(NEXT) | instid1(VALU_DEP_4)
	v_add_co_u32 v2, vcc_lo, v25, v7
	v_add_co_ci_u32_e32 v7, vcc_lo, 0, v8, vcc_lo
	s_delay_alu instid0(VALU_DEP_2) | instskip(NEXT) | instid1(VALU_DEP_2)
	v_add_co_u32 v2, vcc_lo, v2, v19
	v_add_co_ci_u32_e32 v2, vcc_lo, v7, v20, vcc_lo
	v_add_co_ci_u32_e32 v7, vcc_lo, 0, v23, vcc_lo
	s_delay_alu instid0(VALU_DEP_2) | instskip(NEXT) | instid1(VALU_DEP_2)
	v_add_co_u32 v2, vcc_lo, v2, v22
	v_add_co_ci_u32_e32 v10, vcc_lo, 0, v7, vcc_lo
	s_delay_alu instid0(VALU_DEP_2) | instskip(SKIP_1) | instid1(VALU_DEP_3)
	v_mul_lo_u32 v19, s63, v2
	v_mad_u64_u32 v[7:8], null, s62, v2, 0
	v_mul_lo_u32 v20, s62, v10
	s_delay_alu instid0(VALU_DEP_2) | instskip(NEXT) | instid1(VALU_DEP_2)
	v_sub_co_u32 v7, vcc_lo, v13, v7
	v_add3_u32 v8, v8, v20, v19
	s_delay_alu instid0(VALU_DEP_1) | instskip(NEXT) | instid1(VALU_DEP_1)
	v_sub_nc_u32_e32 v19, v24, v8
	v_subrev_co_ci_u32_e64 v13, s0, s63, v19, vcc_lo
	v_add_co_u32 v19, s0, v2, 2
	s_delay_alu instid0(VALU_DEP_1) | instskip(SKIP_3) | instid1(VALU_DEP_3)
	v_add_co_ci_u32_e64 v20, s0, 0, v10, s0
	v_sub_co_u32 v22, s0, v7, s62
	v_sub_co_ci_u32_e32 v8, vcc_lo, v24, v8, vcc_lo
	v_subrev_co_ci_u32_e64 v13, s0, 0, v13, s0
	v_cmp_le_u32_e32 vcc_lo, s62, v22
	s_delay_alu instid0(VALU_DEP_3) | instskip(SKIP_1) | instid1(VALU_DEP_4)
	v_cmp_eq_u32_e64 s0, s63, v8
	v_cndmask_b32_e64 v22, 0, -1, vcc_lo
	v_cmp_le_u32_e32 vcc_lo, s63, v13
	v_cndmask_b32_e64 v23, 0, -1, vcc_lo
	v_cmp_le_u32_e32 vcc_lo, s62, v7
	;; [unrolled: 2-line block ×3, first 2 shown]
	v_cndmask_b32_e64 v24, 0, -1, vcc_lo
	v_cmp_eq_u32_e32 vcc_lo, s63, v13
	s_delay_alu instid0(VALU_DEP_2) | instskip(SKIP_3) | instid1(VALU_DEP_3)
	v_cndmask_b32_e64 v7, v24, v7, s0
	v_cndmask_b32_e32 v13, v23, v22, vcc_lo
	v_add_co_u32 v22, vcc_lo, v2, 1
	v_add_co_ci_u32_e32 v23, vcc_lo, 0, v10, vcc_lo
	v_cmp_ne_u32_e32 vcc_lo, 0, v13
                                        ; implicit-def: $vgpr24
	s_delay_alu instid0(VALU_DEP_2) | instskip(SKIP_2) | instid1(VALU_DEP_3)
	v_dual_cndmask_b32 v8, v23, v20 :: v_dual_cndmask_b32 v13, v22, v19
	v_cmp_ne_u32_e32 vcc_lo, 0, v7
	v_xor_b32_e32 v19, s60, v21
	v_cndmask_b32_e32 v7, v10, v8, vcc_lo
	s_delay_alu instid0(VALU_DEP_4) | instskip(NEXT) | instid1(VALU_DEP_2)
	v_cndmask_b32_e32 v2, v2, v13, vcc_lo
	v_xor_b32_e32 v8, v7, v19
	s_delay_alu instid0(VALU_DEP_2) | instskip(NEXT) | instid1(VALU_DEP_1)
	v_xor_b32_e32 v2, v2, v19
	v_sub_co_u32 v7, vcc_lo, v2, v19
	s_delay_alu instid0(VALU_DEP_3)
	v_sub_co_ci_u32_e32 v8, vcc_lo, v8, v19, vcc_lo
                                        ; implicit-def: $vgpr19
.LBB43_29:                              ;   in Loop: Header=BB43_3 Depth=1
	s_and_not1_saveexec_b32 s0, s72
	s_cbranch_execz .LBB43_31
; %bb.30:                               ;   in Loop: Header=BB43_3 Depth=1
	v_rcp_iflag_f32_e32 v2, v19
	s_sub_i32 s60, 0, s36
	s_waitcnt_depctr 0xfff
	v_mul_f32_e32 v2, 0x4f7ffffe, v2
	s_delay_alu instid0(VALU_DEP_1) | instskip(NEXT) | instid1(VALU_DEP_1)
	v_cvt_u32_f32_e32 v2, v2
	v_mul_lo_u32 v7, s60, v2
	s_delay_alu instid0(VALU_DEP_1) | instskip(NEXT) | instid1(VALU_DEP_1)
	v_mul_hi_u32 v7, v2, v7
	v_add_nc_u32_e32 v2, v2, v7
	s_delay_alu instid0(VALU_DEP_1) | instskip(NEXT) | instid1(VALU_DEP_1)
	v_mul_hi_u32 v2, v24, v2
	v_mul_lo_u32 v7, v2, s36
	v_add_nc_u32_e32 v8, 1, v2
	s_delay_alu instid0(VALU_DEP_2) | instskip(NEXT) | instid1(VALU_DEP_1)
	v_sub_nc_u32_e32 v7, v24, v7
	v_subrev_nc_u32_e32 v10, s36, v7
	v_cmp_le_u32_e32 vcc_lo, s36, v7
	s_delay_alu instid0(VALU_DEP_2) | instskip(NEXT) | instid1(VALU_DEP_1)
	v_dual_cndmask_b32 v7, v7, v10 :: v_dual_cndmask_b32 v2, v2, v8
	v_cmp_le_u32_e32 vcc_lo, s36, v7
	s_delay_alu instid0(VALU_DEP_2) | instskip(NEXT) | instid1(VALU_DEP_1)
	v_add_nc_u32_e32 v8, 1, v2
	v_dual_cndmask_b32 v7, v2, v8 :: v_dual_mov_b32 v8, v1
.LBB43_31:                              ;   in Loop: Header=BB43_3 Depth=1
	s_or_b32 exec_lo, exec_lo, s0
	s_delay_alu instid0(VALU_DEP_1) | instskip(NEXT) | instid1(VALU_DEP_2)
	v_mul_lo_u32 v2, v8, s36
	v_mul_lo_u32 v10, v7, s37
	v_mad_u64_u32 v[19:20], null, v7, s36, 0
	v_mul_lo_u32 v13, v8, s12
	s_mov_b32 s0, exec_lo
	s_delay_alu instid0(VALU_DEP_2) | instskip(NEXT) | instid1(VALU_DEP_3)
	v_add3_u32 v2, v20, v10, v2
	v_sub_co_u32 v8, vcc_lo, v11, v19
	v_mad_u64_u32 v[10:11], null, v7, s12, 0
	s_delay_alu instid0(VALU_DEP_3) | instskip(NEXT) | instid1(VALU_DEP_3)
	v_sub_co_ci_u32_e32 v2, vcc_lo, v12, v2, vcc_lo
	v_add_co_u32 v19, vcc_lo, v3, v8
	v_mul_lo_u32 v12, v7, s13
	s_delay_alu instid0(VALU_DEP_3) | instskip(NEXT) | instid1(VALU_DEP_3)
	v_add_co_ci_u32_e32 v2, vcc_lo, v4, v2, vcc_lo
	v_mul_lo_u32 v20, v19, s15
	v_mad_u64_u32 v[7:8], null, v19, s14, 0
	s_delay_alu instid0(VALU_DEP_3) | instskip(SKIP_1) | instid1(VALU_DEP_1)
	v_mul_lo_u32 v2, v2, s14
	v_add3_u32 v11, v11, v12, v13
	v_lshlrev_b64 v[10:11], 1, v[10:11]
	s_delay_alu instid0(VALU_DEP_3) | instskip(NEXT) | instid1(VALU_DEP_2)
	v_add3_u32 v8, v8, v20, v2
	v_add_co_u32 v2, vcc_lo, s30, v10
	s_delay_alu instid0(VALU_DEP_2) | instskip(NEXT) | instid1(VALU_DEP_4)
	v_lshlrev_b64 v[7:8], 1, v[7:8]
	v_add_co_ci_u32_e32 v10, vcc_lo, s31, v11, vcc_lo
	s_delay_alu instid0(VALU_DEP_2) | instskip(NEXT) | instid1(VALU_DEP_2)
	v_add_co_u32 v7, vcc_lo, v2, v7
	v_add_co_ci_u32_e32 v8, vcc_lo, v10, v8, vcc_lo
	v_or_b32_e32 v2, s47, v4
	global_load_u16 v10, v[7:8], off
                                        ; implicit-def: $vgpr7_vgpr8
	v_cmpx_ne_u64_e32 0, v[1:2]
	s_xor_b32 s72, exec_lo, s0
	s_cbranch_execz .LBB43_33
; %bb.32:                               ;   in Loop: Header=BB43_3 Depth=1
	s_ashr_i32 s60, s47, 31
	s_delay_alu instid0(SALU_CYCLE_1) | instskip(SKIP_2) | instid1(SALU_CYCLE_1)
	s_add_u32 s62, s46, s60
	s_mov_b32 s61, s60
	s_addc_u32 s63, s47, s60
	s_xor_b64 s[62:63], s[62:63], s[60:61]
	s_delay_alu instid0(SALU_CYCLE_1) | instskip(SKIP_3) | instid1(VALU_DEP_1)
	v_cvt_f32_u32_e32 v2, s62
	v_cvt_f32_u32_e32 v7, s63
	s_sub_u32 s0, 0, s62
	s_subb_u32 s61, 0, s63
	v_fmac_f32_e32 v2, 0x4f800000, v7
	s_delay_alu instid0(VALU_DEP_1) | instskip(SKIP_2) | instid1(VALU_DEP_1)
	v_rcp_f32_e32 v2, v2
	s_waitcnt_depctr 0xfff
	v_mul_f32_e32 v2, 0x5f7ffffc, v2
	v_mul_f32_e32 v7, 0x2f800000, v2
	s_delay_alu instid0(VALU_DEP_1) | instskip(NEXT) | instid1(VALU_DEP_1)
	v_trunc_f32_e32 v7, v7
	v_fmac_f32_e32 v2, 0xcf800000, v7
	v_cvt_u32_f32_e32 v7, v7
	s_delay_alu instid0(VALU_DEP_2) | instskip(NEXT) | instid1(VALU_DEP_2)
	v_cvt_u32_f32_e32 v2, v2
	v_mul_lo_u32 v8, s0, v7
	s_delay_alu instid0(VALU_DEP_2) | instskip(SKIP_1) | instid1(VALU_DEP_2)
	v_mul_hi_u32 v11, s0, v2
	v_mul_lo_u32 v12, s61, v2
	v_add_nc_u32_e32 v8, v11, v8
	v_mul_lo_u32 v11, s0, v2
	s_delay_alu instid0(VALU_DEP_2) | instskip(NEXT) | instid1(VALU_DEP_2)
	v_add_nc_u32_e32 v8, v8, v12
	v_mul_hi_u32 v12, v2, v11
	s_delay_alu instid0(VALU_DEP_2)
	v_mul_lo_u32 v13, v2, v8
	v_mul_hi_u32 v19, v2, v8
	v_mul_hi_u32 v20, v7, v11
	v_mul_lo_u32 v11, v7, v11
	v_mul_hi_u32 v21, v7, v8
	v_mul_lo_u32 v8, v7, v8
	v_add_co_u32 v12, vcc_lo, v12, v13
	v_add_co_ci_u32_e32 v13, vcc_lo, 0, v19, vcc_lo
	s_delay_alu instid0(VALU_DEP_2) | instskip(NEXT) | instid1(VALU_DEP_2)
	v_add_co_u32 v11, vcc_lo, v12, v11
	v_add_co_ci_u32_e32 v11, vcc_lo, v13, v20, vcc_lo
	v_add_co_ci_u32_e32 v12, vcc_lo, 0, v21, vcc_lo
	s_delay_alu instid0(VALU_DEP_2) | instskip(NEXT) | instid1(VALU_DEP_2)
	v_add_co_u32 v8, vcc_lo, v11, v8
	v_add_co_ci_u32_e32 v11, vcc_lo, 0, v12, vcc_lo
	s_delay_alu instid0(VALU_DEP_2) | instskip(NEXT) | instid1(VALU_DEP_2)
	v_add_co_u32 v2, vcc_lo, v2, v8
	v_add_co_ci_u32_e32 v7, vcc_lo, v7, v11, vcc_lo
	s_delay_alu instid0(VALU_DEP_2) | instskip(SKIP_1) | instid1(VALU_DEP_3)
	v_mul_hi_u32 v8, s0, v2
	v_mul_lo_u32 v12, s61, v2
	v_mul_lo_u32 v11, s0, v7
	s_delay_alu instid0(VALU_DEP_1) | instskip(SKIP_1) | instid1(VALU_DEP_2)
	v_add_nc_u32_e32 v8, v8, v11
	v_mul_lo_u32 v11, s0, v2
	v_add_nc_u32_e32 v8, v8, v12
	s_delay_alu instid0(VALU_DEP_2) | instskip(NEXT) | instid1(VALU_DEP_2)
	v_mul_hi_u32 v12, v2, v11
	v_mul_lo_u32 v13, v2, v8
	v_mul_hi_u32 v19, v2, v8
	v_mul_hi_u32 v20, v7, v11
	v_mul_lo_u32 v11, v7, v11
	v_mul_hi_u32 v21, v7, v8
	v_mul_lo_u32 v8, v7, v8
	v_add_co_u32 v12, vcc_lo, v12, v13
	v_add_co_ci_u32_e32 v13, vcc_lo, 0, v19, vcc_lo
	s_delay_alu instid0(VALU_DEP_2) | instskip(NEXT) | instid1(VALU_DEP_2)
	v_add_co_u32 v11, vcc_lo, v12, v11
	v_add_co_ci_u32_e32 v11, vcc_lo, v13, v20, vcc_lo
	v_add_co_ci_u32_e32 v12, vcc_lo, 0, v21, vcc_lo
	v_add_co_u32 v13, vcc_lo, v3, v15
	v_add_co_ci_u32_e32 v19, vcc_lo, v4, v15, vcc_lo
	s_delay_alu instid0(VALU_DEP_4) | instskip(NEXT) | instid1(VALU_DEP_4)
	v_add_co_u32 v8, vcc_lo, v11, v8
	v_add_co_ci_u32_e32 v11, vcc_lo, 0, v12, vcc_lo
	s_delay_alu instid0(VALU_DEP_4) | instskip(NEXT) | instid1(VALU_DEP_3)
	v_xor_b32_e32 v13, v13, v15
	v_add_co_u32 v2, vcc_lo, v2, v8
	s_delay_alu instid0(VALU_DEP_3) | instskip(SKIP_1) | instid1(VALU_DEP_3)
	v_add_co_ci_u32_e32 v21, vcc_lo, v7, v11, vcc_lo
	v_xor_b32_e32 v22, v19, v15
	v_mul_hi_u32 v23, v13, v2
	s_delay_alu instid0(VALU_DEP_3) | instskip(NEXT) | instid1(VALU_DEP_3)
	v_mad_u64_u32 v[7:8], null, v13, v21, 0
	v_mad_u64_u32 v[11:12], null, v22, v2, 0
	v_mad_u64_u32 v[19:20], null, v22, v21, 0
	s_delay_alu instid0(VALU_DEP_3) | instskip(NEXT) | instid1(VALU_DEP_4)
	v_add_co_u32 v2, vcc_lo, v23, v7
	v_add_co_ci_u32_e32 v7, vcc_lo, 0, v8, vcc_lo
	s_delay_alu instid0(VALU_DEP_2) | instskip(NEXT) | instid1(VALU_DEP_2)
	v_add_co_u32 v2, vcc_lo, v2, v11
	v_add_co_ci_u32_e32 v2, vcc_lo, v7, v12, vcc_lo
	v_add_co_ci_u32_e32 v7, vcc_lo, 0, v20, vcc_lo
	s_delay_alu instid0(VALU_DEP_2) | instskip(NEXT) | instid1(VALU_DEP_2)
	v_add_co_u32 v2, vcc_lo, v2, v19
	v_add_co_ci_u32_e32 v11, vcc_lo, 0, v7, vcc_lo
	s_delay_alu instid0(VALU_DEP_2) | instskip(SKIP_1) | instid1(VALU_DEP_3)
	v_mul_lo_u32 v12, s63, v2
	v_mad_u64_u32 v[7:8], null, s62, v2, 0
	v_mul_lo_u32 v19, s62, v11
	s_delay_alu instid0(VALU_DEP_2) | instskip(NEXT) | instid1(VALU_DEP_2)
	v_sub_co_u32 v7, vcc_lo, v13, v7
	v_add3_u32 v8, v8, v19, v12
	s_delay_alu instid0(VALU_DEP_1) | instskip(NEXT) | instid1(VALU_DEP_1)
	v_sub_nc_u32_e32 v12, v22, v8
	v_subrev_co_ci_u32_e64 v12, s0, s63, v12, vcc_lo
	v_add_co_u32 v13, s0, v2, 2
	s_delay_alu instid0(VALU_DEP_1) | instskip(SKIP_3) | instid1(VALU_DEP_3)
	v_add_co_ci_u32_e64 v19, s0, 0, v11, s0
	v_sub_co_u32 v20, s0, v7, s62
	v_sub_co_ci_u32_e32 v8, vcc_lo, v22, v8, vcc_lo
	v_subrev_co_ci_u32_e64 v12, s0, 0, v12, s0
	v_cmp_le_u32_e32 vcc_lo, s62, v20
	s_delay_alu instid0(VALU_DEP_3) | instskip(SKIP_1) | instid1(VALU_DEP_4)
	v_cmp_eq_u32_e64 s0, s63, v8
	v_cndmask_b32_e64 v20, 0, -1, vcc_lo
	v_cmp_le_u32_e32 vcc_lo, s63, v12
	v_cndmask_b32_e64 v21, 0, -1, vcc_lo
	v_cmp_le_u32_e32 vcc_lo, s62, v7
	;; [unrolled: 2-line block ×3, first 2 shown]
	v_cndmask_b32_e64 v22, 0, -1, vcc_lo
	v_cmp_eq_u32_e32 vcc_lo, s63, v12
	s_delay_alu instid0(VALU_DEP_2) | instskip(SKIP_3) | instid1(VALU_DEP_3)
	v_cndmask_b32_e64 v7, v22, v7, s0
	v_cndmask_b32_e32 v12, v21, v20, vcc_lo
	v_add_co_u32 v20, vcc_lo, v2, 1
	v_add_co_ci_u32_e32 v21, vcc_lo, 0, v11, vcc_lo
	v_cmp_ne_u32_e32 vcc_lo, 0, v12
	s_delay_alu instid0(VALU_DEP_2) | instskip(NEXT) | instid1(VALU_DEP_4)
	v_cndmask_b32_e32 v8, v21, v19, vcc_lo
	v_cndmask_b32_e32 v12, v20, v13, vcc_lo
	v_cmp_ne_u32_e32 vcc_lo, 0, v7
	v_xor_b32_e32 v13, s60, v15
	s_delay_alu instid0(VALU_DEP_3) | instskip(SKIP_1) | instid1(VALU_DEP_2)
	v_cndmask_b32_e32 v2, v2, v12, vcc_lo
	v_cndmask_b32_e32 v7, v11, v8, vcc_lo
	v_xor_b32_e32 v2, v2, v13
	s_delay_alu instid0(VALU_DEP_2) | instskip(NEXT) | instid1(VALU_DEP_2)
	v_xor_b32_e32 v8, v7, v13
	v_sub_co_u32 v7, vcc_lo, v2, v13
	s_delay_alu instid0(VALU_DEP_2)
	v_sub_co_ci_u32_e32 v8, vcc_lo, v8, v13, vcc_lo
.LBB43_33:                              ;   in Loop: Header=BB43_3 Depth=1
	s_and_not1_saveexec_b32 s0, s72
	s_cbranch_execz .LBB43_35
; %bb.34:                               ;   in Loop: Header=BB43_3 Depth=1
	v_cvt_f32_u32_e32 v2, s46
	s_sub_i32 s60, 0, s46
	s_delay_alu instid0(VALU_DEP_1) | instskip(SKIP_2) | instid1(VALU_DEP_1)
	v_rcp_iflag_f32_e32 v2, v2
	s_waitcnt_depctr 0xfff
	v_mul_f32_e32 v2, 0x4f7ffffe, v2
	v_cvt_u32_f32_e32 v2, v2
	s_delay_alu instid0(VALU_DEP_1) | instskip(NEXT) | instid1(VALU_DEP_1)
	v_mul_lo_u32 v7, s60, v2
	v_mul_hi_u32 v7, v2, v7
	s_delay_alu instid0(VALU_DEP_1) | instskip(NEXT) | instid1(VALU_DEP_1)
	v_add_nc_u32_e32 v2, v2, v7
	v_mul_hi_u32 v2, v3, v2
	s_delay_alu instid0(VALU_DEP_1) | instskip(SKIP_1) | instid1(VALU_DEP_2)
	v_mul_lo_u32 v7, v2, s46
	v_add_nc_u32_e32 v8, 1, v2
	v_sub_nc_u32_e32 v7, v3, v7
	s_delay_alu instid0(VALU_DEP_1) | instskip(SKIP_1) | instid1(VALU_DEP_2)
	v_subrev_nc_u32_e32 v11, s46, v7
	v_cmp_le_u32_e32 vcc_lo, s46, v7
	v_dual_cndmask_b32 v7, v7, v11 :: v_dual_cndmask_b32 v2, v2, v8
	s_delay_alu instid0(VALU_DEP_1) | instskip(NEXT) | instid1(VALU_DEP_2)
	v_cmp_le_u32_e32 vcc_lo, s46, v7
	v_add_nc_u32_e32 v8, 1, v2
	s_delay_alu instid0(VALU_DEP_1)
	v_dual_cndmask_b32 v7, v2, v8 :: v_dual_mov_b32 v8, v1
.LBB43_35:                              ;   in Loop: Header=BB43_3 Depth=1
	s_or_b32 exec_lo, exec_lo, s0
	s_delay_alu instid0(VALU_DEP_1) | instskip(NEXT) | instid1(VALU_DEP_2)
	v_mad_u64_u32 v[11:12], null, s67, v7, v[3:4]
	v_mul_lo_u32 v2, s67, v8
	v_mul_lo_u32 v13, s68, v7
	;; [unrolled: 1-line block ×4, first 2 shown]
	s_mov_b32 s0, exec_lo
	v_mul_lo_u32 v21, v11, s19
	s_delay_alu instid0(VALU_DEP_4) | instskip(SKIP_2) | instid1(VALU_DEP_3)
	v_add3_u32 v2, v13, v12, v2
	v_mad_u64_u32 v[12:13], null, v7, s16, 0
	v_mad_u64_u32 v[7:8], null, v11, s18, 0
	v_mul_lo_u32 v2, v2, s18
	s_delay_alu instid0(VALU_DEP_3) | instskip(NEXT) | instid1(VALU_DEP_2)
	v_add3_u32 v13, v13, v20, v19
	v_add3_u32 v8, v8, v21, v2
	s_delay_alu instid0(VALU_DEP_2) | instskip(NEXT) | instid1(VALU_DEP_2)
	v_lshlrev_b64 v[11:12], 1, v[12:13]
	v_lshlrev_b64 v[7:8], 1, v[7:8]
	s_delay_alu instid0(VALU_DEP_2) | instskip(NEXT) | instid1(VALU_DEP_3)
	v_add_co_u32 v2, vcc_lo, s44, v11
	v_add_co_ci_u32_e32 v11, vcc_lo, s45, v12, vcc_lo
	s_delay_alu instid0(VALU_DEP_2) | instskip(NEXT) | instid1(VALU_DEP_2)
	v_add_co_u32 v7, vcc_lo, v2, v7
	v_add_co_ci_u32_e32 v8, vcc_lo, v11, v8, vcc_lo
	v_or_b32_e32 v2, s51, v4
	global_load_u16 v13, v[7:8], off
                                        ; implicit-def: $vgpr7_vgpr8
	v_cmpx_ne_u64_e32 0, v[1:2]
	s_xor_b32 s72, exec_lo, s0
	s_cbranch_execz .LBB43_37
; %bb.36:                               ;   in Loop: Header=BB43_3 Depth=1
	s_ashr_i32 s60, s51, 31
	s_delay_alu instid0(SALU_CYCLE_1) | instskip(SKIP_2) | instid1(SALU_CYCLE_1)
	s_add_u32 s62, s50, s60
	s_mov_b32 s61, s60
	s_addc_u32 s63, s51, s60
	s_xor_b64 s[62:63], s[62:63], s[60:61]
	s_delay_alu instid0(SALU_CYCLE_1) | instskip(SKIP_3) | instid1(VALU_DEP_1)
	v_cvt_f32_u32_e32 v2, s62
	v_cvt_f32_u32_e32 v7, s63
	s_sub_u32 s0, 0, s62
	s_subb_u32 s61, 0, s63
	v_fmac_f32_e32 v2, 0x4f800000, v7
	s_delay_alu instid0(VALU_DEP_1) | instskip(SKIP_2) | instid1(VALU_DEP_1)
	v_rcp_f32_e32 v2, v2
	s_waitcnt_depctr 0xfff
	v_mul_f32_e32 v2, 0x5f7ffffc, v2
	v_mul_f32_e32 v7, 0x2f800000, v2
	s_delay_alu instid0(VALU_DEP_1) | instskip(NEXT) | instid1(VALU_DEP_1)
	v_trunc_f32_e32 v7, v7
	v_fmac_f32_e32 v2, 0xcf800000, v7
	v_cvt_u32_f32_e32 v7, v7
	s_delay_alu instid0(VALU_DEP_2) | instskip(NEXT) | instid1(VALU_DEP_2)
	v_cvt_u32_f32_e32 v2, v2
	v_mul_lo_u32 v8, s0, v7
	s_delay_alu instid0(VALU_DEP_2) | instskip(SKIP_1) | instid1(VALU_DEP_2)
	v_mul_hi_u32 v11, s0, v2
	v_mul_lo_u32 v12, s61, v2
	v_add_nc_u32_e32 v8, v11, v8
	v_mul_lo_u32 v11, s0, v2
	s_delay_alu instid0(VALU_DEP_2) | instskip(NEXT) | instid1(VALU_DEP_2)
	v_add_nc_u32_e32 v8, v8, v12
	v_mul_hi_u32 v12, v2, v11
	s_delay_alu instid0(VALU_DEP_2)
	v_mul_lo_u32 v19, v2, v8
	v_mul_hi_u32 v20, v2, v8
	v_mul_hi_u32 v21, v7, v11
	v_mul_lo_u32 v11, v7, v11
	v_mul_hi_u32 v22, v7, v8
	v_mul_lo_u32 v8, v7, v8
	v_add_co_u32 v12, vcc_lo, v12, v19
	v_add_co_ci_u32_e32 v19, vcc_lo, 0, v20, vcc_lo
	s_delay_alu instid0(VALU_DEP_2) | instskip(NEXT) | instid1(VALU_DEP_2)
	v_add_co_u32 v11, vcc_lo, v12, v11
	v_add_co_ci_u32_e32 v11, vcc_lo, v19, v21, vcc_lo
	v_add_co_ci_u32_e32 v12, vcc_lo, 0, v22, vcc_lo
	s_delay_alu instid0(VALU_DEP_2) | instskip(NEXT) | instid1(VALU_DEP_2)
	v_add_co_u32 v8, vcc_lo, v11, v8
	v_add_co_ci_u32_e32 v11, vcc_lo, 0, v12, vcc_lo
	s_delay_alu instid0(VALU_DEP_2) | instskip(NEXT) | instid1(VALU_DEP_2)
	v_add_co_u32 v2, vcc_lo, v2, v8
	v_add_co_ci_u32_e32 v7, vcc_lo, v7, v11, vcc_lo
	s_delay_alu instid0(VALU_DEP_2) | instskip(SKIP_1) | instid1(VALU_DEP_3)
	v_mul_hi_u32 v8, s0, v2
	v_mul_lo_u32 v12, s61, v2
	v_mul_lo_u32 v11, s0, v7
	s_delay_alu instid0(VALU_DEP_1) | instskip(SKIP_1) | instid1(VALU_DEP_2)
	v_add_nc_u32_e32 v8, v8, v11
	v_mul_lo_u32 v11, s0, v2
	v_add_nc_u32_e32 v8, v8, v12
	s_delay_alu instid0(VALU_DEP_2) | instskip(NEXT) | instid1(VALU_DEP_2)
	v_mul_hi_u32 v12, v2, v11
	v_mul_lo_u32 v19, v2, v8
	v_mul_hi_u32 v20, v2, v8
	v_mul_hi_u32 v21, v7, v11
	v_mul_lo_u32 v11, v7, v11
	v_mul_hi_u32 v22, v7, v8
	v_mul_lo_u32 v8, v7, v8
	v_add_co_u32 v12, vcc_lo, v12, v19
	v_add_co_ci_u32_e32 v19, vcc_lo, 0, v20, vcc_lo
	s_delay_alu instid0(VALU_DEP_2) | instskip(NEXT) | instid1(VALU_DEP_2)
	v_add_co_u32 v11, vcc_lo, v12, v11
	v_add_co_ci_u32_e32 v11, vcc_lo, v19, v21, vcc_lo
	v_add_co_ci_u32_e32 v12, vcc_lo, 0, v22, vcc_lo
	v_add_co_u32 v19, vcc_lo, v3, v15
	v_add_co_ci_u32_e32 v20, vcc_lo, v4, v15, vcc_lo
	s_delay_alu instid0(VALU_DEP_4) | instskip(NEXT) | instid1(VALU_DEP_4)
	v_add_co_u32 v8, vcc_lo, v11, v8
	v_add_co_ci_u32_e32 v11, vcc_lo, 0, v12, vcc_lo
	s_delay_alu instid0(VALU_DEP_4) | instskip(NEXT) | instid1(VALU_DEP_3)
	v_xor_b32_e32 v21, v19, v15
	v_add_co_u32 v2, vcc_lo, v2, v8
	s_delay_alu instid0(VALU_DEP_3) | instskip(SKIP_1) | instid1(VALU_DEP_3)
	v_add_co_ci_u32_e32 v22, vcc_lo, v7, v11, vcc_lo
	v_xor_b32_e32 v23, v20, v15
	v_mul_hi_u32 v24, v21, v2
	v_xor_b32_e32 v15, s60, v15
	s_delay_alu instid0(VALU_DEP_4) | instskip(NEXT) | instid1(VALU_DEP_4)
	v_mad_u64_u32 v[7:8], null, v21, v22, 0
	v_mad_u64_u32 v[11:12], null, v23, v2, 0
	;; [unrolled: 1-line block ×3, first 2 shown]
	s_delay_alu instid0(VALU_DEP_3) | instskip(NEXT) | instid1(VALU_DEP_4)
	v_add_co_u32 v2, vcc_lo, v24, v7
	v_add_co_ci_u32_e32 v7, vcc_lo, 0, v8, vcc_lo
	s_delay_alu instid0(VALU_DEP_2) | instskip(NEXT) | instid1(VALU_DEP_2)
	v_add_co_u32 v2, vcc_lo, v2, v11
	v_add_co_ci_u32_e32 v2, vcc_lo, v7, v12, vcc_lo
	v_add_co_ci_u32_e32 v7, vcc_lo, 0, v20, vcc_lo
	s_delay_alu instid0(VALU_DEP_2) | instskip(NEXT) | instid1(VALU_DEP_2)
	v_add_co_u32 v2, vcc_lo, v2, v19
	v_add_co_ci_u32_e32 v11, vcc_lo, 0, v7, vcc_lo
	s_delay_alu instid0(VALU_DEP_2) | instskip(SKIP_1) | instid1(VALU_DEP_3)
	v_mul_lo_u32 v12, s63, v2
	v_mad_u64_u32 v[7:8], null, s62, v2, 0
	v_mul_lo_u32 v19, s62, v11
	s_delay_alu instid0(VALU_DEP_2) | instskip(NEXT) | instid1(VALU_DEP_2)
	v_sub_co_u32 v7, vcc_lo, v21, v7
	v_add3_u32 v8, v8, v19, v12
	s_delay_alu instid0(VALU_DEP_1) | instskip(NEXT) | instid1(VALU_DEP_1)
	v_sub_nc_u32_e32 v12, v23, v8
	v_subrev_co_ci_u32_e64 v12, s0, s63, v12, vcc_lo
	v_add_co_u32 v19, s0, v2, 2
	s_delay_alu instid0(VALU_DEP_1) | instskip(SKIP_3) | instid1(VALU_DEP_3)
	v_add_co_ci_u32_e64 v20, s0, 0, v11, s0
	v_sub_co_u32 v21, s0, v7, s62
	v_sub_co_ci_u32_e32 v8, vcc_lo, v23, v8, vcc_lo
	v_subrev_co_ci_u32_e64 v12, s0, 0, v12, s0
	v_cmp_le_u32_e32 vcc_lo, s62, v21
	s_delay_alu instid0(VALU_DEP_3) | instskip(SKIP_1) | instid1(VALU_DEP_4)
	v_cmp_eq_u32_e64 s0, s63, v8
	v_cndmask_b32_e64 v21, 0, -1, vcc_lo
	v_cmp_le_u32_e32 vcc_lo, s63, v12
	v_cndmask_b32_e64 v22, 0, -1, vcc_lo
	v_cmp_le_u32_e32 vcc_lo, s62, v7
	;; [unrolled: 2-line block ×3, first 2 shown]
	v_cndmask_b32_e64 v23, 0, -1, vcc_lo
	v_cmp_eq_u32_e32 vcc_lo, s63, v12
	s_delay_alu instid0(VALU_DEP_2) | instskip(SKIP_3) | instid1(VALU_DEP_3)
	v_cndmask_b32_e64 v7, v23, v7, s0
	v_cndmask_b32_e32 v12, v22, v21, vcc_lo
	v_add_co_u32 v21, vcc_lo, v2, 1
	v_add_co_ci_u32_e32 v22, vcc_lo, 0, v11, vcc_lo
	v_cmp_ne_u32_e32 vcc_lo, 0, v12
	s_delay_alu instid0(VALU_DEP_2) | instskip(NEXT) | instid1(VALU_DEP_4)
	v_cndmask_b32_e32 v8, v22, v20, vcc_lo
	v_cndmask_b32_e32 v12, v21, v19, vcc_lo
	v_cmp_ne_u32_e32 vcc_lo, 0, v7
	s_delay_alu instid0(VALU_DEP_2) | instskip(NEXT) | instid1(VALU_DEP_4)
	v_cndmask_b32_e32 v2, v2, v12, vcc_lo
	v_cndmask_b32_e32 v7, v11, v8, vcc_lo
	s_delay_alu instid0(VALU_DEP_2) | instskip(NEXT) | instid1(VALU_DEP_2)
	v_xor_b32_e32 v2, v2, v15
	v_xor_b32_e32 v8, v7, v15
	s_delay_alu instid0(VALU_DEP_2) | instskip(NEXT) | instid1(VALU_DEP_2)
	v_sub_co_u32 v7, vcc_lo, v2, v15
	v_sub_co_ci_u32_e32 v8, vcc_lo, v8, v15, vcc_lo
.LBB43_37:                              ;   in Loop: Header=BB43_3 Depth=1
	s_and_not1_saveexec_b32 s0, s72
	s_cbranch_execz .LBB43_39
; %bb.38:                               ;   in Loop: Header=BB43_3 Depth=1
	v_cvt_f32_u32_e32 v2, s50
	s_sub_i32 s60, 0, s50
	s_delay_alu instid0(VALU_DEP_1) | instskip(SKIP_2) | instid1(VALU_DEP_1)
	v_rcp_iflag_f32_e32 v2, v2
	s_waitcnt_depctr 0xfff
	v_mul_f32_e32 v2, 0x4f7ffffe, v2
	v_cvt_u32_f32_e32 v2, v2
	s_delay_alu instid0(VALU_DEP_1) | instskip(NEXT) | instid1(VALU_DEP_1)
	v_mul_lo_u32 v7, s60, v2
	v_mul_hi_u32 v7, v2, v7
	s_delay_alu instid0(VALU_DEP_1) | instskip(NEXT) | instid1(VALU_DEP_1)
	v_add_nc_u32_e32 v2, v2, v7
	v_mul_hi_u32 v2, v3, v2
	s_delay_alu instid0(VALU_DEP_1) | instskip(SKIP_1) | instid1(VALU_DEP_2)
	v_mul_lo_u32 v7, v2, s50
	v_add_nc_u32_e32 v8, 1, v2
	v_sub_nc_u32_e32 v7, v3, v7
	s_delay_alu instid0(VALU_DEP_1) | instskip(SKIP_1) | instid1(VALU_DEP_2)
	v_subrev_nc_u32_e32 v11, s50, v7
	v_cmp_le_u32_e32 vcc_lo, s50, v7
	v_dual_cndmask_b32 v7, v7, v11 :: v_dual_cndmask_b32 v2, v2, v8
	s_delay_alu instid0(VALU_DEP_1) | instskip(NEXT) | instid1(VALU_DEP_2)
	v_cmp_le_u32_e32 vcc_lo, s50, v7
	v_add_nc_u32_e32 v8, 1, v2
	s_delay_alu instid0(VALU_DEP_1)
	v_dual_cndmask_b32 v7, v2, v8 :: v_dual_mov_b32 v8, v1
.LBB43_39:                              ;   in Loop: Header=BB43_3 Depth=1
	s_or_b32 exec_lo, exec_lo, s0
	v_dual_mov_b32 v12, 0 :: v_dual_mov_b32 v19, 0
	v_dual_mov_b32 v2, 0 :: v_dual_mov_b32 v15, 0
	;; [unrolled: 1-line block ×3, first 2 shown]
	s_and_not1_b32 vcc_lo, exec_lo, s1
	s_cbranch_vccnz .LBB43_41
; %bb.40:                               ;   in Loop: Header=BB43_3 Depth=1
	v_mad_u64_u32 v[11:12], null, s65, v5, v[3:4]
	v_mul_lo_u32 v2, s65, v6
	v_mul_lo_u32 v15, s66, v5
	v_sub_co_u32 v23, vcc_lo, 1, v5
	v_sub_co_ci_u32_e32 v21, vcc_lo, 0, v6, vcc_lo
	v_mad_u64_u32 v[19:20], null, v11, s38, 0
	s_delay_alu instid0(VALU_DEP_3) | instskip(SKIP_4) | instid1(VALU_DEP_4)
	v_mul_lo_u32 v24, s5, v23
	v_add3_u32 v2, v15, v12, v2
	v_mul_lo_u32 v12, v11, s39
	v_mul_lo_u32 v15, s4, v21
	v_mad_u64_u32 v[21:22], null, s4, v23, v[3:4]
	v_mul_lo_u32 v23, v2, s38
	v_mul_lo_u32 v32, v11, s43
	;; [unrolled: 1-line block ×3, first 2 shown]
	s_delay_alu instid0(VALU_DEP_4)
	v_add3_u32 v15, v24, v22, v15
	v_mul_lo_u32 v27, v21, s39
	v_add3_u32 v20, v20, v12, v23
	v_sub_co_u32 v12, vcc_lo, 2, v5
	v_sub_co_ci_u32_e32 v24, vcc_lo, 0, v6, vcc_lo
	v_mul_lo_u32 v26, v15, s38
	v_mad_u64_u32 v[22:23], null, v21, s38, 0
	s_delay_alu instid0(VALU_DEP_3)
	v_mul_lo_u32 v28, s4, v24
	v_mul_lo_u32 v29, s5, v12
	v_mad_u64_u32 v[24:25], null, s4, v12, v[3:4]
	v_lshlrev_b64 v[19:20], 1, v[19:20]
	v_mul_lo_u32 v15, v15, s42
	v_add3_u32 v23, v23, v27, v26
	s_delay_alu instid0(VALU_DEP_4) | instskip(NEXT) | instid1(VALU_DEP_2)
	v_add3_u32 v29, v29, v25, v28
	v_lshlrev_b64 v[22:23], 1, v[22:23]
	v_mul_lo_u32 v31, v24, s39
	v_mad_u64_u32 v[25:26], null, v24, s38, 0
	s_delay_alu instid0(VALU_DEP_4)
	v_mul_lo_u32 v30, v29, s38
	v_add_co_u32 v19, vcc_lo, s34, v19
	v_mad_u64_u32 v[27:28], null, v11, s42, 0
	v_add_co_ci_u32_e32 v20, vcc_lo, s35, v20, vcc_lo
	v_add_co_u32 v11, vcc_lo, s34, v22
	v_add_co_ci_u32_e32 v12, vcc_lo, s35, v23, vcc_lo
	v_add3_u32 v26, v26, v31, v30
	v_mul_lo_u32 v31, v21, s43
	v_mad_u64_u32 v[22:23], null, v21, s42, 0
	v_add3_u32 v28, v28, v32, v2
	v_mul_lo_u32 v2, v29, s42
	v_mul_lo_u32 v32, v24, s43
	v_mad_u64_u32 v[29:30], null, v24, s42, 0
	v_lshlrev_b64 v[25:26], 1, v[25:26]
	v_lshlrev_b64 v[27:28], 1, v[27:28]
	v_add3_u32 v23, v23, v31, v15
	s_delay_alu instid0(VALU_DEP_3) | instskip(SKIP_2) | instid1(VALU_DEP_4)
	v_add_co_u32 v24, vcc_lo, s34, v25
	v_add3_u32 v30, v30, v32, v2
	v_add_co_ci_u32_e32 v25, vcc_lo, s35, v26, vcc_lo
	v_lshlrev_b64 v[21:22], 1, v[22:23]
	v_add_co_u32 v26, vcc_lo, s40, v27
	v_add_co_ci_u32_e32 v27, vcc_lo, s41, v28, vcc_lo
	v_lshlrev_b64 v[28:29], 1, v[29:30]
	s_delay_alu instid0(VALU_DEP_4) | instskip(SKIP_1) | instid1(VALU_DEP_3)
	v_add_co_u32 v21, vcc_lo, s40, v21
	v_add_co_ci_u32_e32 v22, vcc_lo, s41, v22, vcc_lo
	v_add_co_u32 v28, vcc_lo, s40, v28
	s_delay_alu instid0(VALU_DEP_4)
	v_add_co_ci_u32_e32 v29, vcc_lo, s41, v29, vcc_lo
	s_clause 0x2
	global_load_u16 v20, v[19:20], off
	global_load_u16 v11, v[11:12], off
	;; [unrolled: 1-line block ×3, first 2 shown]
	s_clause 0x2
	global_load_u16 v19, v[26:27], off
	global_load_u16 v2, v[21:22], off
	;; [unrolled: 1-line block ×3, first 2 shown]
.LBB43_41:                              ;   in Loop: Header=BB43_3 Depth=1
	s_waitcnt vmcnt(6)
	v_cvt_f32_f16_e32 v16, v16
	s_waitcnt vmcnt(3)
	v_cvt_f32_f16_e32 v14, v14
	v_cvt_f32_f16_e32 v20, v20
	;; [unrolled: 1-line block ×4, first 2 shown]
	s_waitcnt vmcnt(1)
	v_cvt_f32_f16_e32 v10, v10
	v_add_f32_e32 v14, v16, v14
	v_cvt_f32_f16_e32 v16, v19
	s_delay_alu instid0(VALU_DEP_2) | instskip(NEXT) | instid1(VALU_DEP_1)
	v_add_f32_e32 v14, v14, v20
	v_add_f32_e32 v14, v14, v16
	s_delay_alu instid0(VALU_DEP_1) | instskip(SKIP_1) | instid1(VALU_DEP_2)
	v_mul_f32_e32 v16, 0xbfb8aa3b, v14
	v_cmp_nlt_f32_e32 vcc_lo, 0x42ce8ed0, v14
	v_fma_f32 v19, 0xbfb8aa3b, v14, -v16
	v_rndne_f32_e32 v20, v16
	s_delay_alu instid0(VALU_DEP_1) | instskip(NEXT) | instid1(VALU_DEP_1)
	v_dual_fmac_f32 v19, 0xb2a5705f, v14 :: v_dual_sub_f32 v16, v16, v20
	v_add_f32_e32 v16, v16, v19
	v_cvt_i32_f32_e32 v19, v20
	s_delay_alu instid0(VALU_DEP_2) | instskip(SKIP_2) | instid1(VALU_DEP_1)
	v_exp_f32_e32 v16, v16
	s_waitcnt_depctr 0xfff
	v_ldexp_f32 v16, v16, v19
	v_cndmask_b32_e32 v16, 0, v16, vcc_lo
	v_cmp_ngt_f32_e32 vcc_lo, 0xc2b17218, v14
	s_delay_alu instid0(VALU_DEP_2) | instskip(NEXT) | instid1(VALU_DEP_1)
	v_cndmask_b32_e32 v14, 0x7f800000, v16, vcc_lo
	v_add_f32_e32 v14, 1.0, v14
	s_delay_alu instid0(VALU_DEP_1) | instskip(SKIP_1) | instid1(VALU_DEP_2)
	v_div_scale_f32 v16, null, v14, v14, 1.0
	v_div_scale_f32 v21, vcc_lo, 1.0, v14, 1.0
	v_rcp_f32_e32 v19, v16
	s_waitcnt_depctr 0xfff
	v_fma_f32 v20, -v16, v19, 1.0
	s_delay_alu instid0(VALU_DEP_1) | instskip(NEXT) | instid1(VALU_DEP_1)
	v_fmac_f32_e32 v19, v20, v19
	v_mul_f32_e32 v20, v21, v19
	s_delay_alu instid0(VALU_DEP_1) | instskip(NEXT) | instid1(VALU_DEP_1)
	v_fma_f32 v22, -v16, v20, v21
	v_fmac_f32_e32 v20, v22, v19
	s_delay_alu instid0(VALU_DEP_1) | instskip(NEXT) | instid1(VALU_DEP_1)
	v_fma_f32 v16, -v16, v20, v21
	v_div_fmas_f32 v16, v16, v19, v20
	s_waitcnt vmcnt(0)
	v_cvt_f32_f16_e32 v19, v12
	v_add_f32_e32 v12, v18, v15
                                        ; implicit-def: $vgpr15
	s_delay_alu instid0(VALU_DEP_3) | instskip(NEXT) | instid1(VALU_DEP_3)
	v_div_fixup_f32 v18, v16, v14, 1.0
	v_add_f32_e32 v14, v10, v19
	s_delay_alu instid0(VALU_DEP_1) | instskip(NEXT) | instid1(VALU_DEP_1)
	v_fmac_f32_e32 v12, v14, v18
	v_cmp_ngt_f32_e64 s0, 0x3f200000, |v12|
	s_delay_alu instid0(VALU_DEP_1) | instskip(NEXT) | instid1(SALU_CYCLE_1)
	s_and_saveexec_b32 s60, s0
	s_xor_b32 s0, exec_lo, s60
	s_cbranch_execz .LBB43_43
; %bb.42:                               ;   in Loop: Header=BB43_3 Depth=1
	v_add_f32_e64 v10, |v12|, |v12|
	s_delay_alu instid0(VALU_DEP_1) | instskip(SKIP_1) | instid1(VALU_DEP_2)
	v_mul_f32_e32 v15, 0x3fb8aa3b, v10
	v_cmp_ngt_f32_e32 vcc_lo, 0xc2ce8ed0, v10
	v_rndne_f32_e32 v16, v15
	v_fma_f32 v19, 0x3fb8aa3b, v10, -v15
	s_delay_alu instid0(VALU_DEP_2) | instskip(NEXT) | instid1(VALU_DEP_2)
	v_sub_f32_e32 v15, v15, v16
	v_fmac_f32_e32 v19, 0x32a5705f, v10
	v_cvt_i32_f32_e32 v16, v16
	s_delay_alu instid0(VALU_DEP_2) | instskip(NEXT) | instid1(VALU_DEP_1)
	v_add_f32_e32 v15, v15, v19
	v_exp_f32_e32 v15, v15
	s_waitcnt_depctr 0xfff
	v_ldexp_f32 v15, v15, v16
	s_delay_alu instid0(VALU_DEP_1) | instskip(SKIP_1) | instid1(VALU_DEP_2)
	v_cndmask_b32_e32 v15, 0, v15, vcc_lo
	v_cmp_nlt_f32_e32 vcc_lo, 0x42b17218, v10
	v_cndmask_b32_e32 v10, 0x7f800000, v15, vcc_lo
	s_delay_alu instid0(VALU_DEP_1) | instskip(NEXT) | instid1(VALU_DEP_1)
	v_add_f32_e32 v10, 1.0, v10
	v_rcp_f32_e32 v10, v10
	s_waitcnt_depctr 0xfff
	v_fma_f32 v15, v10, -2.0, 1.0
.LBB43_43:                              ;   in Loop: Header=BB43_3 Depth=1
	s_and_not1_saveexec_b32 s0, s0
; %bb.44:                               ;   in Loop: Header=BB43_3 Depth=1
	v_mul_f32_e32 v10, v12, v12
	s_delay_alu instid0(VALU_DEP_1) | instskip(NEXT) | instid1(VALU_DEP_1)
	v_fmaak_f32 v15, s71, v10, 0x3ca908c9
	v_fmaak_f32 v15, v10, v15, 0xbd5c1c4e
	s_delay_alu instid0(VALU_DEP_1) | instskip(NEXT) | instid1(VALU_DEP_1)
	v_fmaak_f32 v15, v10, v15, 0x3e088382
	v_fmaak_f32 v15, v10, v15, 0xbeaaaa99
	s_delay_alu instid0(VALU_DEP_1) | instskip(NEXT) | instid1(VALU_DEP_1)
	v_mul_f32_e64 v15, |v12|, v15
	v_fma_f32 v15, v10, v15, |v12|
; %bb.45:                               ;   in Loop: Header=BB43_3 Depth=1
	s_or_b32 exec_lo, exec_lo, s0
	v_cvt_f32_f16_e32 v10, v17
	v_cvt_f32_f16_e32 v9, v9
	;; [unrolled: 1-line block ×4, first 2 shown]
	v_mad_u64_u32 v[19:20], null, s69, v7, v[3:4]
	s_delay_alu instid0(VALU_DEP_4)
	v_add_f32_e32 v9, v10, v9
	v_mul_lo_u32 v26, s69, v8
	v_mul_lo_u32 v27, s70, v7
	;; [unrolled: 1-line block ×4, first 2 shown]
	v_add_f32_e32 v9, v9, v11
	v_mad_u64_u32 v[21:22], null, v7, s20, 0
	v_bfi_b32 v16, 0x7fffffff, v15, v12
	v_mul_lo_u32 v24, s59, v5
	s_delay_alu instid0(VALU_DEP_4)
	v_add_f32_e32 v2, v9, v2
	v_add3_u32 v7, v27, v20, v26
	v_mul_lo_u32 v20, v19, s23
	v_mul_lo_u32 v25, s58, v6
	v_add3_u32 v22, v22, v29, v8
	v_mul_f32_e32 v9, 0xbfb8aa3b, v2
	v_cmp_nlt_f32_e32 vcc_lo, 0x42ce8ed0, v2
	v_cvt_f32_f16_e32 v15, v13
	s_delay_alu instid0(VALU_DEP_3) | instskip(SKIP_1) | instid1(VALU_DEP_2)
	v_fma_f32 v10, 0xbfb8aa3b, v2, -v9
	v_rndne_f32_e32 v11, v9
	v_dual_sub_f32 v15, v15, v16 :: v_dual_fmac_f32 v10, 0xb2a5705f, v2
	s_delay_alu instid0(VALU_DEP_2) | instskip(NEXT) | instid1(VALU_DEP_1)
	v_sub_f32_e32 v9, v9, v11
	v_add_f32_e32 v9, v9, v10
	v_cvt_i32_f32_e32 v10, v11
	s_delay_alu instid0(VALU_DEP_2) | instskip(SKIP_2) | instid1(VALU_DEP_1)
	v_exp_f32_e32 v9, v9
	s_waitcnt_depctr 0xfff
	v_ldexp_f32 v9, v9, v10
	v_cndmask_b32_e32 v9, 0, v9, vcc_lo
	v_cmp_ngt_f32_e32 vcc_lo, 0xc2b17218, v2
	s_delay_alu instid0(VALU_DEP_2) | instskip(SKIP_1) | instid1(VALU_DEP_2)
	v_cndmask_b32_e32 v2, 0x7f800000, v9, vcc_lo
	v_mad_u64_u32 v[9:10], null, s58, v5, 0
	v_add_f32_e32 v17, 1.0, v2
	s_delay_alu instid0(VALU_DEP_2) | instskip(NEXT) | instid1(VALU_DEP_2)
	v_add3_u32 v10, v10, v25, v24
	v_div_scale_f32 v2, null, v17, v17, 1.0
	v_div_scale_f32 v28, vcc_lo, 1.0, v17, 1.0
	s_delay_alu instid0(VALU_DEP_2) | instskip(SKIP_2) | instid1(VALU_DEP_1)
	v_rcp_f32_e32 v23, v2
	s_waitcnt_depctr 0xfff
	v_fma_f32 v11, -v2, v23, 1.0
	v_fmac_f32_e32 v23, v11, v23
	v_mad_u64_u32 v[11:12], null, v19, s22, 0
	v_mul_lo_u32 v19, v7, s22
	v_add_co_u32 v7, s0, v3, v9
	s_delay_alu instid0(VALU_DEP_4) | instskip(SKIP_2) | instid1(VALU_DEP_2)
	v_mul_f32_e32 v30, v28, v23
	v_add_co_ci_u32_e64 v8, s0, v4, v10, s0
	s_mov_b32 s0, exec_lo
	v_fma_f32 v26, -v2, v30, v28
	v_add3_u32 v12, v12, v20, v19
	v_lshlrev_b64 v[19:20], 1, v[21:22]
	s_delay_alu instid0(VALU_DEP_3) | instskip(NEXT) | instid1(VALU_DEP_3)
	v_fmac_f32_e32 v30, v26, v23
	v_lshlrev_b64 v[11:12], 1, v[11:12]
	s_delay_alu instid0(VALU_DEP_2) | instskip(SKIP_1) | instid1(VALU_DEP_2)
	v_fma_f32 v21, -v2, v30, v28
	v_or_b32_e32 v2, s55, v8
	v_div_fmas_f32 v21, v21, v23, v30
	v_add_co_u32 v19, vcc_lo, s48, v19
	v_add_co_ci_u32_e32 v20, vcc_lo, s49, v20, vcc_lo
	s_delay_alu instid0(VALU_DEP_3) | instskip(NEXT) | instid1(VALU_DEP_3)
	v_div_fixup_f32 v17, v21, v17, 1.0
	v_add_co_u32 v11, vcc_lo, v19, v11
	s_delay_alu instid0(VALU_DEP_3) | instskip(NEXT) | instid1(VALU_DEP_3)
	v_add_co_ci_u32_e32 v12, vcc_lo, v20, v12, vcc_lo
	v_fma_mixlo_f16 v15, v17, v15, v16
	global_store_b16 v[11:12], v15, off
                                        ; implicit-def: $vgpr11_vgpr12
	v_cmpx_ne_u64_e32 0, v[1:2]
	s_xor_b32 s72, exec_lo, s0
	s_cbranch_execz .LBB43_47
; %bb.46:                               ;   in Loop: Header=BB43_3 Depth=1
	s_ashr_i32 s60, s55, 31
	s_delay_alu instid0(SALU_CYCLE_1) | instskip(SKIP_2) | instid1(SALU_CYCLE_1)
	s_add_u32 s62, s54, s60
	s_mov_b32 s61, s60
	s_addc_u32 s63, s55, s60
	s_xor_b64 s[62:63], s[62:63], s[60:61]
	s_delay_alu instid0(SALU_CYCLE_1) | instskip(SKIP_3) | instid1(VALU_DEP_1)
	v_cvt_f32_u32_e32 v2, s62
	v_cvt_f32_u32_e32 v11, s63
	s_sub_u32 s0, 0, s62
	s_subb_u32 s61, 0, s63
	v_fmac_f32_e32 v2, 0x4f800000, v11
	s_delay_alu instid0(VALU_DEP_1) | instskip(SKIP_2) | instid1(VALU_DEP_1)
	v_rcp_f32_e32 v2, v2
	s_waitcnt_depctr 0xfff
	v_mul_f32_e32 v2, 0x5f7ffffc, v2
	v_mul_f32_e32 v11, 0x2f800000, v2
	s_delay_alu instid0(VALU_DEP_1) | instskip(NEXT) | instid1(VALU_DEP_1)
	v_trunc_f32_e32 v11, v11
	v_fmac_f32_e32 v2, 0xcf800000, v11
	v_cvt_u32_f32_e32 v11, v11
	s_delay_alu instid0(VALU_DEP_2) | instskip(NEXT) | instid1(VALU_DEP_2)
	v_cvt_u32_f32_e32 v2, v2
	v_mul_lo_u32 v12, s0, v11
	s_delay_alu instid0(VALU_DEP_2) | instskip(SKIP_1) | instid1(VALU_DEP_2)
	v_mul_hi_u32 v15, s0, v2
	v_mul_lo_u32 v19, s61, v2
	v_add_nc_u32_e32 v12, v15, v12
	v_mul_lo_u32 v15, s0, v2
	s_delay_alu instid0(VALU_DEP_2) | instskip(NEXT) | instid1(VALU_DEP_2)
	v_add_nc_u32_e32 v12, v12, v19
	v_mul_hi_u32 v19, v2, v15
	s_delay_alu instid0(VALU_DEP_2)
	v_mul_lo_u32 v20, v2, v12
	v_mul_hi_u32 v21, v2, v12
	v_mul_hi_u32 v22, v11, v15
	v_mul_lo_u32 v15, v11, v15
	v_mul_hi_u32 v23, v11, v12
	v_mul_lo_u32 v12, v11, v12
	v_add_co_u32 v19, vcc_lo, v19, v20
	v_add_co_ci_u32_e32 v20, vcc_lo, 0, v21, vcc_lo
	s_delay_alu instid0(VALU_DEP_2) | instskip(NEXT) | instid1(VALU_DEP_2)
	v_add_co_u32 v15, vcc_lo, v19, v15
	v_add_co_ci_u32_e32 v15, vcc_lo, v20, v22, vcc_lo
	v_add_co_ci_u32_e32 v19, vcc_lo, 0, v23, vcc_lo
	v_ashrrev_i32_e32 v22, 31, v8
	s_delay_alu instid0(VALU_DEP_3) | instskip(NEXT) | instid1(VALU_DEP_3)
	v_add_co_u32 v12, vcc_lo, v15, v12
	v_add_co_ci_u32_e32 v15, vcc_lo, 0, v19, vcc_lo
	s_delay_alu instid0(VALU_DEP_2) | instskip(NEXT) | instid1(VALU_DEP_2)
	v_add_co_u32 v2, vcc_lo, v2, v12
	v_add_co_ci_u32_e32 v11, vcc_lo, v11, v15, vcc_lo
	s_delay_alu instid0(VALU_DEP_2) | instskip(SKIP_1) | instid1(VALU_DEP_3)
	v_mul_hi_u32 v12, s0, v2
	v_mul_lo_u32 v19, s61, v2
	v_mul_lo_u32 v15, s0, v11
	s_delay_alu instid0(VALU_DEP_1) | instskip(SKIP_1) | instid1(VALU_DEP_2)
	v_add_nc_u32_e32 v12, v12, v15
	v_mul_lo_u32 v15, s0, v2
	v_add_nc_u32_e32 v12, v12, v19
	s_delay_alu instid0(VALU_DEP_2) | instskip(NEXT) | instid1(VALU_DEP_2)
	v_mul_hi_u32 v19, v2, v15
	v_mul_lo_u32 v20, v2, v12
	v_mul_hi_u32 v21, v2, v12
	v_mul_hi_u32 v23, v11, v15
	v_mul_lo_u32 v15, v11, v15
	v_mul_hi_u32 v24, v11, v12
	v_mul_lo_u32 v12, v11, v12
	v_add_co_u32 v19, vcc_lo, v19, v20
	v_add_co_ci_u32_e32 v20, vcc_lo, 0, v21, vcc_lo
	s_delay_alu instid0(VALU_DEP_2) | instskip(NEXT) | instid1(VALU_DEP_2)
	v_add_co_u32 v15, vcc_lo, v19, v15
	v_add_co_ci_u32_e32 v15, vcc_lo, v20, v23, vcc_lo
	v_add_co_ci_u32_e32 v19, vcc_lo, 0, v24, vcc_lo
	v_add_co_u32 v7, vcc_lo, v7, v22
	v_add_co_ci_u32_e32 v8, vcc_lo, v8, v22, vcc_lo
	s_delay_alu instid0(VALU_DEP_4) | instskip(NEXT) | instid1(VALU_DEP_4)
	v_add_co_u32 v12, vcc_lo, v15, v12
	v_add_co_ci_u32_e32 v15, vcc_lo, 0, v19, vcc_lo
	s_delay_alu instid0(VALU_DEP_4) | instskip(NEXT) | instid1(VALU_DEP_3)
	v_xor_b32_e32 v21, v7, v22
	v_add_co_u32 v2, vcc_lo, v2, v12
	s_delay_alu instid0(VALU_DEP_3) | instskip(SKIP_1) | instid1(VALU_DEP_3)
	v_add_co_ci_u32_e32 v15, vcc_lo, v11, v15, vcc_lo
	v_xor_b32_e32 v23, v8, v22
	v_mul_hi_u32 v24, v21, v2
	s_delay_alu instid0(VALU_DEP_3) | instskip(NEXT) | instid1(VALU_DEP_3)
	v_mad_u64_u32 v[7:8], null, v21, v15, 0
	v_mad_u64_u32 v[11:12], null, v23, v2, 0
	v_mad_u64_u32 v[19:20], null, v23, v15, 0
	s_delay_alu instid0(VALU_DEP_3) | instskip(NEXT) | instid1(VALU_DEP_4)
	v_add_co_u32 v2, vcc_lo, v24, v7
	v_add_co_ci_u32_e32 v7, vcc_lo, 0, v8, vcc_lo
	s_delay_alu instid0(VALU_DEP_2) | instskip(NEXT) | instid1(VALU_DEP_2)
	v_add_co_u32 v2, vcc_lo, v2, v11
	v_add_co_ci_u32_e32 v2, vcc_lo, v7, v12, vcc_lo
	v_add_co_ci_u32_e32 v7, vcc_lo, 0, v20, vcc_lo
	s_delay_alu instid0(VALU_DEP_2) | instskip(NEXT) | instid1(VALU_DEP_2)
	v_add_co_u32 v2, vcc_lo, v2, v19
	v_add_co_ci_u32_e32 v11, vcc_lo, 0, v7, vcc_lo
	s_delay_alu instid0(VALU_DEP_2) | instskip(SKIP_1) | instid1(VALU_DEP_3)
	v_mul_lo_u32 v12, s63, v2
	v_mad_u64_u32 v[7:8], null, s62, v2, 0
	v_mul_lo_u32 v15, s62, v11
	s_delay_alu instid0(VALU_DEP_2) | instskip(NEXT) | instid1(VALU_DEP_2)
	v_sub_co_u32 v7, vcc_lo, v21, v7
	v_add3_u32 v8, v8, v15, v12
	s_delay_alu instid0(VALU_DEP_1) | instskip(NEXT) | instid1(VALU_DEP_1)
	v_sub_nc_u32_e32 v12, v23, v8
	v_subrev_co_ci_u32_e64 v12, s0, s63, v12, vcc_lo
	v_add_co_u32 v15, s0, v2, 2
	s_delay_alu instid0(VALU_DEP_1) | instskip(SKIP_3) | instid1(VALU_DEP_3)
	v_add_co_ci_u32_e64 v19, s0, 0, v11, s0
	v_sub_co_u32 v20, s0, v7, s62
	v_sub_co_ci_u32_e32 v8, vcc_lo, v23, v8, vcc_lo
	v_subrev_co_ci_u32_e64 v12, s0, 0, v12, s0
	v_cmp_le_u32_e32 vcc_lo, s62, v20
	s_delay_alu instid0(VALU_DEP_3) | instskip(SKIP_1) | instid1(VALU_DEP_4)
	v_cmp_eq_u32_e64 s0, s63, v8
	v_cndmask_b32_e64 v20, 0, -1, vcc_lo
	v_cmp_le_u32_e32 vcc_lo, s63, v12
	v_cndmask_b32_e64 v21, 0, -1, vcc_lo
	v_cmp_le_u32_e32 vcc_lo, s62, v7
	;; [unrolled: 2-line block ×3, first 2 shown]
	v_cndmask_b32_e64 v23, 0, -1, vcc_lo
	v_cmp_eq_u32_e32 vcc_lo, s63, v12
	s_delay_alu instid0(VALU_DEP_2) | instskip(SKIP_3) | instid1(VALU_DEP_3)
	v_cndmask_b32_e64 v7, v23, v7, s0
	v_cndmask_b32_e32 v12, v21, v20, vcc_lo
	v_add_co_u32 v20, vcc_lo, v2, 1
	v_add_co_ci_u32_e32 v21, vcc_lo, 0, v11, vcc_lo
	v_cmp_ne_u32_e32 vcc_lo, 0, v12
	s_delay_alu instid0(VALU_DEP_2) | instskip(NEXT) | instid1(VALU_DEP_4)
	v_cndmask_b32_e32 v8, v21, v19, vcc_lo
	v_cndmask_b32_e32 v12, v20, v15, vcc_lo
	v_cmp_ne_u32_e32 vcc_lo, 0, v7
	v_xor_b32_e32 v7, s60, v22
	s_delay_alu instid0(VALU_DEP_3) | instskip(SKIP_1) | instid1(VALU_DEP_2)
	v_cndmask_b32_e32 v2, v2, v12, vcc_lo
	v_cndmask_b32_e32 v8, v11, v8, vcc_lo
	v_xor_b32_e32 v2, v2, v7
	s_delay_alu instid0(VALU_DEP_2) | instskip(NEXT) | instid1(VALU_DEP_2)
	v_xor_b32_e32 v8, v8, v7
	v_sub_co_u32 v11, vcc_lo, v2, v7
	s_delay_alu instid0(VALU_DEP_2)
	v_sub_co_ci_u32_e32 v12, vcc_lo, v8, v7, vcc_lo
                                        ; implicit-def: $vgpr7
.LBB43_47:                              ;   in Loop: Header=BB43_3 Depth=1
	s_or_saveexec_b32 s0, s72
	v_cvt_f32_u32_e32 v15, s54
	s_xor_b32 exec_lo, exec_lo, s0
	s_cbranch_execz .LBB43_49
; %bb.48:                               ;   in Loop: Header=BB43_3 Depth=1
	s_delay_alu instid0(VALU_DEP_1) | instskip(SKIP_4) | instid1(VALU_DEP_1)
	v_rcp_iflag_f32_e32 v2, v15
	s_sub_i32 s60, 0, s54
	v_mov_b32_e32 v12, v1
	s_waitcnt_depctr 0xfff
	v_mul_f32_e32 v2, 0x4f7ffffe, v2
	v_cvt_u32_f32_e32 v2, v2
	s_delay_alu instid0(VALU_DEP_1) | instskip(NEXT) | instid1(VALU_DEP_1)
	v_mul_lo_u32 v8, s60, v2
	v_mul_hi_u32 v8, v2, v8
	s_delay_alu instid0(VALU_DEP_1) | instskip(NEXT) | instid1(VALU_DEP_1)
	v_add_nc_u32_e32 v2, v2, v8
	v_mul_hi_u32 v2, v7, v2
	s_delay_alu instid0(VALU_DEP_1) | instskip(NEXT) | instid1(VALU_DEP_1)
	v_mul_lo_u32 v8, v2, s54
	v_sub_nc_u32_e32 v7, v7, v8
	v_add_nc_u32_e32 v8, 1, v2
	s_delay_alu instid0(VALU_DEP_2) | instskip(SKIP_1) | instid1(VALU_DEP_2)
	v_subrev_nc_u32_e32 v11, s54, v7
	v_cmp_le_u32_e32 vcc_lo, s54, v7
	v_dual_cndmask_b32 v7, v7, v11 :: v_dual_cndmask_b32 v2, v2, v8
	s_delay_alu instid0(VALU_DEP_1) | instskip(NEXT) | instid1(VALU_DEP_2)
	v_cmp_le_u32_e32 vcc_lo, s54, v7
	v_add_nc_u32_e32 v8, 1, v2
	s_delay_alu instid0(VALU_DEP_1)
	v_cndmask_b32_e32 v11, v2, v8, vcc_lo
.LBB43_49:                              ;   in Loop: Header=BB43_3 Depth=1
	s_or_b32 exec_lo, exec_lo, s0
	v_mul_lo_u32 v2, v12, s54
	s_delay_alu instid0(VALU_DEP_2) | instskip(SKIP_4) | instid1(VALU_DEP_3)
	v_mul_lo_u32 v7, v11, s55
	v_mad_u64_u32 v[19:20], null, v11, s54, 0
	v_mul_lo_u32 v12, v12, s24
	v_mul_lo_u32 v21, v11, s25
	s_mov_b32 s0, exec_lo
	v_add3_u32 v2, v20, v7, v2
	s_delay_alu instid0(VALU_DEP_4) | instskip(SKIP_2) | instid1(VALU_DEP_4)
	v_sub_co_u32 v9, vcc_lo, v9, v19
	v_lshlrev_b64 v[7:8], 2, v[5:6]
	v_alignbit_b32 v5, v6, v5, 30
	v_sub_co_ci_u32_e32 v2, vcc_lo, v10, v2, vcc_lo
	s_delay_alu instid0(VALU_DEP_4) | instskip(SKIP_1) | instid1(VALU_DEP_3)
	v_add_co_u32 v22, vcc_lo, v3, v9
	v_mad_u64_u32 v[9:10], null, v11, s24, 0
	v_add_co_ci_u32_e32 v2, vcc_lo, v4, v2, vcc_lo
	v_mul_lo_u32 v11, s4, v5
	v_mul_lo_u32 v23, s5, v7
	;; [unrolled: 1-line block ×3, first 2 shown]
	s_delay_alu instid0(VALU_DEP_4) | instskip(SKIP_4) | instid1(VALU_DEP_4)
	v_mul_lo_u32 v2, v2, s26
	v_mad_u64_u32 v[5:6], null, s4, v7, s[4:5]
	v_mad_u64_u32 v[19:20], null, v22, s26, 0
	v_add3_u32 v10, v10, v21, v12
	v_cvt_f16_f32_e32 v21, v18
	v_add3_u32 v6, v23, v6, v11
	s_delay_alu instid0(VALU_DEP_3) | instskip(SKIP_2) | instid1(VALU_DEP_4)
	v_lshlrev_b64 v[9:10], 1, v[9:10]
	v_add3_u32 v20, v20, v24, v2
	v_add_co_u32 v11, vcc_lo, v3, v5
	v_add_co_ci_u32_e32 v12, vcc_lo, v4, v6, vcc_lo
	s_delay_alu instid0(VALU_DEP_3) | instskip(SKIP_2) | instid1(VALU_DEP_4)
	v_lshlrev_b64 v[18:19], 1, v[19:20]
	v_add_co_u32 v9, vcc_lo, s52, v9
	v_add_co_ci_u32_e32 v10, vcc_lo, s53, v10, vcc_lo
	v_or_b32_e32 v2, s55, v12
	s_delay_alu instid0(VALU_DEP_3) | instskip(NEXT) | instid1(VALU_DEP_3)
	v_add_co_u32 v9, vcc_lo, v9, v18
	v_add_co_ci_u32_e32 v10, vcc_lo, v10, v19, vcc_lo
	global_store_b16 v[9:10], v21, off
                                        ; implicit-def: $vgpr9_vgpr10
	v_cmpx_ne_u64_e32 0, v[1:2]
	s_xor_b32 s72, exec_lo, s0
	s_cbranch_execz .LBB43_51
; %bb.50:                               ;   in Loop: Header=BB43_3 Depth=1
	s_ashr_i32 s60, s55, 31
	s_delay_alu instid0(SALU_CYCLE_1) | instskip(SKIP_2) | instid1(SALU_CYCLE_1)
	s_add_u32 s62, s54, s60
	s_mov_b32 s61, s60
	s_addc_u32 s63, s55, s60
	s_xor_b64 s[62:63], s[62:63], s[60:61]
	s_delay_alu instid0(SALU_CYCLE_1) | instskip(SKIP_3) | instid1(VALU_DEP_1)
	v_cvt_f32_u32_e32 v2, s62
	v_cvt_f32_u32_e32 v9, s63
	s_sub_u32 s0, 0, s62
	s_subb_u32 s61, 0, s63
	v_fmac_f32_e32 v2, 0x4f800000, v9
	s_delay_alu instid0(VALU_DEP_1) | instskip(SKIP_2) | instid1(VALU_DEP_1)
	v_rcp_f32_e32 v2, v2
	s_waitcnt_depctr 0xfff
	v_mul_f32_e32 v2, 0x5f7ffffc, v2
	v_mul_f32_e32 v9, 0x2f800000, v2
	s_delay_alu instid0(VALU_DEP_1) | instskip(NEXT) | instid1(VALU_DEP_1)
	v_trunc_f32_e32 v9, v9
	v_fmac_f32_e32 v2, 0xcf800000, v9
	v_cvt_u32_f32_e32 v9, v9
	s_delay_alu instid0(VALU_DEP_2) | instskip(NEXT) | instid1(VALU_DEP_2)
	v_cvt_u32_f32_e32 v2, v2
	v_mul_lo_u32 v10, s0, v9
	s_delay_alu instid0(VALU_DEP_2) | instskip(SKIP_1) | instid1(VALU_DEP_2)
	v_mul_hi_u32 v18, s0, v2
	v_mul_lo_u32 v19, s61, v2
	v_add_nc_u32_e32 v10, v18, v10
	v_mul_lo_u32 v18, s0, v2
	s_delay_alu instid0(VALU_DEP_2) | instskip(NEXT) | instid1(VALU_DEP_2)
	v_add_nc_u32_e32 v10, v10, v19
	v_mul_hi_u32 v19, v2, v18
	s_delay_alu instid0(VALU_DEP_2)
	v_mul_lo_u32 v20, v2, v10
	v_mul_hi_u32 v21, v2, v10
	v_mul_hi_u32 v22, v9, v18
	v_mul_lo_u32 v18, v9, v18
	v_mul_hi_u32 v23, v9, v10
	v_mul_lo_u32 v10, v9, v10
	v_add_co_u32 v19, vcc_lo, v19, v20
	v_add_co_ci_u32_e32 v20, vcc_lo, 0, v21, vcc_lo
	s_delay_alu instid0(VALU_DEP_2) | instskip(NEXT) | instid1(VALU_DEP_2)
	v_add_co_u32 v18, vcc_lo, v19, v18
	v_add_co_ci_u32_e32 v18, vcc_lo, v20, v22, vcc_lo
	v_add_co_ci_u32_e32 v19, vcc_lo, 0, v23, vcc_lo
	v_ashrrev_i32_e32 v22, 31, v12
	s_delay_alu instid0(VALU_DEP_3) | instskip(NEXT) | instid1(VALU_DEP_3)
	v_add_co_u32 v10, vcc_lo, v18, v10
	v_add_co_ci_u32_e32 v18, vcc_lo, 0, v19, vcc_lo
	s_delay_alu instid0(VALU_DEP_2) | instskip(NEXT) | instid1(VALU_DEP_2)
	v_add_co_u32 v2, vcc_lo, v2, v10
	v_add_co_ci_u32_e32 v9, vcc_lo, v9, v18, vcc_lo
	s_delay_alu instid0(VALU_DEP_2) | instskip(SKIP_1) | instid1(VALU_DEP_3)
	v_mul_hi_u32 v10, s0, v2
	v_mul_lo_u32 v19, s61, v2
	v_mul_lo_u32 v18, s0, v9
	s_delay_alu instid0(VALU_DEP_1) | instskip(SKIP_1) | instid1(VALU_DEP_2)
	v_add_nc_u32_e32 v10, v10, v18
	v_mul_lo_u32 v18, s0, v2
	v_add_nc_u32_e32 v10, v10, v19
	s_delay_alu instid0(VALU_DEP_2) | instskip(NEXT) | instid1(VALU_DEP_2)
	v_mul_hi_u32 v19, v2, v18
	v_mul_lo_u32 v20, v2, v10
	v_mul_hi_u32 v21, v2, v10
	v_mul_hi_u32 v23, v9, v18
	v_mul_lo_u32 v18, v9, v18
	v_mul_hi_u32 v24, v9, v10
	v_mul_lo_u32 v10, v9, v10
	v_add_co_u32 v19, vcc_lo, v19, v20
	v_add_co_ci_u32_e32 v20, vcc_lo, 0, v21, vcc_lo
	s_delay_alu instid0(VALU_DEP_2) | instskip(NEXT) | instid1(VALU_DEP_2)
	v_add_co_u32 v18, vcc_lo, v19, v18
	v_add_co_ci_u32_e32 v18, vcc_lo, v20, v23, vcc_lo
	v_add_co_ci_u32_e32 v19, vcc_lo, 0, v24, vcc_lo
	v_add_co_u32 v11, vcc_lo, v11, v22
	v_add_co_ci_u32_e32 v12, vcc_lo, v12, v22, vcc_lo
	s_delay_alu instid0(VALU_DEP_4) | instskip(NEXT) | instid1(VALU_DEP_4)
	v_add_co_u32 v10, vcc_lo, v18, v10
	v_add_co_ci_u32_e32 v18, vcc_lo, 0, v19, vcc_lo
	s_delay_alu instid0(VALU_DEP_4) | instskip(NEXT) | instid1(VALU_DEP_3)
	v_xor_b32_e32 v20, v11, v22
	v_add_co_u32 v2, vcc_lo, v2, v10
	s_delay_alu instid0(VALU_DEP_3) | instskip(SKIP_1) | instid1(VALU_DEP_3)
	v_add_co_ci_u32_e32 v21, vcc_lo, v9, v18, vcc_lo
	v_xor_b32_e32 v23, v12, v22
	v_mul_hi_u32 v24, v20, v2
	s_delay_alu instid0(VALU_DEP_3) | instskip(NEXT) | instid1(VALU_DEP_3)
	v_mad_u64_u32 v[9:10], null, v20, v21, 0
	v_mad_u64_u32 v[11:12], null, v23, v2, 0
	;; [unrolled: 1-line block ×3, first 2 shown]
	s_delay_alu instid0(VALU_DEP_3) | instskip(NEXT) | instid1(VALU_DEP_4)
	v_add_co_u32 v2, vcc_lo, v24, v9
	v_add_co_ci_u32_e32 v9, vcc_lo, 0, v10, vcc_lo
	s_delay_alu instid0(VALU_DEP_2) | instskip(NEXT) | instid1(VALU_DEP_2)
	v_add_co_u32 v2, vcc_lo, v2, v11
	v_add_co_ci_u32_e32 v2, vcc_lo, v9, v12, vcc_lo
	v_add_co_ci_u32_e32 v9, vcc_lo, 0, v19, vcc_lo
	s_delay_alu instid0(VALU_DEP_2) | instskip(NEXT) | instid1(VALU_DEP_2)
	v_add_co_u32 v2, vcc_lo, v2, v18
	v_add_co_ci_u32_e32 v11, vcc_lo, 0, v9, vcc_lo
	s_delay_alu instid0(VALU_DEP_2) | instskip(SKIP_1) | instid1(VALU_DEP_3)
	v_mul_lo_u32 v12, s63, v2
	v_mad_u64_u32 v[9:10], null, s62, v2, 0
	v_mul_lo_u32 v18, s62, v11
	s_delay_alu instid0(VALU_DEP_2) | instskip(NEXT) | instid1(VALU_DEP_2)
	v_sub_co_u32 v9, vcc_lo, v20, v9
	v_add3_u32 v10, v10, v18, v12
	s_delay_alu instid0(VALU_DEP_1) | instskip(NEXT) | instid1(VALU_DEP_1)
	v_sub_nc_u32_e32 v12, v23, v10
	v_subrev_co_ci_u32_e64 v12, s0, s63, v12, vcc_lo
	v_add_co_u32 v18, s0, v2, 2
	s_delay_alu instid0(VALU_DEP_1) | instskip(SKIP_3) | instid1(VALU_DEP_3)
	v_add_co_ci_u32_e64 v19, s0, 0, v11, s0
	v_sub_co_u32 v20, s0, v9, s62
	v_sub_co_ci_u32_e32 v10, vcc_lo, v23, v10, vcc_lo
	v_subrev_co_ci_u32_e64 v12, s0, 0, v12, s0
	v_cmp_le_u32_e32 vcc_lo, s62, v20
	s_delay_alu instid0(VALU_DEP_3) | instskip(SKIP_1) | instid1(VALU_DEP_4)
	v_cmp_eq_u32_e64 s0, s63, v10
	v_cndmask_b32_e64 v20, 0, -1, vcc_lo
	v_cmp_le_u32_e32 vcc_lo, s63, v12
	v_cndmask_b32_e64 v21, 0, -1, vcc_lo
	v_cmp_le_u32_e32 vcc_lo, s62, v9
	;; [unrolled: 2-line block ×3, first 2 shown]
	v_cndmask_b32_e64 v23, 0, -1, vcc_lo
	v_cmp_eq_u32_e32 vcc_lo, s63, v12
	s_delay_alu instid0(VALU_DEP_2) | instskip(SKIP_3) | instid1(VALU_DEP_3)
	v_cndmask_b32_e64 v9, v23, v9, s0
	v_cndmask_b32_e32 v12, v21, v20, vcc_lo
	v_add_co_u32 v20, vcc_lo, v2, 1
	v_add_co_ci_u32_e32 v21, vcc_lo, 0, v11, vcc_lo
	v_cmp_ne_u32_e32 vcc_lo, 0, v12
	s_delay_alu instid0(VALU_DEP_2) | instskip(NEXT) | instid1(VALU_DEP_4)
	v_cndmask_b32_e32 v10, v21, v19, vcc_lo
	v_cndmask_b32_e32 v12, v20, v18, vcc_lo
	v_cmp_ne_u32_e32 vcc_lo, 0, v9
	v_xor_b32_e32 v18, s60, v22
	s_delay_alu instid0(VALU_DEP_3) | instskip(NEXT) | instid1(VALU_DEP_1)
	v_dual_cndmask_b32 v2, v2, v12 :: v_dual_cndmask_b32 v9, v11, v10
                                        ; implicit-def: $vgpr11
	v_xor_b32_e32 v2, v2, v18
	s_delay_alu instid0(VALU_DEP_2) | instskip(NEXT) | instid1(VALU_DEP_2)
	v_xor_b32_e32 v10, v9, v18
	v_sub_co_u32 v9, vcc_lo, v2, v18
	s_delay_alu instid0(VALU_DEP_2)
	v_sub_co_ci_u32_e32 v10, vcc_lo, v10, v18, vcc_lo
.LBB43_51:                              ;   in Loop: Header=BB43_3 Depth=1
	s_and_not1_saveexec_b32 s0, s72
	s_cbranch_execz .LBB43_53
; %bb.52:                               ;   in Loop: Header=BB43_3 Depth=1
	v_rcp_iflag_f32_e32 v2, v15
	s_sub_i32 s60, 0, s54
	s_waitcnt_depctr 0xfff
	v_mul_f32_e32 v2, 0x4f7ffffe, v2
	s_delay_alu instid0(VALU_DEP_1) | instskip(NEXT) | instid1(VALU_DEP_1)
	v_cvt_u32_f32_e32 v2, v2
	v_mul_lo_u32 v9, s60, v2
	s_delay_alu instid0(VALU_DEP_1) | instskip(NEXT) | instid1(VALU_DEP_1)
	v_mul_hi_u32 v9, v2, v9
	v_add_nc_u32_e32 v2, v2, v9
	s_delay_alu instid0(VALU_DEP_1) | instskip(NEXT) | instid1(VALU_DEP_1)
	v_mul_hi_u32 v2, v11, v2
	v_mul_lo_u32 v9, v2, s54
	v_add_nc_u32_e32 v10, 1, v2
	s_delay_alu instid0(VALU_DEP_2) | instskip(NEXT) | instid1(VALU_DEP_1)
	v_sub_nc_u32_e32 v9, v11, v9
	v_subrev_nc_u32_e32 v11, s54, v9
	v_cmp_le_u32_e32 vcc_lo, s54, v9
	s_delay_alu instid0(VALU_DEP_2) | instskip(NEXT) | instid1(VALU_DEP_1)
	v_dual_cndmask_b32 v9, v9, v11 :: v_dual_cndmask_b32 v2, v2, v10
	v_cmp_le_u32_e32 vcc_lo, s54, v9
	s_delay_alu instid0(VALU_DEP_2) | instskip(NEXT) | instid1(VALU_DEP_1)
	v_add_nc_u32_e32 v10, 1, v2
	v_dual_cndmask_b32 v9, v2, v10 :: v_dual_mov_b32 v10, v1
.LBB43_53:                              ;   in Loop: Header=BB43_3 Depth=1
	s_or_b32 exec_lo, exec_lo, s0
	s_delay_alu instid0(VALU_DEP_1) | instskip(NEXT) | instid1(VALU_DEP_2)
	v_mul_lo_u32 v2, v10, s54
	v_mul_lo_u32 v18, v9, s55
	v_mad_u64_u32 v[11:12], null, v9, s54, 0
	v_mul_lo_u32 v20, v10, s24
	s_mov_b32 s0, exec_lo
	s_delay_alu instid0(VALU_DEP_2) | instskip(NEXT) | instid1(VALU_DEP_3)
	v_add3_u32 v2, v12, v18, v2
	v_sub_co_u32 v5, vcc_lo, v5, v11
	v_mul_lo_u32 v12, v9, s25
	v_mad_u64_u32 v[10:11], null, v9, s24, 0
	s_delay_alu instid0(VALU_DEP_4) | instskip(NEXT) | instid1(VALU_DEP_4)
	v_sub_co_ci_u32_e32 v2, vcc_lo, v6, v2, vcc_lo
	v_add_co_u32 v5, vcc_lo, v3, v5
	s_delay_alu instid0(VALU_DEP_2) | instskip(SKIP_2) | instid1(VALU_DEP_4)
	v_add_co_ci_u32_e32 v2, vcc_lo, v4, v2, vcc_lo
	v_add_co_u32 v9, vcc_lo, v7, 2
	v_add_co_ci_u32_e32 v6, vcc_lo, 0, v8, vcc_lo
	v_mul_lo_u32 v21, v5, s27
	s_delay_alu instid0(VALU_DEP_4)
	v_mul_lo_u32 v2, v2, s26
	v_mad_u64_u32 v[18:19], null, v5, s26, 0
	v_mul_lo_u32 v22, s5, v9
	v_mul_lo_u32 v23, s4, v6
	v_mad_u64_u32 v[5:6], null, s4, v9, 0
	v_add3_u32 v11, v11, v12, v20
	v_cvt_f16_f32_e32 v20, v17
	v_add3_u32 v19, v19, v21, v2
	s_delay_alu instid0(VALU_DEP_3) | instskip(SKIP_2) | instid1(VALU_DEP_4)
	v_lshlrev_b64 v[9:10], 1, v[10:11]
	v_add3_u32 v6, v6, v23, v22
	v_add_co_u32 v11, vcc_lo, v3, v5
	v_lshlrev_b64 v[17:18], 1, v[18:19]
	s_delay_alu instid0(VALU_DEP_3) | instskip(SKIP_2) | instid1(VALU_DEP_3)
	v_add_co_ci_u32_e32 v12, vcc_lo, v4, v6, vcc_lo
	v_add_co_u32 v9, vcc_lo, s52, v9
	v_add_co_ci_u32_e32 v10, vcc_lo, s53, v10, vcc_lo
	v_or_b32_e32 v2, s55, v12
	s_delay_alu instid0(VALU_DEP_3) | instskip(NEXT) | instid1(VALU_DEP_3)
	v_add_co_u32 v9, vcc_lo, v9, v17
	v_add_co_ci_u32_e32 v10, vcc_lo, v10, v18, vcc_lo
	global_store_b16 v[9:10], v20, off
                                        ; implicit-def: $vgpr9_vgpr10
	v_cmpx_ne_u64_e32 0, v[1:2]
	s_xor_b32 s72, exec_lo, s0
	s_cbranch_execz .LBB43_55
; %bb.54:                               ;   in Loop: Header=BB43_3 Depth=1
	s_ashr_i32 s60, s55, 31
	s_delay_alu instid0(SALU_CYCLE_1) | instskip(SKIP_2) | instid1(SALU_CYCLE_1)
	s_add_u32 s62, s54, s60
	s_mov_b32 s61, s60
	s_addc_u32 s63, s55, s60
	s_xor_b64 s[62:63], s[62:63], s[60:61]
	s_delay_alu instid0(SALU_CYCLE_1) | instskip(SKIP_3) | instid1(VALU_DEP_1)
	v_cvt_f32_u32_e32 v2, s62
	v_cvt_f32_u32_e32 v9, s63
	s_sub_u32 s0, 0, s62
	s_subb_u32 s61, 0, s63
	v_fmac_f32_e32 v2, 0x4f800000, v9
	s_delay_alu instid0(VALU_DEP_1) | instskip(SKIP_2) | instid1(VALU_DEP_1)
	v_rcp_f32_e32 v2, v2
	s_waitcnt_depctr 0xfff
	v_mul_f32_e32 v2, 0x5f7ffffc, v2
	v_mul_f32_e32 v9, 0x2f800000, v2
	s_delay_alu instid0(VALU_DEP_1) | instskip(NEXT) | instid1(VALU_DEP_1)
	v_trunc_f32_e32 v9, v9
	v_fmac_f32_e32 v2, 0xcf800000, v9
	v_cvt_u32_f32_e32 v9, v9
	s_delay_alu instid0(VALU_DEP_2) | instskip(NEXT) | instid1(VALU_DEP_2)
	v_cvt_u32_f32_e32 v2, v2
	v_mul_lo_u32 v10, s0, v9
	s_delay_alu instid0(VALU_DEP_2) | instskip(SKIP_1) | instid1(VALU_DEP_2)
	v_mul_hi_u32 v17, s0, v2
	v_mul_lo_u32 v18, s61, v2
	v_add_nc_u32_e32 v10, v17, v10
	v_mul_lo_u32 v17, s0, v2
	s_delay_alu instid0(VALU_DEP_2) | instskip(NEXT) | instid1(VALU_DEP_2)
	v_add_nc_u32_e32 v10, v10, v18
	v_mul_hi_u32 v18, v2, v17
	s_delay_alu instid0(VALU_DEP_2)
	v_mul_lo_u32 v19, v2, v10
	v_mul_hi_u32 v20, v2, v10
	v_mul_hi_u32 v21, v9, v17
	v_mul_lo_u32 v17, v9, v17
	v_mul_hi_u32 v22, v9, v10
	v_mul_lo_u32 v10, v9, v10
	v_add_co_u32 v18, vcc_lo, v18, v19
	v_add_co_ci_u32_e32 v19, vcc_lo, 0, v20, vcc_lo
	s_delay_alu instid0(VALU_DEP_2) | instskip(NEXT) | instid1(VALU_DEP_2)
	v_add_co_u32 v17, vcc_lo, v18, v17
	v_add_co_ci_u32_e32 v17, vcc_lo, v19, v21, vcc_lo
	v_add_co_ci_u32_e32 v18, vcc_lo, 0, v22, vcc_lo
	v_ashrrev_i32_e32 v21, 31, v12
	s_delay_alu instid0(VALU_DEP_3) | instskip(NEXT) | instid1(VALU_DEP_3)
	v_add_co_u32 v10, vcc_lo, v17, v10
	v_add_co_ci_u32_e32 v17, vcc_lo, 0, v18, vcc_lo
	s_delay_alu instid0(VALU_DEP_2) | instskip(NEXT) | instid1(VALU_DEP_2)
	v_add_co_u32 v2, vcc_lo, v2, v10
	v_add_co_ci_u32_e32 v9, vcc_lo, v9, v17, vcc_lo
	s_delay_alu instid0(VALU_DEP_2) | instskip(SKIP_1) | instid1(VALU_DEP_3)
	v_mul_hi_u32 v10, s0, v2
	v_mul_lo_u32 v18, s61, v2
	v_mul_lo_u32 v17, s0, v9
	s_delay_alu instid0(VALU_DEP_1) | instskip(SKIP_1) | instid1(VALU_DEP_2)
	v_add_nc_u32_e32 v10, v10, v17
	v_mul_lo_u32 v17, s0, v2
	v_add_nc_u32_e32 v10, v10, v18
	s_delay_alu instid0(VALU_DEP_2) | instskip(NEXT) | instid1(VALU_DEP_2)
	v_mul_hi_u32 v18, v2, v17
	v_mul_lo_u32 v19, v2, v10
	v_mul_hi_u32 v20, v2, v10
	v_mul_hi_u32 v22, v9, v17
	v_mul_lo_u32 v17, v9, v17
	v_mul_hi_u32 v23, v9, v10
	v_mul_lo_u32 v10, v9, v10
	v_add_co_u32 v18, vcc_lo, v18, v19
	v_add_co_ci_u32_e32 v19, vcc_lo, 0, v20, vcc_lo
	s_delay_alu instid0(VALU_DEP_2) | instskip(NEXT) | instid1(VALU_DEP_2)
	v_add_co_u32 v17, vcc_lo, v18, v17
	v_add_co_ci_u32_e32 v17, vcc_lo, v19, v22, vcc_lo
	v_add_co_ci_u32_e32 v18, vcc_lo, 0, v23, vcc_lo
	v_add_co_u32 v11, vcc_lo, v11, v21
	v_add_co_ci_u32_e32 v12, vcc_lo, v12, v21, vcc_lo
	s_delay_alu instid0(VALU_DEP_4) | instskip(NEXT) | instid1(VALU_DEP_4)
	v_add_co_u32 v10, vcc_lo, v17, v10
	v_add_co_ci_u32_e32 v17, vcc_lo, 0, v18, vcc_lo
	s_delay_alu instid0(VALU_DEP_4) | instskip(NEXT) | instid1(VALU_DEP_3)
	v_xor_b32_e32 v19, v11, v21
	v_add_co_u32 v2, vcc_lo, v2, v10
	s_delay_alu instid0(VALU_DEP_3) | instskip(SKIP_1) | instid1(VALU_DEP_3)
	v_add_co_ci_u32_e32 v20, vcc_lo, v9, v17, vcc_lo
	v_xor_b32_e32 v22, v12, v21
	v_mul_hi_u32 v23, v19, v2
	s_delay_alu instid0(VALU_DEP_3) | instskip(NEXT) | instid1(VALU_DEP_3)
	v_mad_u64_u32 v[9:10], null, v19, v20, 0
	v_mad_u64_u32 v[11:12], null, v22, v2, 0
	;; [unrolled: 1-line block ×3, first 2 shown]
	s_delay_alu instid0(VALU_DEP_3) | instskip(NEXT) | instid1(VALU_DEP_4)
	v_add_co_u32 v2, vcc_lo, v23, v9
	v_add_co_ci_u32_e32 v9, vcc_lo, 0, v10, vcc_lo
	s_delay_alu instid0(VALU_DEP_2) | instskip(NEXT) | instid1(VALU_DEP_2)
	v_add_co_u32 v2, vcc_lo, v2, v11
	v_add_co_ci_u32_e32 v2, vcc_lo, v9, v12, vcc_lo
	v_add_co_ci_u32_e32 v9, vcc_lo, 0, v18, vcc_lo
	s_delay_alu instid0(VALU_DEP_2) | instskip(NEXT) | instid1(VALU_DEP_2)
	v_add_co_u32 v2, vcc_lo, v2, v17
	v_add_co_ci_u32_e32 v11, vcc_lo, 0, v9, vcc_lo
	s_delay_alu instid0(VALU_DEP_2) | instskip(SKIP_1) | instid1(VALU_DEP_3)
	v_mul_lo_u32 v12, s63, v2
	v_mad_u64_u32 v[9:10], null, s62, v2, 0
	v_mul_lo_u32 v17, s62, v11
	s_delay_alu instid0(VALU_DEP_2) | instskip(NEXT) | instid1(VALU_DEP_2)
	v_sub_co_u32 v9, vcc_lo, v19, v9
	v_add3_u32 v10, v10, v17, v12
	s_delay_alu instid0(VALU_DEP_1) | instskip(NEXT) | instid1(VALU_DEP_1)
	v_sub_nc_u32_e32 v12, v22, v10
	v_subrev_co_ci_u32_e64 v12, s0, s63, v12, vcc_lo
	v_add_co_u32 v17, s0, v2, 2
	s_delay_alu instid0(VALU_DEP_1) | instskip(SKIP_3) | instid1(VALU_DEP_3)
	v_add_co_ci_u32_e64 v18, s0, 0, v11, s0
	v_sub_co_u32 v19, s0, v9, s62
	v_sub_co_ci_u32_e32 v10, vcc_lo, v22, v10, vcc_lo
	v_subrev_co_ci_u32_e64 v12, s0, 0, v12, s0
	v_cmp_le_u32_e32 vcc_lo, s62, v19
	s_delay_alu instid0(VALU_DEP_3) | instskip(SKIP_1) | instid1(VALU_DEP_4)
	v_cmp_eq_u32_e64 s0, s63, v10
	v_cndmask_b32_e64 v19, 0, -1, vcc_lo
	v_cmp_le_u32_e32 vcc_lo, s63, v12
	v_cndmask_b32_e64 v20, 0, -1, vcc_lo
	v_cmp_le_u32_e32 vcc_lo, s62, v9
	;; [unrolled: 2-line block ×3, first 2 shown]
	v_cndmask_b32_e64 v22, 0, -1, vcc_lo
	v_cmp_eq_u32_e32 vcc_lo, s63, v12
	s_delay_alu instid0(VALU_DEP_2) | instskip(SKIP_3) | instid1(VALU_DEP_3)
	v_cndmask_b32_e64 v9, v22, v9, s0
	v_cndmask_b32_e32 v12, v20, v19, vcc_lo
	v_add_co_u32 v19, vcc_lo, v2, 1
	v_add_co_ci_u32_e32 v20, vcc_lo, 0, v11, vcc_lo
	v_cmp_ne_u32_e32 vcc_lo, 0, v12
	s_delay_alu instid0(VALU_DEP_2) | instskip(NEXT) | instid1(VALU_DEP_4)
	v_cndmask_b32_e32 v10, v20, v18, vcc_lo
	v_cndmask_b32_e32 v12, v19, v17, vcc_lo
	v_cmp_ne_u32_e32 vcc_lo, 0, v9
	v_xor_b32_e32 v17, s60, v21
	s_delay_alu instid0(VALU_DEP_3) | instskip(NEXT) | instid1(VALU_DEP_1)
	v_dual_cndmask_b32 v2, v2, v12 :: v_dual_cndmask_b32 v9, v11, v10
                                        ; implicit-def: $vgpr11
	v_xor_b32_e32 v2, v2, v17
	s_delay_alu instid0(VALU_DEP_2) | instskip(NEXT) | instid1(VALU_DEP_2)
	v_xor_b32_e32 v10, v9, v17
	v_sub_co_u32 v9, vcc_lo, v2, v17
	s_delay_alu instid0(VALU_DEP_2)
	v_sub_co_ci_u32_e32 v10, vcc_lo, v10, v17, vcc_lo
.LBB43_55:                              ;   in Loop: Header=BB43_3 Depth=1
	s_and_not1_saveexec_b32 s0, s72
	s_cbranch_execz .LBB43_57
; %bb.56:                               ;   in Loop: Header=BB43_3 Depth=1
	v_rcp_iflag_f32_e32 v2, v15
	s_sub_i32 s60, 0, s54
	s_waitcnt_depctr 0xfff
	v_mul_f32_e32 v2, 0x4f7ffffe, v2
	s_delay_alu instid0(VALU_DEP_1) | instskip(NEXT) | instid1(VALU_DEP_1)
	v_cvt_u32_f32_e32 v2, v2
	v_mul_lo_u32 v9, s60, v2
	s_delay_alu instid0(VALU_DEP_1) | instskip(NEXT) | instid1(VALU_DEP_1)
	v_mul_hi_u32 v9, v2, v9
	v_add_nc_u32_e32 v2, v2, v9
	s_delay_alu instid0(VALU_DEP_1) | instskip(NEXT) | instid1(VALU_DEP_1)
	v_mul_hi_u32 v2, v11, v2
	v_mul_lo_u32 v9, v2, s54
	v_add_nc_u32_e32 v10, 1, v2
	s_delay_alu instid0(VALU_DEP_2) | instskip(NEXT) | instid1(VALU_DEP_1)
	v_sub_nc_u32_e32 v9, v11, v9
	v_subrev_nc_u32_e32 v11, s54, v9
	v_cmp_le_u32_e32 vcc_lo, s54, v9
	s_delay_alu instid0(VALU_DEP_2) | instskip(NEXT) | instid1(VALU_DEP_1)
	v_dual_cndmask_b32 v9, v9, v11 :: v_dual_cndmask_b32 v2, v2, v10
	v_cmp_le_u32_e32 vcc_lo, s54, v9
	s_delay_alu instid0(VALU_DEP_2) | instskip(NEXT) | instid1(VALU_DEP_1)
	v_add_nc_u32_e32 v10, 1, v2
	v_dual_cndmask_b32 v9, v2, v10 :: v_dual_mov_b32 v10, v1
.LBB43_57:                              ;   in Loop: Header=BB43_3 Depth=1
	s_or_b32 exec_lo, exec_lo, s0
	s_delay_alu instid0(VALU_DEP_1) | instskip(NEXT) | instid1(VALU_DEP_2)
	v_mul_lo_u32 v2, v10, s54
	v_mul_lo_u32 v17, v9, s55
	v_mad_u64_u32 v[11:12], null, v9, s54, 0
	v_mul_lo_u32 v19, v10, s24
	s_mov_b32 s0, exec_lo
	s_delay_alu instid0(VALU_DEP_2) | instskip(NEXT) | instid1(VALU_DEP_3)
	v_add3_u32 v2, v12, v17, v2
	v_sub_co_u32 v5, vcc_lo, v5, v11
	v_mul_lo_u32 v12, v9, s25
	v_mad_u64_u32 v[10:11], null, v9, s24, 0
	s_delay_alu instid0(VALU_DEP_4) | instskip(NEXT) | instid1(VALU_DEP_4)
	v_sub_co_ci_u32_e32 v2, vcc_lo, v6, v2, vcc_lo
	v_add_co_u32 v5, vcc_lo, v3, v5
	s_delay_alu instid0(VALU_DEP_2) | instskip(SKIP_2) | instid1(VALU_DEP_4)
	v_add_co_ci_u32_e32 v2, vcc_lo, v4, v2, vcc_lo
	v_add_co_u32 v9, vcc_lo, v7, 3
	v_add_co_ci_u32_e32 v6, vcc_lo, 0, v8, vcc_lo
	v_mul_lo_u32 v20, v5, s27
	s_delay_alu instid0(VALU_DEP_4)
	v_mul_lo_u32 v2, v2, s26
	v_mad_u64_u32 v[17:18], null, v5, s26, 0
	v_mul_lo_u32 v21, s5, v9
	v_mul_lo_u32 v22, s4, v6
	v_mad_u64_u32 v[5:6], null, s4, v9, 0
	v_add3_u32 v11, v11, v12, v19
	v_cvt_f16_f32_e32 v19, v16
	v_add3_u32 v18, v18, v20, v2
	s_delay_alu instid0(VALU_DEP_3) | instskip(SKIP_2) | instid1(VALU_DEP_4)
	v_lshlrev_b64 v[9:10], 1, v[10:11]
	v_add3_u32 v6, v6, v22, v21
	v_add_co_u32 v11, vcc_lo, v3, v5
	v_lshlrev_b64 v[16:17], 1, v[17:18]
	s_delay_alu instid0(VALU_DEP_3) | instskip(SKIP_2) | instid1(VALU_DEP_3)
	v_add_co_ci_u32_e32 v12, vcc_lo, v4, v6, vcc_lo
	v_add_co_u32 v9, vcc_lo, s52, v9
	v_add_co_ci_u32_e32 v10, vcc_lo, s53, v10, vcc_lo
	v_or_b32_e32 v2, s55, v12
	s_delay_alu instid0(VALU_DEP_3) | instskip(NEXT) | instid1(VALU_DEP_3)
	v_add_co_u32 v9, vcc_lo, v9, v16
	v_add_co_ci_u32_e32 v10, vcc_lo, v10, v17, vcc_lo
	global_store_b16 v[9:10], v19, off
                                        ; implicit-def: $vgpr9_vgpr10
	v_cmpx_ne_u64_e32 0, v[1:2]
	s_xor_b32 s72, exec_lo, s0
	s_cbranch_execz .LBB43_59
; %bb.58:                               ;   in Loop: Header=BB43_3 Depth=1
	s_ashr_i32 s60, s55, 31
	s_delay_alu instid0(SALU_CYCLE_1) | instskip(SKIP_2) | instid1(SALU_CYCLE_1)
	s_add_u32 s62, s54, s60
	s_mov_b32 s61, s60
	s_addc_u32 s63, s55, s60
	s_xor_b64 s[62:63], s[62:63], s[60:61]
	s_delay_alu instid0(SALU_CYCLE_1) | instskip(SKIP_3) | instid1(VALU_DEP_1)
	v_cvt_f32_u32_e32 v2, s62
	v_cvt_f32_u32_e32 v9, s63
	s_sub_u32 s0, 0, s62
	s_subb_u32 s61, 0, s63
	v_fmac_f32_e32 v2, 0x4f800000, v9
	s_delay_alu instid0(VALU_DEP_1) | instskip(SKIP_2) | instid1(VALU_DEP_1)
	v_rcp_f32_e32 v2, v2
	s_waitcnt_depctr 0xfff
	v_mul_f32_e32 v2, 0x5f7ffffc, v2
	v_mul_f32_e32 v9, 0x2f800000, v2
	s_delay_alu instid0(VALU_DEP_1) | instskip(NEXT) | instid1(VALU_DEP_1)
	v_trunc_f32_e32 v9, v9
	v_fmac_f32_e32 v2, 0xcf800000, v9
	v_cvt_u32_f32_e32 v9, v9
	s_delay_alu instid0(VALU_DEP_2) | instskip(NEXT) | instid1(VALU_DEP_2)
	v_cvt_u32_f32_e32 v2, v2
	v_mul_lo_u32 v10, s0, v9
	s_delay_alu instid0(VALU_DEP_2) | instskip(SKIP_1) | instid1(VALU_DEP_2)
	v_mul_hi_u32 v16, s0, v2
	v_mul_lo_u32 v17, s61, v2
	v_add_nc_u32_e32 v10, v16, v10
	v_mul_lo_u32 v16, s0, v2
	s_delay_alu instid0(VALU_DEP_2) | instskip(NEXT) | instid1(VALU_DEP_2)
	v_add_nc_u32_e32 v10, v10, v17
	v_mul_hi_u32 v17, v2, v16
	s_delay_alu instid0(VALU_DEP_2)
	v_mul_lo_u32 v18, v2, v10
	v_mul_hi_u32 v19, v2, v10
	v_mul_hi_u32 v20, v9, v16
	v_mul_lo_u32 v16, v9, v16
	v_mul_hi_u32 v21, v9, v10
	v_mul_lo_u32 v10, v9, v10
	v_add_co_u32 v17, vcc_lo, v17, v18
	v_add_co_ci_u32_e32 v18, vcc_lo, 0, v19, vcc_lo
	s_delay_alu instid0(VALU_DEP_2) | instskip(NEXT) | instid1(VALU_DEP_2)
	v_add_co_u32 v16, vcc_lo, v17, v16
	v_add_co_ci_u32_e32 v16, vcc_lo, v18, v20, vcc_lo
	v_add_co_ci_u32_e32 v17, vcc_lo, 0, v21, vcc_lo
	v_ashrrev_i32_e32 v20, 31, v12
	s_delay_alu instid0(VALU_DEP_3) | instskip(NEXT) | instid1(VALU_DEP_3)
	v_add_co_u32 v10, vcc_lo, v16, v10
	v_add_co_ci_u32_e32 v16, vcc_lo, 0, v17, vcc_lo
	s_delay_alu instid0(VALU_DEP_2) | instskip(NEXT) | instid1(VALU_DEP_2)
	v_add_co_u32 v2, vcc_lo, v2, v10
	v_add_co_ci_u32_e32 v9, vcc_lo, v9, v16, vcc_lo
	s_delay_alu instid0(VALU_DEP_2) | instskip(SKIP_1) | instid1(VALU_DEP_3)
	v_mul_hi_u32 v10, s0, v2
	v_mul_lo_u32 v17, s61, v2
	v_mul_lo_u32 v16, s0, v9
	s_delay_alu instid0(VALU_DEP_1) | instskip(SKIP_1) | instid1(VALU_DEP_2)
	v_add_nc_u32_e32 v10, v10, v16
	v_mul_lo_u32 v16, s0, v2
	v_add_nc_u32_e32 v10, v10, v17
	s_delay_alu instid0(VALU_DEP_2) | instskip(NEXT) | instid1(VALU_DEP_2)
	v_mul_hi_u32 v17, v2, v16
	v_mul_lo_u32 v18, v2, v10
	v_mul_hi_u32 v19, v2, v10
	v_mul_hi_u32 v21, v9, v16
	v_mul_lo_u32 v16, v9, v16
	v_mul_hi_u32 v22, v9, v10
	v_mul_lo_u32 v10, v9, v10
	v_add_co_u32 v17, vcc_lo, v17, v18
	v_add_co_ci_u32_e32 v18, vcc_lo, 0, v19, vcc_lo
	s_delay_alu instid0(VALU_DEP_2) | instskip(NEXT) | instid1(VALU_DEP_2)
	v_add_co_u32 v16, vcc_lo, v17, v16
	v_add_co_ci_u32_e32 v16, vcc_lo, v18, v21, vcc_lo
	v_add_co_ci_u32_e32 v17, vcc_lo, 0, v22, vcc_lo
	v_add_co_u32 v11, vcc_lo, v11, v20
	v_add_co_ci_u32_e32 v12, vcc_lo, v12, v20, vcc_lo
	s_delay_alu instid0(VALU_DEP_4) | instskip(NEXT) | instid1(VALU_DEP_4)
	v_add_co_u32 v10, vcc_lo, v16, v10
	v_add_co_ci_u32_e32 v16, vcc_lo, 0, v17, vcc_lo
	s_delay_alu instid0(VALU_DEP_4) | instskip(NEXT) | instid1(VALU_DEP_3)
	v_xor_b32_e32 v18, v11, v20
	v_add_co_u32 v2, vcc_lo, v2, v10
	s_delay_alu instid0(VALU_DEP_3) | instskip(SKIP_1) | instid1(VALU_DEP_3)
	v_add_co_ci_u32_e32 v19, vcc_lo, v9, v16, vcc_lo
	v_xor_b32_e32 v21, v12, v20
	v_mul_hi_u32 v22, v18, v2
	s_delay_alu instid0(VALU_DEP_3) | instskip(NEXT) | instid1(VALU_DEP_3)
	v_mad_u64_u32 v[9:10], null, v18, v19, 0
	v_mad_u64_u32 v[11:12], null, v21, v2, 0
	v_mad_u64_u32 v[16:17], null, v21, v19, 0
	s_delay_alu instid0(VALU_DEP_3) | instskip(NEXT) | instid1(VALU_DEP_4)
	v_add_co_u32 v2, vcc_lo, v22, v9
	v_add_co_ci_u32_e32 v9, vcc_lo, 0, v10, vcc_lo
	s_delay_alu instid0(VALU_DEP_2) | instskip(NEXT) | instid1(VALU_DEP_2)
	v_add_co_u32 v2, vcc_lo, v2, v11
	v_add_co_ci_u32_e32 v2, vcc_lo, v9, v12, vcc_lo
	v_add_co_ci_u32_e32 v9, vcc_lo, 0, v17, vcc_lo
	s_delay_alu instid0(VALU_DEP_2) | instskip(NEXT) | instid1(VALU_DEP_2)
	v_add_co_u32 v2, vcc_lo, v2, v16
	v_add_co_ci_u32_e32 v11, vcc_lo, 0, v9, vcc_lo
	s_delay_alu instid0(VALU_DEP_2) | instskip(SKIP_1) | instid1(VALU_DEP_3)
	v_mul_lo_u32 v12, s63, v2
	v_mad_u64_u32 v[9:10], null, s62, v2, 0
	v_mul_lo_u32 v16, s62, v11
	s_delay_alu instid0(VALU_DEP_2) | instskip(NEXT) | instid1(VALU_DEP_2)
	v_sub_co_u32 v9, vcc_lo, v18, v9
	v_add3_u32 v10, v10, v16, v12
	s_delay_alu instid0(VALU_DEP_1) | instskip(NEXT) | instid1(VALU_DEP_1)
	v_sub_nc_u32_e32 v12, v21, v10
	v_subrev_co_ci_u32_e64 v12, s0, s63, v12, vcc_lo
	v_add_co_u32 v16, s0, v2, 2
	s_delay_alu instid0(VALU_DEP_1) | instskip(SKIP_3) | instid1(VALU_DEP_3)
	v_add_co_ci_u32_e64 v17, s0, 0, v11, s0
	v_sub_co_u32 v18, s0, v9, s62
	v_sub_co_ci_u32_e32 v10, vcc_lo, v21, v10, vcc_lo
	v_subrev_co_ci_u32_e64 v12, s0, 0, v12, s0
	v_cmp_le_u32_e32 vcc_lo, s62, v18
	s_delay_alu instid0(VALU_DEP_3) | instskip(SKIP_1) | instid1(VALU_DEP_4)
	v_cmp_eq_u32_e64 s0, s63, v10
	v_cndmask_b32_e64 v18, 0, -1, vcc_lo
	v_cmp_le_u32_e32 vcc_lo, s63, v12
	v_cndmask_b32_e64 v19, 0, -1, vcc_lo
	v_cmp_le_u32_e32 vcc_lo, s62, v9
	;; [unrolled: 2-line block ×3, first 2 shown]
	v_cndmask_b32_e64 v21, 0, -1, vcc_lo
	v_cmp_eq_u32_e32 vcc_lo, s63, v12
	s_delay_alu instid0(VALU_DEP_2) | instskip(SKIP_3) | instid1(VALU_DEP_3)
	v_cndmask_b32_e64 v9, v21, v9, s0
	v_cndmask_b32_e32 v12, v19, v18, vcc_lo
	v_add_co_u32 v18, vcc_lo, v2, 1
	v_add_co_ci_u32_e32 v19, vcc_lo, 0, v11, vcc_lo
	v_cmp_ne_u32_e32 vcc_lo, 0, v12
	s_delay_alu instid0(VALU_DEP_2) | instskip(NEXT) | instid1(VALU_DEP_4)
	v_cndmask_b32_e32 v10, v19, v17, vcc_lo
	v_cndmask_b32_e32 v12, v18, v16, vcc_lo
	v_cmp_ne_u32_e32 vcc_lo, 0, v9
	v_xor_b32_e32 v16, s60, v20
	s_delay_alu instid0(VALU_DEP_3) | instskip(NEXT) | instid1(VALU_DEP_1)
	v_dual_cndmask_b32 v2, v2, v12 :: v_dual_cndmask_b32 v9, v11, v10
                                        ; implicit-def: $vgpr11
	v_xor_b32_e32 v2, v2, v16
	s_delay_alu instid0(VALU_DEP_2) | instskip(NEXT) | instid1(VALU_DEP_2)
	v_xor_b32_e32 v10, v9, v16
	v_sub_co_u32 v9, vcc_lo, v2, v16
	s_delay_alu instid0(VALU_DEP_2)
	v_sub_co_ci_u32_e32 v10, vcc_lo, v10, v16, vcc_lo
.LBB43_59:                              ;   in Loop: Header=BB43_3 Depth=1
	s_and_not1_saveexec_b32 s0, s72
	s_cbranch_execz .LBB43_61
; %bb.60:                               ;   in Loop: Header=BB43_3 Depth=1
	v_rcp_iflag_f32_e32 v2, v15
	s_sub_i32 s60, 0, s54
	s_waitcnt_depctr 0xfff
	v_mul_f32_e32 v2, 0x4f7ffffe, v2
	s_delay_alu instid0(VALU_DEP_1) | instskip(NEXT) | instid1(VALU_DEP_1)
	v_cvt_u32_f32_e32 v2, v2
	v_mul_lo_u32 v9, s60, v2
	s_delay_alu instid0(VALU_DEP_1) | instskip(NEXT) | instid1(VALU_DEP_1)
	v_mul_hi_u32 v9, v2, v9
	v_add_nc_u32_e32 v2, v2, v9
	s_delay_alu instid0(VALU_DEP_1) | instskip(NEXT) | instid1(VALU_DEP_1)
	v_mul_hi_u32 v2, v11, v2
	v_mul_lo_u32 v9, v2, s54
	v_add_nc_u32_e32 v10, 1, v2
	s_delay_alu instid0(VALU_DEP_2) | instskip(NEXT) | instid1(VALU_DEP_1)
	v_sub_nc_u32_e32 v9, v11, v9
	v_subrev_nc_u32_e32 v11, s54, v9
	v_cmp_le_u32_e32 vcc_lo, s54, v9
	s_delay_alu instid0(VALU_DEP_2) | instskip(NEXT) | instid1(VALU_DEP_1)
	v_dual_cndmask_b32 v9, v9, v11 :: v_dual_cndmask_b32 v2, v2, v10
	v_cmp_le_u32_e32 vcc_lo, s54, v9
	s_delay_alu instid0(VALU_DEP_2) | instskip(NEXT) | instid1(VALU_DEP_1)
	v_add_nc_u32_e32 v10, 1, v2
	v_dual_cndmask_b32 v9, v2, v10 :: v_dual_mov_b32 v10, v1
.LBB43_61:                              ;   in Loop: Header=BB43_3 Depth=1
	s_or_b32 exec_lo, exec_lo, s0
	s_delay_alu instid0(VALU_DEP_1) | instskip(NEXT) | instid1(VALU_DEP_2)
	v_mul_lo_u32 v2, v10, s54
	v_mul_lo_u32 v16, v9, s55
	v_mad_u64_u32 v[11:12], null, v9, s54, 0
	v_mul_lo_u32 v17, v10, s24
	s_mov_b32 s0, exec_lo
	s_delay_alu instid0(VALU_DEP_2) | instskip(NEXT) | instid1(VALU_DEP_3)
	v_add3_u32 v2, v12, v16, v2
	v_sub_co_u32 v5, vcc_lo, v5, v11
	v_mul_lo_u32 v12, v9, s25
	v_mad_u64_u32 v[10:11], null, v9, s24, 0
	s_delay_alu instid0(VALU_DEP_4) | instskip(NEXT) | instid1(VALU_DEP_4)
	v_sub_co_ci_u32_e32 v2, vcc_lo, v6, v2, vcc_lo
	v_add_co_u32 v5, vcc_lo, v3, v5
	s_delay_alu instid0(VALU_DEP_2) | instskip(SKIP_2) | instid1(VALU_DEP_4)
	v_add_co_ci_u32_e32 v2, vcc_lo, v4, v2, vcc_lo
	v_add_co_u32 v9, vcc_lo, v7, 4
	v_add_co_ci_u32_e32 v6, vcc_lo, 0, v8, vcc_lo
	v_mul_lo_u32 v16, v5, s27
	s_delay_alu instid0(VALU_DEP_4)
	v_mul_lo_u32 v2, v2, s26
	v_mad_u64_u32 v[7:8], null, v5, s26, 0
	v_mul_lo_u32 v18, s5, v9
	v_mul_lo_u32 v19, s4, v6
	v_mad_u64_u32 v[5:6], null, s4, v9, 0
	v_add3_u32 v11, v11, v12, v17
	v_add3_u32 v8, v8, v16, v2
	s_delay_alu instid0(VALU_DEP_2) | instskip(NEXT) | instid1(VALU_DEP_4)
	v_lshlrev_b64 v[11:12], 1, v[10:11]
	v_add3_u32 v6, v6, v19, v18
	v_add_co_u32 v9, vcc_lo, v3, v5
	s_delay_alu instid0(VALU_DEP_4) | instskip(NEXT) | instid1(VALU_DEP_3)
	v_lshlrev_b64 v[7:8], 1, v[7:8]
	v_add_co_ci_u32_e32 v10, vcc_lo, v4, v6, vcc_lo
	v_add_co_u32 v11, vcc_lo, s52, v11
	v_add_co_ci_u32_e32 v12, vcc_lo, s53, v12, vcc_lo
	s_delay_alu instid0(VALU_DEP_3) | instskip(NEXT) | instid1(VALU_DEP_3)
	v_or_b32_e32 v2, s55, v10
	v_add_co_u32 v7, vcc_lo, v11, v7
	s_delay_alu instid0(VALU_DEP_3)
	v_add_co_ci_u32_e32 v8, vcc_lo, v12, v8, vcc_lo
	global_store_b16 v[7:8], v13, off
                                        ; implicit-def: $vgpr7_vgpr8
	v_cmpx_ne_u64_e32 0, v[1:2]
	s_xor_b32 s72, exec_lo, s0
	s_cbranch_execz .LBB43_63
; %bb.62:                               ;   in Loop: Header=BB43_3 Depth=1
	s_ashr_i32 s60, s55, 31
	s_delay_alu instid0(SALU_CYCLE_1) | instskip(SKIP_2) | instid1(SALU_CYCLE_1)
	s_add_u32 s62, s54, s60
	s_mov_b32 s61, s60
	s_addc_u32 s63, s55, s60
	s_xor_b64 s[62:63], s[62:63], s[60:61]
	s_delay_alu instid0(SALU_CYCLE_1) | instskip(SKIP_3) | instid1(VALU_DEP_1)
	v_cvt_f32_u32_e32 v2, s62
	v_cvt_f32_u32_e32 v7, s63
	s_sub_u32 s0, 0, s62
	s_subb_u32 s61, 0, s63
	v_fmac_f32_e32 v2, 0x4f800000, v7
	s_delay_alu instid0(VALU_DEP_1) | instskip(SKIP_2) | instid1(VALU_DEP_1)
	v_rcp_f32_e32 v2, v2
	s_waitcnt_depctr 0xfff
	v_mul_f32_e32 v2, 0x5f7ffffc, v2
	v_mul_f32_e32 v7, 0x2f800000, v2
	s_delay_alu instid0(VALU_DEP_1) | instskip(NEXT) | instid1(VALU_DEP_1)
	v_trunc_f32_e32 v7, v7
	v_fmac_f32_e32 v2, 0xcf800000, v7
	v_cvt_u32_f32_e32 v7, v7
	s_delay_alu instid0(VALU_DEP_2) | instskip(NEXT) | instid1(VALU_DEP_2)
	v_cvt_u32_f32_e32 v2, v2
	v_mul_lo_u32 v8, s0, v7
	s_delay_alu instid0(VALU_DEP_2) | instskip(SKIP_1) | instid1(VALU_DEP_2)
	v_mul_hi_u32 v11, s0, v2
	v_mul_lo_u32 v12, s61, v2
	v_add_nc_u32_e32 v8, v11, v8
	v_mul_lo_u32 v11, s0, v2
	s_delay_alu instid0(VALU_DEP_2) | instskip(NEXT) | instid1(VALU_DEP_2)
	v_add_nc_u32_e32 v8, v8, v12
	v_mul_hi_u32 v12, v2, v11
	s_delay_alu instid0(VALU_DEP_2)
	v_mul_lo_u32 v13, v2, v8
	v_mul_hi_u32 v15, v2, v8
	v_mul_hi_u32 v16, v7, v11
	v_mul_lo_u32 v11, v7, v11
	v_mul_hi_u32 v17, v7, v8
	v_mul_lo_u32 v8, v7, v8
	v_add_co_u32 v12, vcc_lo, v12, v13
	v_add_co_ci_u32_e32 v13, vcc_lo, 0, v15, vcc_lo
	s_delay_alu instid0(VALU_DEP_2) | instskip(NEXT) | instid1(VALU_DEP_2)
	v_add_co_u32 v11, vcc_lo, v12, v11
	v_add_co_ci_u32_e32 v11, vcc_lo, v13, v16, vcc_lo
	v_add_co_ci_u32_e32 v12, vcc_lo, 0, v17, vcc_lo
	v_ashrrev_i32_e32 v16, 31, v10
	s_delay_alu instid0(VALU_DEP_3) | instskip(NEXT) | instid1(VALU_DEP_3)
	v_add_co_u32 v8, vcc_lo, v11, v8
	v_add_co_ci_u32_e32 v11, vcc_lo, 0, v12, vcc_lo
	s_delay_alu instid0(VALU_DEP_2) | instskip(NEXT) | instid1(VALU_DEP_2)
	v_add_co_u32 v2, vcc_lo, v2, v8
	v_add_co_ci_u32_e32 v7, vcc_lo, v7, v11, vcc_lo
	s_delay_alu instid0(VALU_DEP_2) | instskip(SKIP_1) | instid1(VALU_DEP_3)
	v_mul_hi_u32 v8, s0, v2
	v_mul_lo_u32 v12, s61, v2
	v_mul_lo_u32 v11, s0, v7
	s_delay_alu instid0(VALU_DEP_1) | instskip(SKIP_1) | instid1(VALU_DEP_2)
	v_add_nc_u32_e32 v8, v8, v11
	v_mul_lo_u32 v11, s0, v2
	v_add_nc_u32_e32 v8, v8, v12
	s_delay_alu instid0(VALU_DEP_2) | instskip(NEXT) | instid1(VALU_DEP_2)
	v_mul_hi_u32 v12, v2, v11
	v_mul_lo_u32 v13, v2, v8
	v_mul_hi_u32 v15, v2, v8
	v_mul_hi_u32 v17, v7, v11
	v_mul_lo_u32 v11, v7, v11
	v_mul_hi_u32 v18, v7, v8
	v_mul_lo_u32 v8, v7, v8
	v_add_co_u32 v12, vcc_lo, v12, v13
	v_add_co_ci_u32_e32 v13, vcc_lo, 0, v15, vcc_lo
	s_delay_alu instid0(VALU_DEP_2) | instskip(NEXT) | instid1(VALU_DEP_2)
	v_add_co_u32 v11, vcc_lo, v12, v11
	v_add_co_ci_u32_e32 v11, vcc_lo, v13, v17, vcc_lo
	v_add_co_ci_u32_e32 v12, vcc_lo, 0, v18, vcc_lo
	v_add_co_u32 v9, vcc_lo, v9, v16
	v_add_co_ci_u32_e32 v10, vcc_lo, v10, v16, vcc_lo
	s_delay_alu instid0(VALU_DEP_4) | instskip(NEXT) | instid1(VALU_DEP_4)
	v_add_co_u32 v8, vcc_lo, v11, v8
	v_add_co_ci_u32_e32 v11, vcc_lo, 0, v12, vcc_lo
	s_delay_alu instid0(VALU_DEP_4) | instskip(NEXT) | instid1(VALU_DEP_3)
	v_xor_b32_e32 v13, v9, v16
	v_add_co_u32 v2, vcc_lo, v2, v8
	s_delay_alu instid0(VALU_DEP_3) | instskip(SKIP_1) | instid1(VALU_DEP_3)
	v_add_co_ci_u32_e32 v15, vcc_lo, v7, v11, vcc_lo
	v_xor_b32_e32 v17, v10, v16
	v_mul_hi_u32 v18, v13, v2
	s_delay_alu instid0(VALU_DEP_3) | instskip(NEXT) | instid1(VALU_DEP_3)
	v_mad_u64_u32 v[7:8], null, v13, v15, 0
	v_mad_u64_u32 v[9:10], null, v17, v2, 0
	;; [unrolled: 1-line block ×3, first 2 shown]
	s_delay_alu instid0(VALU_DEP_3) | instskip(NEXT) | instid1(VALU_DEP_4)
	v_add_co_u32 v2, vcc_lo, v18, v7
	v_add_co_ci_u32_e32 v7, vcc_lo, 0, v8, vcc_lo
	s_delay_alu instid0(VALU_DEP_2) | instskip(NEXT) | instid1(VALU_DEP_2)
	v_add_co_u32 v2, vcc_lo, v2, v9
	v_add_co_ci_u32_e32 v2, vcc_lo, v7, v10, vcc_lo
	v_add_co_ci_u32_e32 v7, vcc_lo, 0, v12, vcc_lo
	s_delay_alu instid0(VALU_DEP_2) | instskip(NEXT) | instid1(VALU_DEP_2)
	v_add_co_u32 v2, vcc_lo, v2, v11
	v_add_co_ci_u32_e32 v9, vcc_lo, 0, v7, vcc_lo
	s_delay_alu instid0(VALU_DEP_2) | instskip(SKIP_1) | instid1(VALU_DEP_3)
	v_mul_lo_u32 v10, s63, v2
	v_mad_u64_u32 v[7:8], null, s62, v2, 0
	v_mul_lo_u32 v11, s62, v9
	s_delay_alu instid0(VALU_DEP_2) | instskip(NEXT) | instid1(VALU_DEP_2)
	v_sub_co_u32 v7, vcc_lo, v13, v7
	v_add3_u32 v8, v8, v11, v10
	s_delay_alu instid0(VALU_DEP_1) | instskip(NEXT) | instid1(VALU_DEP_1)
	v_sub_nc_u32_e32 v10, v17, v8
	v_subrev_co_ci_u32_e64 v10, s0, s63, v10, vcc_lo
	v_add_co_u32 v11, s0, v2, 2
	s_delay_alu instid0(VALU_DEP_1) | instskip(SKIP_3) | instid1(VALU_DEP_3)
	v_add_co_ci_u32_e64 v12, s0, 0, v9, s0
	v_sub_co_u32 v13, s0, v7, s62
	v_sub_co_ci_u32_e32 v8, vcc_lo, v17, v8, vcc_lo
	v_subrev_co_ci_u32_e64 v10, s0, 0, v10, s0
	v_cmp_le_u32_e32 vcc_lo, s62, v13
	s_delay_alu instid0(VALU_DEP_3) | instskip(SKIP_1) | instid1(VALU_DEP_4)
	v_cmp_eq_u32_e64 s0, s63, v8
	v_cndmask_b32_e64 v13, 0, -1, vcc_lo
	v_cmp_le_u32_e32 vcc_lo, s63, v10
	v_cndmask_b32_e64 v15, 0, -1, vcc_lo
	v_cmp_le_u32_e32 vcc_lo, s62, v7
	;; [unrolled: 2-line block ×3, first 2 shown]
	v_cndmask_b32_e64 v17, 0, -1, vcc_lo
	v_cmp_eq_u32_e32 vcc_lo, s63, v10
	s_delay_alu instid0(VALU_DEP_2) | instskip(SKIP_3) | instid1(VALU_DEP_3)
	v_cndmask_b32_e64 v7, v17, v7, s0
	v_cndmask_b32_e32 v10, v15, v13, vcc_lo
	v_add_co_u32 v13, vcc_lo, v2, 1
	v_add_co_ci_u32_e32 v15, vcc_lo, 0, v9, vcc_lo
	v_cmp_ne_u32_e32 vcc_lo, 0, v10
	s_delay_alu instid0(VALU_DEP_2) | instskip(NEXT) | instid1(VALU_DEP_4)
	v_cndmask_b32_e32 v8, v15, v12, vcc_lo
	v_cndmask_b32_e32 v10, v13, v11, vcc_lo
	v_cmp_ne_u32_e32 vcc_lo, 0, v7
	v_xor_b32_e32 v11, s60, v16
                                        ; implicit-def: $vgpr15
	s_delay_alu instid0(VALU_DEP_3) | instskip(NEXT) | instid1(VALU_DEP_1)
	v_dual_cndmask_b32 v2, v2, v10 :: v_dual_cndmask_b32 v7, v9, v8
                                        ; implicit-def: $vgpr9
	v_xor_b32_e32 v2, v2, v11
	s_delay_alu instid0(VALU_DEP_2) | instskip(NEXT) | instid1(VALU_DEP_2)
	v_xor_b32_e32 v8, v7, v11
	v_sub_co_u32 v7, vcc_lo, v2, v11
	s_delay_alu instid0(VALU_DEP_2)
	v_sub_co_ci_u32_e32 v8, vcc_lo, v8, v11, vcc_lo
.LBB43_63:                              ;   in Loop: Header=BB43_3 Depth=1
	s_and_not1_saveexec_b32 s0, s72
	s_cbranch_execz .LBB43_2
; %bb.64:                               ;   in Loop: Header=BB43_3 Depth=1
	v_rcp_iflag_f32_e32 v2, v15
	s_sub_i32 s60, 0, s54
	s_waitcnt_depctr 0xfff
	v_mul_f32_e32 v2, 0x4f7ffffe, v2
	s_delay_alu instid0(VALU_DEP_1) | instskip(NEXT) | instid1(VALU_DEP_1)
	v_cvt_u32_f32_e32 v2, v2
	v_mul_lo_u32 v7, s60, v2
	s_delay_alu instid0(VALU_DEP_1) | instskip(NEXT) | instid1(VALU_DEP_1)
	v_mul_hi_u32 v7, v2, v7
	v_add_nc_u32_e32 v2, v2, v7
	s_delay_alu instid0(VALU_DEP_1) | instskip(NEXT) | instid1(VALU_DEP_1)
	v_mul_hi_u32 v2, v9, v2
	v_mul_lo_u32 v7, v2, s54
	v_add_nc_u32_e32 v8, 1, v2
	s_delay_alu instid0(VALU_DEP_2) | instskip(NEXT) | instid1(VALU_DEP_1)
	v_sub_nc_u32_e32 v7, v9, v7
	v_subrev_nc_u32_e32 v9, s54, v7
	v_cmp_le_u32_e32 vcc_lo, s54, v7
	s_delay_alu instid0(VALU_DEP_2) | instskip(NEXT) | instid1(VALU_DEP_1)
	v_dual_cndmask_b32 v7, v7, v9 :: v_dual_cndmask_b32 v2, v2, v8
	v_cmp_le_u32_e32 vcc_lo, s54, v7
	s_delay_alu instid0(VALU_DEP_2) | instskip(NEXT) | instid1(VALU_DEP_1)
	v_add_nc_u32_e32 v8, 1, v2
	v_dual_cndmask_b32 v7, v2, v8 :: v_dual_mov_b32 v8, v1
	s_branch .LBB43_2
.LBB43_65:
	s_nop 0
	s_sendmsg sendmsg(MSG_DEALLOC_VGPRS)
	s_endpgm
	.section	.rodata,"a",@progbits
	.p2align	6, 0x0
	.amdhsa_kernel _ZN2at6native12_GLOBAL__N_16kernel16gru_cell_forwardIN3c104HalfEflLi2EEEvNS_4cuda6detail10TensorInfoIT_T1_EESB_SB_SB_SB_SB_SB_SA_SA_
		.amdhsa_group_segment_fixed_size 0
		.amdhsa_private_segment_fixed_size 0
		.amdhsa_kernarg_size 3184
		.amdhsa_user_sgpr_count 15
		.amdhsa_user_sgpr_dispatch_ptr 0
		.amdhsa_user_sgpr_queue_ptr 0
		.amdhsa_user_sgpr_kernarg_segment_ptr 1
		.amdhsa_user_sgpr_dispatch_id 0
		.amdhsa_user_sgpr_private_segment_size 0
		.amdhsa_wavefront_size32 1
		.amdhsa_uses_dynamic_stack 0
		.amdhsa_enable_private_segment 0
		.amdhsa_system_sgpr_workgroup_id_x 1
		.amdhsa_system_sgpr_workgroup_id_y 0
		.amdhsa_system_sgpr_workgroup_id_z 0
		.amdhsa_system_sgpr_workgroup_info 0
		.amdhsa_system_vgpr_workitem_id 0
		.amdhsa_next_free_vgpr 35
		.amdhsa_next_free_sgpr 73
		.amdhsa_reserve_vcc 1
		.amdhsa_float_round_mode_32 0
		.amdhsa_float_round_mode_16_64 0
		.amdhsa_float_denorm_mode_32 3
		.amdhsa_float_denorm_mode_16_64 3
		.amdhsa_dx10_clamp 1
		.amdhsa_ieee_mode 1
		.amdhsa_fp16_overflow 0
		.amdhsa_workgroup_processor_mode 1
		.amdhsa_memory_ordered 1
		.amdhsa_forward_progress 0
		.amdhsa_shared_vgpr_count 0
		.amdhsa_exception_fp_ieee_invalid_op 0
		.amdhsa_exception_fp_denorm_src 0
		.amdhsa_exception_fp_ieee_div_zero 0
		.amdhsa_exception_fp_ieee_overflow 0
		.amdhsa_exception_fp_ieee_underflow 0
		.amdhsa_exception_fp_ieee_inexact 0
		.amdhsa_exception_int_div_zero 0
	.end_amdhsa_kernel
	.section	.text._ZN2at6native12_GLOBAL__N_16kernel16gru_cell_forwardIN3c104HalfEflLi2EEEvNS_4cuda6detail10TensorInfoIT_T1_EESB_SB_SB_SB_SB_SB_SA_SA_,"axG",@progbits,_ZN2at6native12_GLOBAL__N_16kernel16gru_cell_forwardIN3c104HalfEflLi2EEEvNS_4cuda6detail10TensorInfoIT_T1_EESB_SB_SB_SB_SB_SB_SA_SA_,comdat
.Lfunc_end43:
	.size	_ZN2at6native12_GLOBAL__N_16kernel16gru_cell_forwardIN3c104HalfEflLi2EEEvNS_4cuda6detail10TensorInfoIT_T1_EESB_SB_SB_SB_SB_SB_SA_SA_, .Lfunc_end43-_ZN2at6native12_GLOBAL__N_16kernel16gru_cell_forwardIN3c104HalfEflLi2EEEvNS_4cuda6detail10TensorInfoIT_T1_EESB_SB_SB_SB_SB_SB_SA_SA_
                                        ; -- End function
	.section	.AMDGPU.csdata,"",@progbits
; Kernel info:
; codeLenInByte = 18524
; NumSgprs: 75
; NumVgprs: 35
; ScratchSize: 0
; MemoryBound: 0
; FloatMode: 240
; IeeeMode: 1
; LDSByteSize: 0 bytes/workgroup (compile time only)
; SGPRBlocks: 9
; VGPRBlocks: 4
; NumSGPRsForWavesPerEU: 75
; NumVGPRsForWavesPerEU: 35
; Occupancy: 16
; WaveLimiterHint : 1
; COMPUTE_PGM_RSRC2:SCRATCH_EN: 0
; COMPUTE_PGM_RSRC2:USER_SGPR: 15
; COMPUTE_PGM_RSRC2:TRAP_HANDLER: 0
; COMPUTE_PGM_RSRC2:TGID_X_EN: 1
; COMPUTE_PGM_RSRC2:TGID_Y_EN: 0
; COMPUTE_PGM_RSRC2:TGID_Z_EN: 0
; COMPUTE_PGM_RSRC2:TIDIG_COMP_CNT: 0
	.section	.text._ZN2at6native12_GLOBAL__N_16kernel16gru_cell_forwardIN3c108BFloat16EfiLi1EEEvNS_4cuda6detail10TensorInfoIT_T1_EESB_SB_SB_SB_SB_SB_SA_SA_,"axG",@progbits,_ZN2at6native12_GLOBAL__N_16kernel16gru_cell_forwardIN3c108BFloat16EfiLi1EEEvNS_4cuda6detail10TensorInfoIT_T1_EESB_SB_SB_SB_SB_SB_SA_SA_,comdat
	.globl	_ZN2at6native12_GLOBAL__N_16kernel16gru_cell_forwardIN3c108BFloat16EfiLi1EEEvNS_4cuda6detail10TensorInfoIT_T1_EESB_SB_SB_SB_SB_SB_SA_SA_ ; -- Begin function _ZN2at6native12_GLOBAL__N_16kernel16gru_cell_forwardIN3c108BFloat16EfiLi1EEEvNS_4cuda6detail10TensorInfoIT_T1_EESB_SB_SB_SB_SB_SB_SA_SA_
	.p2align	8
	.type	_ZN2at6native12_GLOBAL__N_16kernel16gru_cell_forwardIN3c108BFloat16EfiLi1EEEvNS_4cuda6detail10TensorInfoIT_T1_EESB_SB_SB_SB_SB_SB_SA_SA_,@function
_ZN2at6native12_GLOBAL__N_16kernel16gru_cell_forwardIN3c108BFloat16EfiLi1EEEvNS_4cuda6detail10TensorInfoIT_T1_EESB_SB_SB_SB_SB_SB_SA_SA_: ; @_ZN2at6native12_GLOBAL__N_16kernel16gru_cell_forwardIN3c108BFloat16EfiLi1EEEvNS_4cuda6detail10TensorInfoIT_T1_EESB_SB_SB_SB_SB_SB_SA_SA_
; %bb.0:
	s_clause 0x1
	s_load_b32 s4, s[0:1], 0x5fc
	s_load_b64 s[2:3], s[0:1], 0x5e8
	s_add_u32 s8, s0, 0x5f0
	s_addc_u32 s9, s1, 0
	s_waitcnt lgkmcnt(0)
	s_and_b32 s25, s4, 0xffff
	s_mov_b32 s4, exec_lo
	v_mad_u64_u32 v[1:2], null, s15, s25, v[0:1]
	s_delay_alu instid0(VALU_DEP_1)
	v_cmpx_gt_i32_e64 s3, v1
	s_cbranch_execz .LBB44_9
; %bb.1:
	s_clause 0x4
	s_load_b64 s[4:5], s[0:1], 0x1b0
	s_load_b32 s18, s[0:1], 0x21c
	s_load_b64 s[6:7], s[0:1], 0x288
	s_load_b32 s19, s[0:1], 0x2f4
	s_load_b32 s30, s[0:1], 0x3cc
	;; [unrolled: 1-line block ×3, first 2 shown]
	s_clause 0x6
	s_load_b32 s31, s[0:1], 0x4a4
	s_load_b64 s[8:9], s[0:1], 0x360
	s_load_b64 s[10:11], s[0:1], 0x438
	;; [unrolled: 1-line block ×3, first 2 shown]
	s_load_b32 s22, s[0:1], 0x6c
	s_load_b64 s[14:15], s[0:1], 0xd8
	s_load_b32 s23, s[0:1], 0x144
	s_mov_b32 s24, 0
	s_mov_b32 s33, 0xbbbac73d
	s_waitcnt lgkmcnt(0)
	s_cmp_lg_u64 s[4:5], 0
	s_cselect_b32 s20, -1, 0
	s_abs_i32 s21, s2
	v_mul_lo_u32 v4, v1, s31
	v_cvt_f32_u32_e32 v0, s21
	s_sub_i32 s16, 0, s21
	s_mul_i32 s25, s26, s25
	s_ashr_i32 s26, s2, 31
	s_lshl_b32 s27, s2, 1
	v_rcp_iflag_f32_e32 v0, v0
	s_lshl_b32 s28, s2, 2
	s_sub_i32 s29, 0, s2
	s_mul_i32 s31, s25, s31
	s_waitcnt_depctr 0xfff
	v_mul_f32_e32 v0, 0x4f7ffffe, v0
	s_delay_alu instid0(VALU_DEP_1) | instskip(NEXT) | instid1(VALU_DEP_1)
	v_cvt_u32_f32_e32 v0, v0
	v_mul_lo_u32 v2, s16, v0
	s_clause 0x1
	s_load_b64 s[16:17], s[0:1], 0x510
	s_load_b32 s1, s[0:1], 0x57c
	s_delay_alu instid0(VALU_DEP_1) | instskip(SKIP_2) | instid1(VALU_DEP_2)
	v_mul_hi_u32 v3, v0, v2
	v_mul_lo_u32 v2, v1, s30
	s_mul_i32 s30, s25, s30
	v_add_nc_u32_e32 v0, v0, v3
	s_branch .LBB44_3
.LBB44_2:                               ;   in Loop: Header=BB44_3 Depth=1
	s_or_b32 exec_lo, exec_lo, s0
	v_lshlrev_b32_e32 v9, 16, v9
	v_lshlrev_b32_e32 v13, 16, v13
	v_lshlrev_b32_e32 v10, 16, v10
	s_waitcnt_depctr 0xfff
	v_bfi_b32 v17, 0x7fffffff, v15, v14
	v_lshlrev_b32_e32 v15, 2, v6
	v_bfe_u32 v14, v11, 16, 1
	v_cmp_o_f32_e64 s0, v8, v8
	v_dual_add_f32 v9, v9, v10 :: v_dual_lshlrev_b32 v10, 16, v12
	s_delay_alu instid0(VALU_DEP_1) | instskip(NEXT) | instid1(VALU_DEP_1)
	v_add_f32_e32 v9, v9, v13
	v_add_f32_e32 v12, v9, v10
	s_delay_alu instid0(VALU_DEP_1) | instskip(SKIP_1) | instid1(VALU_DEP_2)
	v_mul_f32_e32 v9, 0xbfb8aa3b, v12
	v_cmp_nlt_f32_e32 vcc_lo, 0x42ce8ed0, v12
	v_fma_f32 v10, 0xbfb8aa3b, v12, -v9
	v_rndne_f32_e32 v13, v9
	s_delay_alu instid0(VALU_DEP_1) | instskip(SKIP_1) | instid1(VALU_DEP_2)
	v_dual_fmac_f32 v10, 0xb2a5705f, v12 :: v_dual_sub_f32 v9, v9, v13
	v_cvt_i32_f32_e32 v13, v13
	v_add_f32_e32 v9, v9, v10
	s_delay_alu instid0(VALU_DEP_1)
	v_exp_f32_e32 v16, v9
	v_mad_u64_u32 v[9:10], null, s28, v5, v[1:2]
	v_ashrrev_i32_e32 v5, 31, v4
	v_lshlrev_b32_e32 v10, 16, v3
	v_lshlrev_b32_e32 v7, 2, v7
	v_add_nc_u32_e32 v2, s30, v2
	s_delay_alu instid0(VALU_DEP_4) | instskip(NEXT) | instid1(VALU_DEP_4)
	v_lshlrev_b64 v[5:6], 1, v[4:5]
	v_sub_f32_e32 v18, v10, v17
	s_delay_alu instid0(TRANS32_DEP_1)
	v_ldexp_f32 v13, v16, v13
	v_bfe_u32 v16, v8, 16, 1
	v_add_nc_u32_e32 v4, s31, v4
	v_add3_u32 v10, v11, v14, 0x7fff
	v_bfe_u32 v14, v17, 16, 1
	v_cndmask_b32_e32 v13, 0, v13, vcc_lo
	v_cmp_ngt_f32_e32 vcc_lo, 0xc2b17218, v12
	s_delay_alu instid0(VALU_DEP_3) | instskip(NEXT) | instid1(VALU_DEP_3)
	v_add3_u32 v14, v17, v14, 0x7fff
	v_cndmask_b32_e32 v12, 0x7f800000, v13, vcc_lo
	v_sub_nc_u32_e32 v13, v7, v15
	v_add_co_u32 v5, vcc_lo, s10, v5
	v_add_co_ci_u32_e32 v6, vcc_lo, s11, v6, vcc_lo
	s_delay_alu instid0(VALU_DEP_3)
	v_dual_add_f32 v19, 1.0, v12 :: v_dual_add_nc_u32 v24, 4, v13
	v_add3_u32 v12, v8, v16, 0x7fff
	s_waitcnt lgkmcnt(0)
	v_mul_lo_u32 v7, v9, s1
	v_lshrrev_b32_e32 v9, 16, v10
	v_div_scale_f32 v15, null, v19, v19, 1.0
	v_or_b32_e32 v16, 1, v13
	v_cmp_o_f32_e32 vcc_lo, v11, v11
	v_or_b32_e32 v20, 2, v13
	s_delay_alu instid0(VALU_DEP_4)
	v_rcp_f32_e32 v21, v15
	v_or_b32_e32 v22, 3, v13
	v_lshrrev_b32_e32 v23, 16, v12
	v_cndmask_b32_e32 v25, 0x7fc0, v9, vcc_lo
	v_mad_u64_u32 v[9:10], null, s2, v16, v[1:2]
	v_div_scale_f32 v16, vcc_lo, 1.0, v19, 1.0
	v_ashrrev_i32_e32 v8, 31, v7
	v_lshrrev_b32_e32 v14, 16, v14
	s_delay_alu instid0(TRANS32_DEP_1) | instskip(SKIP_1) | instid1(VALU_DEP_4)
	v_fma_f32 v11, -v15, v21, 1.0
	v_mul_lo_u32 v9, v9, s1
	v_lshlrev_b64 v[7:8], 1, v[7:8]
	s_delay_alu instid0(VALU_DEP_3) | instskip(SKIP_2) | instid1(VALU_DEP_3)
	v_fmac_f32_e32 v21, v11, v21
	v_mad_u64_u32 v[10:11], null, s2, v20, v[1:2]
	v_mad_u64_u32 v[11:12], null, s2, v22, v[1:2]
	v_mul_f32_e32 v20, v16, v21
	v_mad_u64_u32 v[12:13], null, s2, v24, v[1:2]
	v_cndmask_b32_e64 v22, 0x7fc0, v23, s0
	v_cmp_o_f32_e64 s0, v17, v17
	s_delay_alu instid0(VALU_DEP_4) | instskip(SKIP_2) | instid1(VALU_DEP_4)
	v_fma_f32 v13, -v15, v20, v16
	v_mul_lo_u32 v11, v11, s1
	v_add_nc_u32_e32 v1, s25, v1
	v_cndmask_b32_e64 v23, 0x7fc0, v14, s0
	s_delay_alu instid0(VALU_DEP_4) | instskip(SKIP_1) | instid1(VALU_DEP_4)
	v_fmac_f32_e32 v20, v13, v21
	v_mul_lo_u32 v13, v10, s1
	v_cmp_le_i32_e64 s0, s3, v1
	s_delay_alu instid0(VALU_DEP_3) | instskip(SKIP_1) | instid1(VALU_DEP_3)
	v_fma_f32 v10, -v15, v20, v16
	v_mul_lo_u32 v15, v12, s1
	s_or_b32 s24, s0, s24
	s_delay_alu instid0(VALU_DEP_4) | instskip(NEXT) | instid1(VALU_DEP_3)
	v_ashrrev_i32_e32 v14, 31, v13
	v_div_fmas_f32 v12, v10, v21, v20
	v_ashrrev_i32_e32 v10, 31, v9
	v_add_co_u32 v7, vcc_lo, s16, v7
	s_delay_alu instid0(VALU_DEP_4) | instskip(NEXT) | instid1(VALU_DEP_4)
	v_lshlrev_b64 v[13:14], 1, v[13:14]
	v_div_fixup_f32 v19, v12, v19, 1.0
	s_delay_alu instid0(VALU_DEP_4) | instskip(SKIP_2) | instid1(VALU_DEP_4)
	v_lshlrev_b64 v[9:10], 1, v[9:10]
	v_ashrrev_i32_e32 v12, 31, v11
	v_add_co_ci_u32_e32 v8, vcc_lo, s17, v8, vcc_lo
	v_fma_f32 v17, v19, v18, v17
	v_bfe_u32 v18, v19, 16, 1
	s_delay_alu instid0(VALU_DEP_4)
	v_lshlrev_b64 v[11:12], 1, v[11:12]
	v_add_co_u32 v9, vcc_lo, s16, v9
	v_add_co_ci_u32_e32 v10, vcc_lo, s17, v10, vcc_lo
	v_add_co_u32 v13, vcc_lo, s16, v13
	v_bfe_u32 v20, v17, 16, 1
	v_add3_u32 v18, v19, v18, 0x7fff
	v_add_co_ci_u32_e32 v14, vcc_lo, s17, v14, vcc_lo
	v_add_co_u32 v11, vcc_lo, s16, v11
	v_add_co_ci_u32_e32 v12, vcc_lo, s17, v12, vcc_lo
	v_add3_u32 v20, v17, v20, 0x7fff
	v_lshrrev_b32_e32 v18, 16, v18
	v_cmp_o_f32_e32 vcc_lo, v19, v19
	v_ashrrev_i32_e32 v16, 31, v15
	s_delay_alu instid0(VALU_DEP_4) | instskip(NEXT) | instid1(VALU_DEP_4)
	v_lshrrev_b32_e32 v20, 16, v20
	v_cndmask_b32_e32 v18, 0x7fc0, v18, vcc_lo
	v_cmp_o_f32_e32 vcc_lo, v17, v17
	s_delay_alu instid0(VALU_DEP_4) | instskip(NEXT) | instid1(VALU_DEP_4)
	v_lshlrev_b64 v[15:16], 1, v[15:16]
	v_cndmask_b32_e32 v17, 0x7fc0, v20, vcc_lo
	s_delay_alu instid0(VALU_DEP_2) | instskip(NEXT) | instid1(VALU_DEP_3)
	v_add_co_u32 v15, vcc_lo, s16, v15
	v_add_co_ci_u32_e32 v16, vcc_lo, s17, v16, vcc_lo
	global_store_b16 v[5:6], v17, off
	s_clause 0x4
	global_store_b16 v[7:8], v25, off
	global_store_b16 v[9:10], v18, off
	;; [unrolled: 1-line block ×5, first 2 shown]
	s_and_not1_b32 exec_lo, exec_lo, s24
	s_cbranch_execz .LBB44_9
.LBB44_3:                               ; =>This Inner Loop Header: Depth=1
	v_sub_nc_u32_e32 v3, 0, v1
	s_delay_alu instid0(VALU_DEP_1) | instskip(NEXT) | instid1(VALU_DEP_1)
	v_max_i32_e32 v3, v1, v3
	v_mul_hi_u32 v5, v3, v0
	s_delay_alu instid0(VALU_DEP_1) | instskip(NEXT) | instid1(VALU_DEP_1)
	v_mul_lo_u32 v6, v5, s21
	v_sub_nc_u32_e32 v3, v3, v6
	s_delay_alu instid0(VALU_DEP_1) | instskip(SKIP_1) | instid1(VALU_DEP_2)
	v_subrev_nc_u32_e32 v7, s21, v3
	v_cmp_le_u32_e32 vcc_lo, s21, v3
	v_dual_cndmask_b32 v3, v3, v7 :: v_dual_add_nc_u32 v6, 1, v5
	s_delay_alu instid0(VALU_DEP_1) | instskip(SKIP_1) | instid1(VALU_DEP_3)
	v_cndmask_b32_e32 v5, v5, v6, vcc_lo
	v_ashrrev_i32_e32 v6, 31, v1
	v_cmp_le_u32_e32 vcc_lo, s21, v3
	s_delay_alu instid0(VALU_DEP_3) | instskip(NEXT) | instid1(VALU_DEP_3)
	v_add_nc_u32_e32 v7, 1, v5
	v_xor_b32_e32 v6, s26, v6
	s_delay_alu instid0(VALU_DEP_2) | instskip(NEXT) | instid1(VALU_DEP_1)
	v_cndmask_b32_e32 v3, v5, v7, vcc_lo
	v_xor_b32_e32 v7, v3, v6
	v_lshlrev_b32_e32 v3, 1, v6
	s_delay_alu instid0(VALU_DEP_2) | instskip(SKIP_1) | instid1(VALU_DEP_2)
	v_sub_nc_u32_e32 v5, v7, v6
	v_lshlrev_b32_e32 v10, 1, v7
	v_mad_u64_u32 v[8:9], null, s27, v5, v[1:2]
	s_delay_alu instid0(VALU_DEP_2) | instskip(SKIP_1) | instid1(VALU_DEP_2)
	v_sub_nc_u32_e32 v9, v10, v3
	v_ashrrev_i32_e32 v3, 31, v2
	v_or_b32_e32 v10, 1, v9
	v_add_nc_u32_e32 v12, 2, v9
	v_mul_lo_u32 v9, v8, s22
	v_mul_lo_u32 v11, v8, s23
	s_delay_alu instid0(VALU_DEP_4) | instskip(NEXT) | instid1(VALU_DEP_4)
	v_mad_u64_u32 v[13:14], null, s2, v10, v[1:2]
	v_mad_u64_u32 v[14:15], null, s2, v12, v[1:2]
	v_lshlrev_b64 v[15:16], 1, v[2:3]
	v_ashrrev_i32_e32 v10, 31, v9
	v_ashrrev_i32_e32 v12, 31, v11
	v_mul_lo_u32 v8, v13, s22
	v_mul_lo_u32 v13, v13, s23
	;; [unrolled: 1-line block ×3, first 2 shown]
	v_add_co_u32 v21, vcc_lo, s8, v15
	v_add_co_ci_u32_e32 v22, vcc_lo, s9, v16, vcc_lo
	v_lshlrev_b64 v[15:16], 1, v[9:10]
	v_ashrrev_i32_e32 v9, 31, v8
	v_mul_lo_u32 v19, v14, s23
	v_lshlrev_b64 v[10:11], 1, v[11:12]
	v_ashrrev_i32_e32 v18, 31, v17
	v_ashrrev_i32_e32 v14, 31, v13
	v_add_co_u32 v15, vcc_lo, s12, v15
	v_lshlrev_b64 v[8:9], 1, v[8:9]
	v_add_co_ci_u32_e32 v16, vcc_lo, s13, v16, vcc_lo
	v_add_co_u32 v10, vcc_lo, s14, v10
	v_lshlrev_b64 v[17:18], 1, v[17:18]
	v_ashrrev_i32_e32 v20, 31, v19
	v_add_co_ci_u32_e32 v11, vcc_lo, s15, v11, vcc_lo
	v_lshlrev_b64 v[12:13], 1, v[13:14]
	v_add_co_u32 v8, vcc_lo, s12, v8
	v_add_co_ci_u32_e32 v9, vcc_lo, s13, v9, vcc_lo
	v_lshlrev_b64 v[19:20], 1, v[19:20]
	v_add_co_u32 v17, vcc_lo, s12, v17
	v_add_co_ci_u32_e32 v18, vcc_lo, s13, v18, vcc_lo
	v_add_co_u32 v12, vcc_lo, s14, v12
	v_add_co_ci_u32_e32 v13, vcc_lo, s15, v13, vcc_lo
	;; [unrolled: 2-line block ×3, first 2 shown]
	s_clause 0x2
	global_load_u16 v14, v[15:16], off
	global_load_u16 v9, v[8:9], off
	;; [unrolled: 1-line block ×3, first 2 shown]
	s_clause 0x2
	global_load_u16 v15, v[10:11], off
	global_load_u16 v10, v[12:13], off
	;; [unrolled: 1-line block ×4, first 2 shown]
	v_mov_b32_e32 v18, 0
	v_dual_mov_b32 v12, 0 :: v_dual_mov_b32 v17, 0
	v_dual_mov_b32 v16, 0 :: v_dual_mov_b32 v13, 0
	s_and_not1_b32 vcc_lo, exec_lo, s20
	s_cbranch_vccnz .LBB44_5
; %bb.4:                                ;   in Loop: Header=BB44_3 Depth=1
	v_sub_nc_u32_e32 v18, v6, v7
	s_delay_alu instid0(VALU_DEP_1) | instskip(NEXT) | instid1(VALU_DEP_1)
	v_add_nc_u32_e32 v16, 2, v18
	v_mad_u64_u32 v[12:13], null, s2, v16, v[1:2]
	v_mul_lo_u32 v13, s2, v18
	s_delay_alu instid0(VALU_DEP_2) | instskip(SKIP_1) | instid1(VALU_DEP_3)
	v_mul_lo_u32 v16, v12, s18
	v_mul_lo_u32 v12, v12, s19
	v_add3_u32 v13, v13, s2, v1
	s_delay_alu instid0(VALU_DEP_1) | instskip(NEXT) | instid1(VALU_DEP_4)
	v_mul_lo_u32 v20, v13, s18
	v_ashrrev_i32_e32 v17, 31, v16
	s_delay_alu instid0(VALU_DEP_1) | instskip(NEXT) | instid1(VALU_DEP_3)
	v_lshlrev_b64 v[16:17], 1, v[16:17]
	v_ashrrev_i32_e32 v21, 31, v20
	s_delay_alu instid0(VALU_DEP_2) | instskip(NEXT) | instid1(VALU_DEP_3)
	v_add_co_u32 v16, vcc_lo, s4, v16
	v_add_co_ci_u32_e32 v17, vcc_lo, s5, v17, vcc_lo
	global_load_u16 v16, v[16:17], off
	v_mad_u64_u32 v[17:18], null, s29, v5, v[1:2]
	s_delay_alu instid0(VALU_DEP_1) | instskip(SKIP_1) | instid1(VALU_DEP_2)
	v_mul_lo_u32 v18, v17, s18
	v_mul_lo_u32 v17, v17, s19
	v_ashrrev_i32_e32 v19, 31, v18
	s_delay_alu instid0(VALU_DEP_1)
	v_lshlrev_b64 v[22:23], 1, v[18:19]
	v_lshlrev_b64 v[19:20], 1, v[20:21]
	v_mul_lo_u32 v21, v13, s19
	v_ashrrev_i32_e32 v18, 31, v17
	v_ashrrev_i32_e32 v13, 31, v12
	v_add_co_u32 v24, vcc_lo, s4, v22
	s_delay_alu instid0(VALU_DEP_3) | instskip(SKIP_4) | instid1(VALU_DEP_3)
	v_lshlrev_b64 v[17:18], 1, v[17:18]
	v_add_co_ci_u32_e32 v25, vcc_lo, s5, v23, vcc_lo
	v_ashrrev_i32_e32 v22, 31, v21
	v_add_co_u32 v19, vcc_lo, s4, v19
	v_add_co_ci_u32_e32 v20, vcc_lo, s5, v20, vcc_lo
	v_lshlrev_b64 v[21:22], 1, v[21:22]
	v_add_co_u32 v26, vcc_lo, s6, v17
	v_lshlrev_b64 v[12:13], 1, v[12:13]
	v_add_co_ci_u32_e32 v27, vcc_lo, s7, v18, vcc_lo
	s_delay_alu instid0(VALU_DEP_4) | instskip(SKIP_1) | instid1(VALU_DEP_4)
	v_add_co_u32 v21, vcc_lo, s6, v21
	v_add_co_ci_u32_e32 v22, vcc_lo, s7, v22, vcc_lo
	v_add_co_u32 v28, vcc_lo, s6, v12
	v_add_co_ci_u32_e32 v29, vcc_lo, s7, v13, vcc_lo
	s_clause 0x1
	global_load_u16 v18, v[24:25], off
	global_load_u16 v13, v[19:20], off
	s_clause 0x2
	global_load_u16 v17, v[26:27], off
	global_load_u16 v12, v[21:22], off
	global_load_d16_hi_b16 v16, v[28:29], off
.LBB44_5:                               ;   in Loop: Header=BB44_3 Depth=1
	s_waitcnt vmcnt(6)
	v_lshlrev_b32_e32 v14, 16, v14
	s_waitcnt vmcnt(4)
	v_lshlrev_b32_e32 v18, 16, v18
	;; [unrolled: 2-line block ×4, first 2 shown]
	s_delay_alu instid0(VALU_DEP_2) | instskip(NEXT) | instid1(VALU_DEP_1)
	v_dual_add_f32 v14, v14, v15 :: v_dual_lshlrev_b32 v15, 16, v17
	v_add_f32_e32 v14, v14, v18
	s_delay_alu instid0(VALU_DEP_1) | instskip(NEXT) | instid1(VALU_DEP_1)
	v_add_f32_e32 v14, v14, v15
	v_mul_f32_e32 v15, 0xbfb8aa3b, v14
	s_delay_alu instid0(VALU_DEP_1) | instskip(SKIP_1) | instid1(VALU_DEP_1)
	v_fma_f32 v17, 0xbfb8aa3b, v14, -v15
	v_rndne_f32_e32 v18, v15
	v_sub_f32_e32 v15, v15, v18
	s_delay_alu instid0(VALU_DEP_3) | instskip(SKIP_1) | instid1(VALU_DEP_2)
	v_fmac_f32_e32 v17, 0xb2a5705f, v14
	v_cmp_nlt_f32_e32 vcc_lo, 0x42ce8ed0, v14
	v_add_f32_e32 v15, v15, v17
	v_cvt_i32_f32_e32 v17, v18
	s_delay_alu instid0(VALU_DEP_2) | instskip(SKIP_2) | instid1(VALU_DEP_1)
	v_exp_f32_e32 v15, v15
	s_waitcnt_depctr 0xfff
	v_ldexp_f32 v15, v15, v17
	v_cndmask_b32_e32 v15, 0, v15, vcc_lo
	v_cmp_ngt_f32_e32 vcc_lo, 0xc2b17218, v14
	s_delay_alu instid0(VALU_DEP_2) | instskip(NEXT) | instid1(VALU_DEP_1)
	v_cndmask_b32_e32 v14, 0x7f800000, v15, vcc_lo
	v_add_f32_e32 v14, 1.0, v14
	s_delay_alu instid0(VALU_DEP_1) | instskip(SKIP_1) | instid1(VALU_DEP_2)
	v_div_scale_f32 v15, null, v14, v14, 1.0
	v_div_scale_f32 v19, vcc_lo, 1.0, v14, 1.0
	v_rcp_f32_e32 v17, v15
	s_waitcnt_depctr 0xfff
	v_fma_f32 v18, -v15, v17, 1.0
	s_delay_alu instid0(VALU_DEP_1) | instskip(NEXT) | instid1(VALU_DEP_1)
	v_fmac_f32_e32 v17, v18, v17
	v_mul_f32_e32 v18, v19, v17
	s_delay_alu instid0(VALU_DEP_1) | instskip(NEXT) | instid1(VALU_DEP_1)
	v_fma_f32 v20, -v15, v18, v19
	v_fmac_f32_e32 v18, v20, v17
	v_lshlrev_b32_e32 v20, 16, v8
	s_delay_alu instid0(VALU_DEP_2) | instskip(SKIP_3) | instid1(VALU_DEP_3)
	v_fma_f32 v8, -v15, v18, v19
	s_waitcnt vmcnt(0)
	v_and_b32_e32 v15, 0xffff0000, v16
	v_lshlrev_b32_e32 v16, 16, v16
	v_div_fmas_f32 v17, v8, v17, v18
	s_delay_alu instid0(VALU_DEP_3) | instskip(NEXT) | instid1(VALU_DEP_2)
	v_add_f32_e32 v8, v11, v15
                                        ; implicit-def: $vgpr15
	v_div_fixup_f32 v11, v17, v14, 1.0
	s_delay_alu instid0(VALU_DEP_4) | instskip(NEXT) | instid1(VALU_DEP_1)
	v_add_f32_e32 v14, v20, v16
	v_fmac_f32_e32 v14, v8, v11
	s_delay_alu instid0(VALU_DEP_1) | instskip(NEXT) | instid1(VALU_DEP_1)
	v_cmp_ngt_f32_e64 s0, 0x3f200000, |v14|
	s_and_saveexec_b32 s34, s0
	s_delay_alu instid0(SALU_CYCLE_1)
	s_xor_b32 s0, exec_lo, s34
	s_cbranch_execz .LBB44_7
; %bb.6:                                ;   in Loop: Header=BB44_3 Depth=1
	v_add_f32_e64 v15, |v14|, |v14|
	s_delay_alu instid0(VALU_DEP_1) | instskip(SKIP_1) | instid1(VALU_DEP_2)
	v_mul_f32_e32 v16, 0x3fb8aa3b, v15
	v_cmp_ngt_f32_e32 vcc_lo, 0xc2ce8ed0, v15
	v_rndne_f32_e32 v17, v16
	v_fma_f32 v18, 0x3fb8aa3b, v15, -v16
	s_delay_alu instid0(VALU_DEP_2) | instskip(NEXT) | instid1(VALU_DEP_2)
	v_sub_f32_e32 v16, v16, v17
	v_fmac_f32_e32 v18, 0x32a5705f, v15
	v_cvt_i32_f32_e32 v17, v17
	s_delay_alu instid0(VALU_DEP_2) | instskip(NEXT) | instid1(VALU_DEP_1)
	v_add_f32_e32 v16, v16, v18
	v_exp_f32_e32 v16, v16
	s_waitcnt_depctr 0xfff
	v_ldexp_f32 v16, v16, v17
	s_delay_alu instid0(VALU_DEP_1) | instskip(SKIP_1) | instid1(VALU_DEP_2)
	v_cndmask_b32_e32 v16, 0, v16, vcc_lo
	v_cmp_nlt_f32_e32 vcc_lo, 0x42b17218, v15
	v_cndmask_b32_e32 v15, 0x7f800000, v16, vcc_lo
	s_delay_alu instid0(VALU_DEP_1) | instskip(NEXT) | instid1(VALU_DEP_1)
	v_add_f32_e32 v15, 1.0, v15
	v_rcp_f32_e32 v15, v15
	s_waitcnt_depctr 0xfff
	v_fma_f32 v15, v15, -2.0, 1.0
.LBB44_7:                               ;   in Loop: Header=BB44_3 Depth=1
	s_and_not1_saveexec_b32 s0, s0
	s_cbranch_execz .LBB44_2
; %bb.8:                                ;   in Loop: Header=BB44_3 Depth=1
	v_mul_f32_e32 v15, v14, v14
	s_delay_alu instid0(VALU_DEP_1) | instskip(NEXT) | instid1(VALU_DEP_1)
	v_fmaak_f32 v16, s33, v15, 0x3ca908c9
	v_fmaak_f32 v16, v15, v16, 0xbd5c1c4e
	s_delay_alu instid0(VALU_DEP_1) | instskip(NEXT) | instid1(VALU_DEP_1)
	v_fmaak_f32 v16, v15, v16, 0x3e088382
	v_fmaak_f32 v16, v15, v16, 0xbeaaaa99
	s_delay_alu instid0(VALU_DEP_1) | instskip(NEXT) | instid1(VALU_DEP_1)
	v_mul_f32_e64 v16, |v14|, v16
	v_fma_f32 v15, v15, v16, |v14|
	s_branch .LBB44_2
.LBB44_9:
	s_nop 0
	s_sendmsg sendmsg(MSG_DEALLOC_VGPRS)
	s_endpgm
	.section	.rodata,"a",@progbits
	.p2align	6, 0x0
	.amdhsa_kernel _ZN2at6native12_GLOBAL__N_16kernel16gru_cell_forwardIN3c108BFloat16EfiLi1EEEvNS_4cuda6detail10TensorInfoIT_T1_EESB_SB_SB_SB_SB_SB_SA_SA_
		.amdhsa_group_segment_fixed_size 0
		.amdhsa_private_segment_fixed_size 0
		.amdhsa_kernarg_size 1776
		.amdhsa_user_sgpr_count 15
		.amdhsa_user_sgpr_dispatch_ptr 0
		.amdhsa_user_sgpr_queue_ptr 0
		.amdhsa_user_sgpr_kernarg_segment_ptr 1
		.amdhsa_user_sgpr_dispatch_id 0
		.amdhsa_user_sgpr_private_segment_size 0
		.amdhsa_wavefront_size32 1
		.amdhsa_uses_dynamic_stack 0
		.amdhsa_enable_private_segment 0
		.amdhsa_system_sgpr_workgroup_id_x 1
		.amdhsa_system_sgpr_workgroup_id_y 0
		.amdhsa_system_sgpr_workgroup_id_z 0
		.amdhsa_system_sgpr_workgroup_info 0
		.amdhsa_system_vgpr_workitem_id 0
		.amdhsa_next_free_vgpr 30
		.amdhsa_next_free_sgpr 35
		.amdhsa_reserve_vcc 1
		.amdhsa_float_round_mode_32 0
		.amdhsa_float_round_mode_16_64 0
		.amdhsa_float_denorm_mode_32 3
		.amdhsa_float_denorm_mode_16_64 3
		.amdhsa_dx10_clamp 1
		.amdhsa_ieee_mode 1
		.amdhsa_fp16_overflow 0
		.amdhsa_workgroup_processor_mode 1
		.amdhsa_memory_ordered 1
		.amdhsa_forward_progress 0
		.amdhsa_shared_vgpr_count 0
		.amdhsa_exception_fp_ieee_invalid_op 0
		.amdhsa_exception_fp_denorm_src 0
		.amdhsa_exception_fp_ieee_div_zero 0
		.amdhsa_exception_fp_ieee_overflow 0
		.amdhsa_exception_fp_ieee_underflow 0
		.amdhsa_exception_fp_ieee_inexact 0
		.amdhsa_exception_int_div_zero 0
	.end_amdhsa_kernel
	.section	.text._ZN2at6native12_GLOBAL__N_16kernel16gru_cell_forwardIN3c108BFloat16EfiLi1EEEvNS_4cuda6detail10TensorInfoIT_T1_EESB_SB_SB_SB_SB_SB_SA_SA_,"axG",@progbits,_ZN2at6native12_GLOBAL__N_16kernel16gru_cell_forwardIN3c108BFloat16EfiLi1EEEvNS_4cuda6detail10TensorInfoIT_T1_EESB_SB_SB_SB_SB_SB_SA_SA_,comdat
.Lfunc_end44:
	.size	_ZN2at6native12_GLOBAL__N_16kernel16gru_cell_forwardIN3c108BFloat16EfiLi1EEEvNS_4cuda6detail10TensorInfoIT_T1_EESB_SB_SB_SB_SB_SB_SA_SA_, .Lfunc_end44-_ZN2at6native12_GLOBAL__N_16kernel16gru_cell_forwardIN3c108BFloat16EfiLi1EEEvNS_4cuda6detail10TensorInfoIT_T1_EESB_SB_SB_SB_SB_SB_SA_SA_
                                        ; -- End function
	.section	.AMDGPU.csdata,"",@progbits
; Kernel info:
; codeLenInByte = 2520
; NumSgprs: 37
; NumVgprs: 30
; ScratchSize: 0
; MemoryBound: 0
; FloatMode: 240
; IeeeMode: 1
; LDSByteSize: 0 bytes/workgroup (compile time only)
; SGPRBlocks: 4
; VGPRBlocks: 3
; NumSGPRsForWavesPerEU: 37
; NumVGPRsForWavesPerEU: 30
; Occupancy: 16
; WaveLimiterHint : 1
; COMPUTE_PGM_RSRC2:SCRATCH_EN: 0
; COMPUTE_PGM_RSRC2:USER_SGPR: 15
; COMPUTE_PGM_RSRC2:TRAP_HANDLER: 0
; COMPUTE_PGM_RSRC2:TGID_X_EN: 1
; COMPUTE_PGM_RSRC2:TGID_Y_EN: 0
; COMPUTE_PGM_RSRC2:TGID_Z_EN: 0
; COMPUTE_PGM_RSRC2:TIDIG_COMP_CNT: 0
	.section	.text._ZN2at6native12_GLOBAL__N_16kernel16gru_cell_forwardIN3c108BFloat16EfiLi2EEEvNS_4cuda6detail10TensorInfoIT_T1_EESB_SB_SB_SB_SB_SB_SA_SA_,"axG",@progbits,_ZN2at6native12_GLOBAL__N_16kernel16gru_cell_forwardIN3c108BFloat16EfiLi2EEEvNS_4cuda6detail10TensorInfoIT_T1_EESB_SB_SB_SB_SB_SB_SA_SA_,comdat
	.globl	_ZN2at6native12_GLOBAL__N_16kernel16gru_cell_forwardIN3c108BFloat16EfiLi2EEEvNS_4cuda6detail10TensorInfoIT_T1_EESB_SB_SB_SB_SB_SB_SA_SA_ ; -- Begin function _ZN2at6native12_GLOBAL__N_16kernel16gru_cell_forwardIN3c108BFloat16EfiLi2EEEvNS_4cuda6detail10TensorInfoIT_T1_EESB_SB_SB_SB_SB_SB_SA_SA_
	.p2align	8
	.type	_ZN2at6native12_GLOBAL__N_16kernel16gru_cell_forwardIN3c108BFloat16EfiLi2EEEvNS_4cuda6detail10TensorInfoIT_T1_EESB_SB_SB_SB_SB_SB_SA_SA_,@function
_ZN2at6native12_GLOBAL__N_16kernel16gru_cell_forwardIN3c108BFloat16EfiLi2EEEvNS_4cuda6detail10TensorInfoIT_T1_EESB_SB_SB_SB_SB_SB_SA_SA_: ; @_ZN2at6native12_GLOBAL__N_16kernel16gru_cell_forwardIN3c108BFloat16EfiLi2EEEvNS_4cuda6detail10TensorInfoIT_T1_EESB_SB_SB_SB_SB_SB_SA_SA_
; %bb.0:
	s_clause 0x1
	s_load_b32 s6, s[0:1], 0x5fc
	s_load_b64 s[4:5], s[0:1], 0x5e8
	s_add_u32 s2, s0, 0x5f0
	s_addc_u32 s3, s1, 0
	s_waitcnt lgkmcnt(0)
	s_and_b32 s37, s6, 0xffff
	s_mov_b32 s6, exec_lo
	v_mad_u64_u32 v[1:2], null, s15, s37, v[0:1]
	s_delay_alu instid0(VALU_DEP_1)
	v_cmpx_gt_i32_e64 s5, v1
	s_cbranch_execz .LBB45_9
; %bb.1:
	s_clause 0x2
	s_load_b64 s[6:7], s[0:1], 0x1b0
	s_load_b32 s30, s[0:1], 0xe4
	s_load_b64 s[8:9], s[0:1], 0x144
	s_load_b32 s2, s[2:3], 0x0
	s_clause 0xf
	s_load_b64 s[10:11], s[0:1], 0x0
	s_load_b32 s3, s[0:1], 0xc
	s_load_b32 s53, s[0:1], 0x36c
	s_load_b64 s[12:13], s[0:1], 0x288
	s_load_b32 s31, s[0:1], 0x2f4
	s_load_b64 s[14:15], s[0:1], 0x360
	s_load_b64 s[16:17], s[0:1], 0x3cc
	;; [unrolled: 1-line block ×3, first 2 shown]
	s_load_b32 s54, s[0:1], 0x444
	s_load_b32 s33, s[0:1], 0x51c
	s_load_b64 s[20:21], s[0:1], 0x510
	s_load_b64 s[22:23], s[0:1], 0x6c
	;; [unrolled: 1-line block ×3, first 2 shown]
	s_load_b32 s34, s[0:1], 0x21c
	s_load_b64 s[26:27], s[0:1], 0x4a4
	s_load_b64 s[28:29], s[0:1], 0x57c
	s_waitcnt lgkmcnt(0)
	s_cmp_lg_u64 s[6:7], 0
	s_mov_b32 s44, 0
	s_cselect_b32 s35, -1, 0
	s_abs_i32 s36, s4
	s_abs_i32 s40, s30
	v_cvt_f32_u32_e32 v0, s36
	v_cvt_f32_u32_e32 v3, s40
	s_abs_i32 s39, s3
	s_abs_i32 s41, s53
	v_cvt_f32_u32_e32 v2, s39
	v_rcp_iflag_f32_e32 v0, v0
	v_rcp_iflag_f32_e32 v3, v3
	s_abs_i32 s42, s54
	s_abs_i32 s43, s33
	v_rcp_iflag_f32_e32 v2, v2
	v_cvt_f32_u32_e32 v5, s42
	v_cvt_f32_u32_e32 v4, s41
	s_mul_i32 s37, s2, s37
	v_cvt_f32_u32_e32 v6, s43
	s_sub_i32 s2, 0, s40
	s_waitcnt_depctr 0xfff
	v_dual_mul_f32 v0, 0x4f7ffffe, v0 :: v_dual_mul_f32 v3, 0x4f7ffffe, v3
	v_rcp_iflag_f32_e32 v5, v5
	v_rcp_iflag_f32_e32 v4, v4
	v_rcp_iflag_f32_e32 v6, v6
	v_mul_f32_e32 v2, 0x4f7ffffe, v2
	v_cvt_u32_f32_e32 v3, v3
	v_cvt_u32_f32_e32 v0, v0
	s_sub_i32 s0, 0, s36
	s_sub_i32 s1, 0, s39
	s_ashr_i32 s38, s4, 31
	v_mul_lo_u32 v9, s2, v3
	v_mul_f32_e32 v5, 0x4f7ffffe, v5
	v_cvt_u32_f32_e32 v2, v2
	v_mul_f32_e32 v6, 0x4f7ffffe, v6
	v_mul_lo_u32 v7, s0, v0
	s_sub_i32 s0, 0, s41
	v_cvt_u32_f32_e32 v5, v5
	v_mul_lo_u32 v8, s1, v2
	v_mul_hi_u32 v9, v3, v9
	v_mul_f32_e32 v4, 0x4f7ffffe, v4
	v_cvt_u32_f32_e32 v6, v6
	s_sub_i32 s1, 0, s42
	v_mul_hi_u32 v7, v0, v7
	v_mul_lo_u32 v11, s1, v5
	s_ashr_i32 s45, s3, 31
	v_mul_hi_u32 v8, v2, v8
	v_add_nc_u32_e32 v3, v3, v9
	v_cvt_u32_f32_e32 v4, v4
	s_ashr_i32 s46, s30, 31
	s_ashr_i32 s47, s53, 31
	v_add_nc_u32_e32 v0, v0, v7
	s_ashr_i32 s48, s54, 31
	v_mul_lo_u32 v10, s0, v4
	s_sub_i32 s0, 0, s43
	v_add_nc_u32_e32 v2, v2, v8
	v_mul_lo_u32 v12, s0, v6
	s_ashr_i32 s49, s33, 31
	s_lshl_b32 s50, s4, 1
	s_lshl_b32 s51, s4, 2
	s_sub_i32 s52, 0, s4
	v_mul_hi_u32 v7, v4, v10
	v_mul_hi_u32 v10, v5, v11
	s_sub_i32 s53, 0, s53
	v_mul_hi_u32 v8, v6, v12
	s_sub_i32 s54, 0, s54
	s_mov_b32 s55, 0xbbbac73d
	s_delay_alu instid0(VALU_DEP_3) | instskip(NEXT) | instid1(VALU_DEP_3)
	v_add_nc_u32_e32 v4, v4, v7
	v_add_nc_u32_e32 v5, v5, v10
	s_delay_alu instid0(VALU_DEP_3)
	v_add_nc_u32_e32 v6, v6, v8
	s_branch .LBB45_3
.LBB45_2:                               ;   in Loop: Header=BB45_3 Depth=1
	s_or_b32 exec_lo, exec_lo, s0
	v_cmp_o_f32_e32 vcc_lo, v14, v14
	v_lshlrev_b32_e32 v15, 16, v15
	v_lshlrev_b32_e32 v18, 16, v18
	;; [unrolled: 1-line block ×4, first 2 shown]
	v_mul_lo_u32 v13, s51, v13
	v_bfi_b32 v19, 0x7fffffff, v20, v19
	v_bfe_u32 v20, v14, 16, 1
	v_dual_add_f32 v15, v15, v16 :: v_dual_lshlrev_b32 v16, 16, v17
	v_mul_hi_u32 v17, v7, v5
	v_xor_b32_e32 v8, s48, v8
	s_delay_alu instid0(VALU_DEP_3) | instskip(NEXT) | instid1(VALU_DEP_1)
	v_dual_add_f32 v15, v15, v18 :: v_dual_lshlrev_b32 v18, 16, v9
	v_dual_add_f32 v15, v15, v16 :: v_dual_lshlrev_b32 v10, 2, v10
	s_delay_alu instid0(VALU_DEP_4) | instskip(NEXT) | instid1(VALU_DEP_2)
	v_mul_lo_u32 v21, v17, s42
	v_cmp_nlt_f32_e64 s0, 0x42ce8ed0, v15
	s_delay_alu instid0(VALU_DEP_3) | instskip(SKIP_1) | instid1(VALU_DEP_4)
	v_sub_nc_u32_e32 v10, v11, v10
	v_mul_f32_e32 v11, 0xbfb8aa3b, v15
	v_sub_nc_u32_e32 v7, v7, v21
	s_delay_alu instid0(VALU_DEP_3) | instskip(NEXT) | instid1(VALU_DEP_3)
	v_or_b32_e32 v25, 1, v10
	v_fma_f32 v23, 0xbfb8aa3b, v15, -v11
	v_rndne_f32_e32 v24, v11
	v_sub_f32_e32 v16, v18, v19
	v_add3_u32 v18, v14, v20, 0x7fff
	v_or_b32_e32 v26, 2, v10
	v_fmac_f32_e32 v23, 0xb2a5705f, v15
	v_dual_sub_f32 v11, v11, v24 :: v_dual_add_nc_u32 v20, v1, v13
	v_cvt_i32_f32_e32 v24, v24
	v_lshrrev_b32_e32 v18, 16, v18
	v_or_b32_e32 v27, 3, v10
	s_delay_alu instid0(VALU_DEP_4)
	v_add_f32_e32 v11, v11, v23
	v_ashrrev_i32_e32 v20, 31, v20
	v_mul_lo_u32 v23, s4, v25
	v_cndmask_b32_e32 v18, 0x7fc0, v18, vcc_lo
	v_cmp_le_u32_e32 vcc_lo, s42, v7
	v_exp_f32_e32 v11, v11
	v_add3_u32 v14, v20, v13, v1
	v_mul_lo_u32 v25, s4, v26
	v_mul_lo_u32 v26, s4, v27
	s_delay_alu instid0(VALU_DEP_3)
	v_xor_b32_e32 v14, v14, v20
	s_waitcnt_depctr 0xfff
	v_ldexp_f32 v11, v11, v24
	v_mul_hi_u32 v29, v14, v6
	v_add_nc_u32_e32 v24, v1, v25
	v_add_nc_u32_e32 v27, v1, v26
	s_delay_alu instid0(VALU_DEP_4) | instskip(SKIP_3) | instid1(VALU_DEP_3)
	v_cndmask_b32_e64 v11, 0, v11, s0
	v_add_nc_u32_e32 v22, 1, v17
	v_add_nc_u32_e32 v33, 1, v29
	;; [unrolled: 1-line block ×3, first 2 shown]
	v_cndmask_b32_e32 v17, v17, v22, vcc_lo
	v_subrev_nc_u32_e32 v22, s42, v7
	s_delay_alu instid0(VALU_DEP_3) | instskip(SKIP_1) | instid1(VALU_DEP_3)
	v_mul_lo_u32 v21, s4, v10
	v_xor_b32_e32 v10, s49, v20
	v_dual_cndmask_b32 v7, v7, v22 :: v_dual_add_nc_u32 v20, v1, v23
	v_cmp_ngt_f32_e32 vcc_lo, 0xc2b17218, v15
	s_delay_alu instid0(VALU_DEP_2) | instskip(SKIP_4) | instid1(VALU_DEP_4)
	v_ashrrev_i32_e32 v15, 31, v20
	v_dual_cndmask_b32 v11, 0x7f800000, v11 :: v_dual_add_nc_u32 v28, v1, v21
	v_ashrrev_i32_e32 v20, 31, v24
	v_ashrrev_i32_e32 v24, 31, v27
	v_cmp_le_u32_e32 vcc_lo, s42, v7
	v_ashrrev_i32_e32 v27, 31, v28
	v_add_f32_e32 v28, 1.0, v11
	v_add_nc_u32_e32 v22, 1, v17
	v_mul_lo_u32 v11, v29, s43
	v_add3_u32 v30, v15, v23, v1
	v_add3_u32 v31, v20, v25, v1
	;; [unrolled: 1-line block ×3, first 2 shown]
	v_cndmask_b32_e32 v7, v17, v22, vcc_lo
	v_div_scale_f32 v17, null, v28, v28, 1.0
	v_xor_b32_e32 v22, s49, v15
	v_sub_nc_u32_e32 v11, v14, v11
	v_xor_b32_e32 v15, v30, v15
	s_delay_alu instid0(VALU_DEP_4)
	v_rcp_f32_e32 v14, v17
	v_xor_b32_e32 v31, v31, v20
	v_xor_b32_e32 v32, v32, v24
	v_subrev_nc_u32_e32 v30, s43, v11
	v_cmp_le_u32_e32 vcc_lo, s43, v11
	v_add3_u32 v34, v27, v21, v1
	v_mul_hi_u32 v37, v31, v6
	v_xor_b32_e32 v20, s49, v20
	v_xor_b32_e32 v24, s49, v24
	v_cndmask_b32_e32 v29, v29, v33, vcc_lo
	v_fma_f32 v35, -v17, v14, 1.0
	v_cndmask_b32_e32 v11, v11, v30, vcc_lo
	v_div_scale_f32 v36, vcc_lo, 1.0, v28, 1.0
	s_delay_alu instid0(VALU_DEP_4) | instskip(NEXT) | instid1(VALU_DEP_4)
	v_add_nc_u32_e32 v30, 1, v29
	v_fmac_f32_e32 v14, v35, v14
	s_delay_alu instid0(VALU_DEP_4) | instskip(SKIP_3) | instid1(VALU_DEP_4)
	v_cmp_le_u32_e64 s0, s43, v11
	v_xor_b32_e32 v7, v7, v8
	v_mul_hi_u32 v33, v15, v6
	v_xor_b32_e32 v34, v34, v27
	v_cndmask_b32_e64 v11, v29, v30, s0
	v_mul_f32_e32 v29, v36, v14
	v_sub_nc_u32_e32 v35, v7, v8
	s_delay_alu instid0(VALU_DEP_3) | instskip(NEXT) | instid1(VALU_DEP_3)
	v_xor_b32_e32 v11, v11, v10
	v_fma_f32 v30, -v17, v29, v36
	s_delay_alu instid0(VALU_DEP_3) | instskip(SKIP_1) | instid1(VALU_DEP_4)
	v_mad_u64_u32 v[7:8], null, s54, v35, v[1:2]
	v_mul_lo_u32 v8, v33, s43
	v_sub_nc_u32_e32 v38, v11, v10
	s_delay_alu instid0(VALU_DEP_4) | instskip(NEXT) | instid1(VALU_DEP_4)
	v_dual_fmac_f32 v29, v30, v14 :: v_dual_add_nc_u32 v10, 1, v33
	v_mul_lo_u32 v7, v7, s27
	s_delay_alu instid0(VALU_DEP_2) | instskip(SKIP_2) | instid1(VALU_DEP_3)
	v_fma_f32 v11, -v17, v29, v36
	v_sub_nc_u32_e32 v8, v15, v8
	v_mul_lo_u32 v15, v38, s33
	v_div_fmas_f32 v14, v11, v14, v29
	s_delay_alu instid0(VALU_DEP_3) | instskip(SKIP_1) | instid1(VALU_DEP_2)
	v_cmp_le_u32_e64 s0, s43, v8
	v_subrev_nc_u32_e32 v29, s43, v8
	v_cndmask_b32_e64 v17, v33, v10, s0
	v_mad_u64_u32 v[10:11], null, v35, s26, v[7:8]
	s_delay_alu instid0(VALU_DEP_3)
	v_cndmask_b32_e64 v8, v8, v29, s0
	v_sub_nc_u32_e32 v7, v13, v15
	v_div_fixup_f32 v15, v14, v28, 1.0
	v_add_nc_u32_e32 v11, 1, v17
	v_mul_lo_u32 v13, v37, s43
	v_cmp_le_u32_e32 vcc_lo, s43, v8
	v_add_nc_u32_e32 v7, v1, v7
	v_fma_f32 v16, v15, v16, v19
	v_add_nc_u32_e32 v28, 1, v37
	v_cndmask_b32_e32 v8, v17, v11, vcc_lo
	v_ashrrev_i32_e32 v11, 31, v10
	v_mul_lo_u32 v7, v7, s29
	v_bfe_u32 v14, v16, 16, 1
	v_mul_hi_u32 v17, v32, v6
	v_xor_b32_e32 v8, v8, v22
	v_lshlrev_b64 v[10:11], 1, v[10:11]
	v_sub_nc_u32_e32 v29, v31, v13
	v_add3_u32 v30, v16, v14, 0x7fff
	s_delay_alu instid0(VALU_DEP_4) | instskip(NEXT) | instid1(VALU_DEP_4)
	v_mad_u64_u32 v[13:14], null, v38, s28, v[7:8]
	v_add_co_u32 v7, vcc_lo, s18, v10
	v_sub_nc_u32_e32 v22, v8, v22
	v_add_co_ci_u32_e32 v8, vcc_lo, s19, v11, vcc_lo
	v_lshrrev_b32_e32 v14, 16, v30
	v_cmp_o_f32_e32 vcc_lo, v16, v16
	v_mul_lo_u32 v11, v17, s43
	v_mul_lo_u32 v16, v22, s33
	v_subrev_nc_u32_e32 v30, s43, v29
	v_cndmask_b32_e32 v10, 0x7fc0, v14, vcc_lo
	v_cmp_le_u32_e32 vcc_lo, s43, v29
	v_ashrrev_i32_e32 v14, 31, v13
	global_store_b16 v[7:8], v10, off
	v_mul_hi_u32 v7, v34, v6
	v_sub_nc_u32_e32 v10, v32, v11
	v_cndmask_b32_e32 v8, v37, v28, vcc_lo
	v_sub_nc_u32_e32 v11, v23, v16
	v_dual_cndmask_b32 v16, v29, v30 :: v_dual_add_nc_u32 v23, 1, v17
	s_delay_alu instid0(VALU_DEP_4)
	v_subrev_nc_u32_e32 v29, s43, v10
	v_cmp_le_u32_e32 vcc_lo, s43, v10
	v_mul_lo_u32 v30, v7, s43
	v_add_nc_u32_e32 v28, 1, v8
	v_cmp_le_u32_e64 s0, s43, v16
	v_dual_cndmask_b32 v17, v17, v23 :: v_dual_cndmask_b32 v10, v10, v29
	s_delay_alu instid0(VALU_DEP_2) | instskip(SKIP_1) | instid1(VALU_DEP_3)
	v_cndmask_b32_e64 v8, v8, v28, s0
	v_sub_nc_u32_e32 v23, v34, v30
	v_add_nc_u32_e32 v16, 1, v17
	s_delay_alu instid0(VALU_DEP_4) | instskip(SKIP_2) | instid1(VALU_DEP_4)
	v_cmp_le_u32_e32 vcc_lo, s43, v10
	v_add_nc_u32_e32 v28, 1, v7
	v_xor_b32_e32 v8, v8, v20
	v_cndmask_b32_e32 v10, v17, v16, vcc_lo
	v_cmp_le_u32_e32 vcc_lo, s43, v23
	v_subrev_nc_u32_e32 v16, s43, v23
	s_delay_alu instid0(VALU_DEP_4) | instskip(SKIP_1) | instid1(VALU_DEP_1)
	v_sub_nc_u32_e32 v20, v8, v20
	v_cndmask_b32_e32 v7, v7, v28, vcc_lo
	v_dual_cndmask_b32 v16, v23, v16 :: v_dual_add_nc_u32 v17, 1, v7
	v_xor_b32_e32 v10, v10, v24
	s_delay_alu instid0(VALU_DEP_2) | instskip(SKIP_1) | instid1(VALU_DEP_3)
	v_cmp_le_u32_e32 vcc_lo, s43, v16
	v_add_nc_u32_e32 v11, v1, v11
	v_sub_nc_u32_e32 v23, v10, v24
	v_cndmask_b32_e32 v16, v7, v17, vcc_lo
	v_xor_b32_e32 v24, s49, v27
	s_delay_alu instid0(VALU_DEP_4)
	v_mul_lo_u32 v10, v11, s29
	v_mul_lo_u32 v11, v20, s33
	v_lshlrev_b64 v[7:8], 1, v[13:14]
	v_mul_lo_u32 v17, v23, s33
	v_xor_b32_e32 v16, v16, v24
	v_bfe_u32 v27, v15, 16, 1
	s_delay_alu instid0(VALU_DEP_4) | instskip(SKIP_1) | instid1(VALU_DEP_4)
	v_add_co_u32 v7, vcc_lo, s20, v7
	v_mad_u64_u32 v[13:14], null, v22, s28, v[10:11]
	v_sub_nc_u32_e32 v22, v16, v24
	v_add_co_ci_u32_e32 v8, vcc_lo, s21, v8, vcc_lo
	v_sub_nc_u32_e32 v10, v25, v11
	v_sub_nc_u32_e32 v11, v26, v17
	s_delay_alu instid0(VALU_DEP_4)
	v_mul_lo_u32 v16, v22, s33
	global_store_b16 v[7:8], v18, off
	v_add3_u32 v14, v15, v27, 0x7fff
	v_add_nc_u32_e32 v7, v1, v10
	v_add_nc_u32_e32 v8, v1, v11
	v_cmp_o_f32_e32 vcc_lo, v15, v15
	v_bfe_u32 v17, v19, 16, 1
	v_lshrrev_b32_e32 v10, 16, v14
	v_mul_lo_u32 v7, v7, s29
	v_mul_lo_u32 v8, v8, s29
	v_sub_nc_u32_e32 v16, v21, v16
	v_ashrrev_i32_e32 v14, 31, v13
	v_cndmask_b32_e32 v21, 0x7fc0, v10, vcc_lo
	v_add3_u32 v17, v19, v17, 0x7fff
	s_delay_alu instid0(VALU_DEP_4) | instskip(NEXT) | instid1(VALU_DEP_4)
	v_add_nc_u32_e32 v18, v1, v16
	v_lshlrev_b64 v[10:11], 1, v[13:14]
	v_mad_u64_u32 v[13:14], null, v20, s28, v[7:8]
	v_mad_u64_u32 v[15:16], null, v23, s28, v[8:9]
	s_delay_alu instid0(VALU_DEP_4) | instskip(NEXT) | instid1(VALU_DEP_4)
	v_mul_lo_u32 v7, v18, s29
	v_add_co_u32 v10, vcc_lo, s20, v10
	v_lshrrev_b32_e32 v20, 16, v17
	v_ashrrev_i32_e32 v14, 31, v13
	v_add_co_ci_u32_e32 v11, vcc_lo, s21, v11, vcc_lo
	v_ashrrev_i32_e32 v16, 31, v15
	v_mad_u64_u32 v[17:18], null, v22, s28, v[7:8]
	s_delay_alu instid0(VALU_DEP_4)
	v_lshlrev_b64 v[7:8], 1, v[13:14]
	v_cmp_o_f32_e32 vcc_lo, v19, v19
	v_bfe_u32 v18, v12, 16, 1
	v_lshlrev_b64 v[13:14], 1, v[15:16]
	v_add_nc_u32_e32 v1, s37, v1
	v_cndmask_b32_e32 v19, 0x7fc0, v20, vcc_lo
	v_add_co_u32 v7, vcc_lo, s20, v7
	v_add3_u32 v15, v12, v18, 0x7fff
	v_ashrrev_i32_e32 v18, 31, v17
	v_add_co_ci_u32_e32 v8, vcc_lo, s21, v8, vcc_lo
	v_add_co_u32 v13, vcc_lo, s20, v13
	v_add_co_ci_u32_e32 v14, vcc_lo, s21, v14, vcc_lo
	v_lshrrev_b32_e32 v20, 16, v15
	v_lshlrev_b64 v[15:16], 1, v[17:18]
	v_cmp_o_f32_e32 vcc_lo, v12, v12
	s_clause 0x1
	global_store_b16 v[10:11], v21, off
	global_store_b16 v[7:8], v19, off
	v_cndmask_b32_e32 v12, 0x7fc0, v20, vcc_lo
	v_cmp_le_i32_e32 vcc_lo, s5, v1
	v_add_co_u32 v15, s0, s20, v15
	s_delay_alu instid0(VALU_DEP_1)
	v_add_co_ci_u32_e64 v16, s0, s21, v16, s0
	s_or_b32 s44, vcc_lo, s44
	s_clause 0x1
	global_store_b16 v[13:14], v9, off
	global_store_b16 v[15:16], v12, off
	s_and_not1_b32 exec_lo, exec_lo, s44
	s_cbranch_execz .LBB45_9
.LBB45_3:                               ; =>This Inner Loop Header: Depth=1
	v_sub_nc_u32_e32 v7, 0, v1
	s_delay_alu instid0(VALU_DEP_1) | instskip(NEXT) | instid1(VALU_DEP_1)
	v_max_i32_e32 v7, v1, v7
	v_mul_hi_u32 v8, v7, v0
	v_mul_hi_u32 v14, v7, v4
	s_delay_alu instid0(VALU_DEP_2) | instskip(NEXT) | instid1(VALU_DEP_2)
	v_mul_lo_u32 v9, v8, s36
	v_add_nc_u32_e32 v16, 1, v14
	s_delay_alu instid0(VALU_DEP_2) | instskip(NEXT) | instid1(VALU_DEP_1)
	v_sub_nc_u32_e32 v9, v7, v9
	v_subrev_nc_u32_e32 v11, s36, v9
	v_cmp_le_u32_e32 vcc_lo, s36, v9
	s_delay_alu instid0(VALU_DEP_2) | instskip(NEXT) | instid1(VALU_DEP_1)
	v_dual_cndmask_b32 v9, v9, v11 :: v_dual_add_nc_u32 v10, 1, v8
	v_cndmask_b32_e32 v12, v8, v10, vcc_lo
	v_ashrrev_i32_e32 v8, 31, v1
	s_delay_alu instid0(VALU_DEP_3) | instskip(NEXT) | instid1(VALU_DEP_3)
	v_cmp_le_u32_e32 vcc_lo, s36, v9
	v_add_nc_u32_e32 v11, 1, v12
	s_delay_alu instid0(VALU_DEP_3) | instskip(SKIP_1) | instid1(VALU_DEP_3)
	v_xor_b32_e32 v10, s38, v8
	v_xor_b32_e32 v19, s47, v8
	v_cndmask_b32_e32 v9, v12, v11, vcc_lo
	v_mul_lo_u32 v12, v14, s41
	s_delay_alu instid0(VALU_DEP_2) | instskip(NEXT) | instid1(VALU_DEP_2)
	v_xor_b32_e32 v11, v9, v10
	v_sub_nc_u32_e32 v12, v7, v12
	s_delay_alu instid0(VALU_DEP_2) | instskip(SKIP_1) | instid1(VALU_DEP_3)
	v_sub_nc_u32_e32 v13, v11, v10
	v_lshlrev_b32_e32 v15, 1, v11
	v_subrev_nc_u32_e32 v17, s41, v12
	v_cmp_le_u32_e32 vcc_lo, s41, v12
	v_lshlrev_b32_e32 v9, 1, v10
	v_mul_lo_u32 v18, s50, v13
	v_cndmask_b32_e32 v14, v14, v16, vcc_lo
	s_delay_alu instid0(VALU_DEP_3) | instskip(NEXT) | instid1(VALU_DEP_2)
	v_sub_nc_u32_e32 v9, v15, v9
	v_dual_cndmask_b32 v12, v12, v17 :: v_dual_add_nc_u32 v17, 1, v14
	s_delay_alu instid0(VALU_DEP_2) | instskip(SKIP_1) | instid1(VALU_DEP_3)
	v_or_b32_e32 v15, 1, v9
	v_add_nc_u32_e32 v9, 2, v9
	v_cmp_le_u32_e32 vcc_lo, s41, v12
	v_add_nc_u32_e32 v16, v1, v18
	s_delay_alu instid0(VALU_DEP_4) | instskip(NEXT) | instid1(VALU_DEP_4)
	v_mul_lo_u32 v15, s4, v15
	v_mul_lo_u32 v20, s4, v9
	v_cndmask_b32_e32 v9, v14, v17, vcc_lo
	s_delay_alu instid0(VALU_DEP_4) | instskip(NEXT) | instid1(VALU_DEP_2)
	v_ashrrev_i32_e32 v16, 31, v16
	v_xor_b32_e32 v9, v9, v19
	s_delay_alu instid0(VALU_DEP_2) | instskip(SKIP_3) | instid1(VALU_DEP_4)
	v_add3_u32 v12, v16, v18, v1
	v_add_nc_u32_e32 v14, v1, v15
	v_add_nc_u32_e32 v17, v1, v20
	v_xor_b32_e32 v21, s45, v16
	v_xor_b32_e32 v12, v12, v16
	s_delay_alu instid0(VALU_DEP_4) | instskip(NEXT) | instid1(VALU_DEP_4)
	v_ashrrev_i32_e32 v14, 31, v14
	v_ashrrev_i32_e32 v17, 31, v17
	v_xor_b32_e32 v16, s46, v16
	s_delay_alu instid0(VALU_DEP_4) | instskip(NEXT) | instid1(VALU_DEP_4)
	v_mul_hi_u32 v22, v12, v2
	v_add3_u32 v24, v14, v15, v1
	s_delay_alu instid0(VALU_DEP_4)
	v_add3_u32 v26, v17, v20, v1
	v_mul_hi_u32 v25, v12, v3
	v_xor_b32_e32 v23, s45, v14
	v_xor_b32_e32 v27, s45, v17
	;; [unrolled: 1-line block ×6, first 2 shown]
	v_mul_lo_u32 v26, v22, s39
	v_mul_lo_u32 v29, v25, s40
	v_mul_hi_u32 v30, v14, v2
	v_add_nc_u32_e32 v33, 1, v25
	v_mul_hi_u32 v32, v17, v2
	v_mul_hi_u32 v34, v14, v3
	;; [unrolled: 1-line block ×3, first 2 shown]
	v_sub_nc_u32_e32 v26, v12, v26
	v_sub_nc_u32_e32 v12, v12, v29
	v_add_nc_u32_e32 v36, 1, v30
	v_add_nc_u32_e32 v31, 1, v22
	v_mul_lo_u32 v29, v30, s39
	v_subrev_nc_u32_e32 v43, s39, v26
	v_cmp_le_u32_e32 vcc_lo, s39, v26
	v_cmp_le_u32_e64 s0, s40, v12
	v_mul_lo_u32 v37, v32, s39
	v_mul_lo_u32 v39, v34, s40
	;; [unrolled: 1-line block ×3, first 2 shown]
	v_cndmask_b32_e32 v22, v22, v31, vcc_lo
	v_cndmask_b32_e32 v26, v26, v43, vcc_lo
	v_cndmask_b32_e64 v25, v25, v33, s0
	v_sub_nc_u32_e32 v29, v14, v29
	v_subrev_nc_u32_e32 v31, s40, v12
	v_add_nc_u32_e32 v33, 1, v22
	v_cmp_le_u32_e32 vcc_lo, s39, v26
	v_sub_nc_u32_e32 v37, v17, v37
	v_sub_nc_u32_e32 v14, v14, v39
	v_cndmask_b32_e64 v12, v12, v31, s0
	v_add_nc_u32_e32 v31, 1, v25
	v_cndmask_b32_e32 v22, v22, v33, vcc_lo
	v_cmp_le_u32_e32 vcc_lo, s39, v29
	v_sub_nc_u32_e32 v17, v17, v41
	v_cmp_le_u32_e64 s0, s39, v37
	v_subrev_nc_u32_e32 v33, s39, v37
	v_cmp_le_u32_e64 s1, s40, v12
	v_cndmask_b32_e32 v26, v30, v36, vcc_lo
	v_subrev_nc_u32_e32 v30, s39, v29
	v_add_nc_u32_e32 v38, 1, v32
	v_add_nc_u32_e32 v40, 1, v34
	v_add_nc_u32_e32 v42, 1, v35
	v_cndmask_b32_e64 v12, v25, v31, s1
	v_cndmask_b32_e32 v29, v29, v30, vcc_lo
	v_cndmask_b32_e64 v32, v32, v38, s0
	v_cmp_le_u32_e64 s1, s40, v14
	v_subrev_nc_u32_e32 v31, s40, v14
	v_cmp_le_u32_e64 s2, s40, v17
	v_xor_b32_e32 v22, v22, v21
	v_add_nc_u32_e32 v30, 1, v26
	v_cndmask_b32_e64 v33, v37, v33, s0
	v_cmp_le_u32_e32 vcc_lo, s39, v29
	v_cndmask_b32_e64 v25, v34, v40, s1
	v_cndmask_b32_e64 v34, v35, v42, s2
	v_subrev_nc_u32_e32 v35, s40, v17
	v_add_nc_u32_e32 v36, 1, v32
	v_cndmask_b32_e64 v14, v14, v31, s1
	v_sub_nc_u32_e32 v21, v22, v21
	v_cndmask_b32_e32 v22, v26, v30, vcc_lo
	v_cmp_le_u32_e32 vcc_lo, s39, v33
	v_xor_b32_e32 v12, v12, v16
	v_add_nc_u32_e32 v31, 1, v25
	v_cndmask_b32_e64 v17, v17, v35, s2
	v_sub_nc_u32_e32 v30, v9, v19
	v_cndmask_b32_e32 v26, v32, v36, vcc_lo
	v_cmp_le_u32_e32 vcc_lo, s40, v14
	v_add_nc_u32_e32 v35, 1, v34
	v_sub_nc_u32_e32 v29, v12, v16
	v_xor_b32_e32 v16, v22, v23
	v_xor_b32_e32 v22, v26, v27
	v_cndmask_b32_e32 v12, v25, v31, vcc_lo
	v_cmp_le_u32_e32 vcc_lo, s40, v17
	v_mul_lo_u32 v17, v21, s3
	v_sub_nc_u32_e32 v23, v16, v23
	v_mul_lo_u32 v25, v29, s30
	v_xor_b32_e32 v12, v12, v28
	v_cndmask_b32_e32 v14, v34, v35, vcc_lo
	v_sub_nc_u32_e32 v26, v22, v27
	v_mul_lo_u32 v16, v23, s3
	s_delay_alu instid0(VALU_DEP_4) | instskip(NEXT) | instid1(VALU_DEP_4)
	v_sub_nc_u32_e32 v27, v12, v28
	v_xor_b32_e32 v14, v14, v24
	v_sub_nc_u32_e32 v12, v18, v17
	v_mul_lo_u32 v17, v26, s3
	s_delay_alu instid0(VALU_DEP_3)
	v_sub_nc_u32_e32 v28, v14, v24
	v_sub_nc_u32_e32 v14, v18, v25
	v_mul_lo_u32 v18, v27, s30
	v_add_nc_u32_e32 v12, v1, v12
	v_sub_nc_u32_e32 v16, v15, v16
	v_mul_lo_u32 v19, v28, s30
	v_add_nc_u32_e32 v14, v1, v14
	;; [unrolled: 3-line block ×5, first 2 shown]
	v_mad_u64_u32 v[15:16], null, v21, s22, v[9:10]
	s_delay_alu instid0(VALU_DEP_4)
	v_add_nc_u32_e32 v25, v1, v18
	v_mul_lo_u32 v9, v17, s23
	v_mad_u64_u32 v[17:18], null, v29, s8, v[12:13]
	v_mul_lo_u32 v12, v19, s9
	v_mad_u64_u32 v[19:20], null, v23, s22, v[14:15]
	v_ashrrev_i32_e32 v16, 31, v15
	v_mad_u64_u32 v[23:24], null, s53, v30, v[1:2]
	v_mad_u64_u32 v[21:22], null, v26, s22, v[9:10]
	s_delay_alu instid0(VALU_DEP_3) | instskip(SKIP_4) | instid1(VALU_DEP_4)
	v_lshlrev_b64 v[14:15], 1, v[15:16]
	v_ashrrev_i32_e32 v20, 31, v19
	v_mul_lo_u32 v9, v25, s9
	v_mad_u64_u32 v[24:25], null, v27, s8, v[12:13]
	v_mul_lo_u32 v12, v23, s17
	v_lshlrev_b64 v[19:20], 1, v[19:20]
	v_add_co_u32 v14, vcc_lo, s10, v14
	v_add_co_ci_u32_e32 v15, vcc_lo, s11, v15, vcc_lo
	v_ashrrev_i32_e32 v22, 31, v21
	s_delay_alu instid0(VALU_DEP_4)
	v_add_co_u32 v26, vcc_lo, s10, v19
	v_add_co_ci_u32_e32 v27, vcc_lo, s11, v20, vcc_lo
	v_mad_u64_u32 v[19:20], null, v28, s8, v[9:10]
	v_ashrrev_i32_e32 v18, 31, v17
	v_mad_u64_u32 v[28:29], null, v30, s16, v[12:13]
	v_lshlrev_b64 v[21:22], 1, v[21:22]
	v_ashrrev_i32_e32 v25, 31, v24
	s_delay_alu instid0(VALU_DEP_4) | instskip(SKIP_1) | instid1(VALU_DEP_4)
	v_lshlrev_b64 v[16:17], 1, v[17:18]
	v_ashrrev_i32_e32 v20, 31, v19
	v_add_co_u32 v21, vcc_lo, s10, v21
	s_delay_alu instid0(VALU_DEP_4)
	v_lshlrev_b64 v[23:24], 1, v[24:25]
	v_ashrrev_i32_e32 v29, 31, v28
	v_add_co_ci_u32_e32 v22, vcc_lo, s11, v22, vcc_lo
	v_add_co_u32 v16, vcc_lo, s24, v16
	v_lshlrev_b64 v[18:19], 1, v[19:20]
	v_add_co_ci_u32_e32 v17, vcc_lo, s25, v17, vcc_lo
	v_add_co_u32 v23, vcc_lo, s24, v23
	v_lshlrev_b64 v[28:29], 1, v[28:29]
	v_add_co_ci_u32_e32 v24, vcc_lo, s25, v24, vcc_lo
	v_add_co_u32 v30, vcc_lo, s24, v18
	v_mov_b32_e32 v18, 0
	v_add_co_ci_u32_e32 v31, vcc_lo, s25, v19, vcc_lo
	v_add_co_u32 v28, vcc_lo, s14, v28
	v_add_co_ci_u32_e32 v29, vcc_lo, s15, v29, vcc_lo
	s_clause 0x2
	global_load_u16 v19, v[14:15], off
	global_load_u16 v15, v[26:27], off
	;; [unrolled: 1-line block ×3, first 2 shown]
	s_clause 0x2
	global_load_u16 v20, v[16:17], off
	global_load_u16 v16, v[23:24], off
	;; [unrolled: 1-line block ×4, first 2 shown]
	v_dual_mov_b32 v17, 0 :: v_dual_mov_b32 v22, 0
	v_mov_b32_e32 v23, 0
	v_mov_b32_e32 v21, 0
	s_and_not1_b32 vcc_lo, exec_lo, s35
	s_cbranch_vccnz .LBB45_5
; %bb.4:                                ;   in Loop: Header=BB45_3 Depth=1
	v_sub_nc_u32_e32 v23, v10, v11
	s_delay_alu instid0(VALU_DEP_1) | instskip(NEXT) | instid1(VALU_DEP_1)
	v_add_nc_u32_e32 v21, 2, v23
	v_mad_u64_u32 v[17:18], null, s4, v21, v[1:2]
	v_mul_lo_u32 v18, s4, v23
	s_delay_alu instid0(VALU_DEP_2) | instskip(SKIP_1) | instid1(VALU_DEP_3)
	v_mul_lo_u32 v21, v17, s34
	v_mul_lo_u32 v17, v17, s31
	v_add3_u32 v18, v18, s4, v1
	s_delay_alu instid0(VALU_DEP_1) | instskip(NEXT) | instid1(VALU_DEP_4)
	v_mul_lo_u32 v25, v18, s34
	v_ashrrev_i32_e32 v22, 31, v21
	s_delay_alu instid0(VALU_DEP_1) | instskip(NEXT) | instid1(VALU_DEP_3)
	v_lshlrev_b64 v[21:22], 1, v[21:22]
	v_ashrrev_i32_e32 v26, 31, v25
	s_delay_alu instid0(VALU_DEP_2) | instskip(NEXT) | instid1(VALU_DEP_3)
	v_add_co_u32 v21, vcc_lo, s6, v21
	v_add_co_ci_u32_e32 v22, vcc_lo, s7, v22, vcc_lo
	global_load_u16 v21, v[21:22], off
	v_mad_u64_u32 v[22:23], null, s52, v13, v[1:2]
	s_delay_alu instid0(VALU_DEP_1) | instskip(SKIP_1) | instid1(VALU_DEP_2)
	v_mul_lo_u32 v23, v22, s34
	v_mul_lo_u32 v22, v22, s31
	v_ashrrev_i32_e32 v24, 31, v23
	s_delay_alu instid0(VALU_DEP_1)
	v_lshlrev_b64 v[27:28], 1, v[23:24]
	v_lshlrev_b64 v[24:25], 1, v[25:26]
	v_mul_lo_u32 v26, v18, s31
	v_ashrrev_i32_e32 v23, 31, v22
	v_ashrrev_i32_e32 v18, 31, v17
	v_add_co_u32 v29, vcc_lo, s6, v27
	s_delay_alu instid0(VALU_DEP_3) | instskip(SKIP_4) | instid1(VALU_DEP_3)
	v_lshlrev_b64 v[22:23], 1, v[22:23]
	v_add_co_ci_u32_e32 v30, vcc_lo, s7, v28, vcc_lo
	v_ashrrev_i32_e32 v27, 31, v26
	v_add_co_u32 v24, vcc_lo, s6, v24
	v_add_co_ci_u32_e32 v25, vcc_lo, s7, v25, vcc_lo
	v_lshlrev_b64 v[26:27], 1, v[26:27]
	v_add_co_u32 v31, vcc_lo, s12, v22
	v_lshlrev_b64 v[17:18], 1, v[17:18]
	v_add_co_ci_u32_e32 v32, vcc_lo, s13, v23, vcc_lo
	s_delay_alu instid0(VALU_DEP_4) | instskip(SKIP_1) | instid1(VALU_DEP_4)
	v_add_co_u32 v26, vcc_lo, s12, v26
	v_add_co_ci_u32_e32 v27, vcc_lo, s13, v27, vcc_lo
	v_add_co_u32 v33, vcc_lo, s12, v17
	v_add_co_ci_u32_e32 v34, vcc_lo, s13, v18, vcc_lo
	s_clause 0x1
	global_load_u16 v23, v[29:30], off
	global_load_u16 v18, v[24:25], off
	s_clause 0x2
	global_load_u16 v22, v[31:32], off
	global_load_u16 v17, v[26:27], off
	global_load_d16_hi_b16 v21, v[33:34], off
.LBB45_5:                               ;   in Loop: Header=BB45_3 Depth=1
	s_waitcnt vmcnt(6)
	v_lshlrev_b32_e32 v19, 16, v19
	s_waitcnt vmcnt(4)
	v_lshlrev_b32_e32 v23, 16, v23
	;; [unrolled: 2-line block ×3, first 2 shown]
	s_waitcnt vmcnt(1)
	s_delay_alu instid0(VALU_DEP_1) | instskip(NEXT) | instid1(VALU_DEP_1)
	v_dual_add_f32 v19, v19, v20 :: v_dual_lshlrev_b32 v14, 16, v14
	v_dual_add_f32 v19, v19, v23 :: v_dual_lshlrev_b32 v20, 16, v22
	s_delay_alu instid0(VALU_DEP_1) | instskip(NEXT) | instid1(VALU_DEP_1)
	v_add_f32_e32 v19, v19, v20
	v_mul_f32_e32 v20, 0xbfb8aa3b, v19
	s_delay_alu instid0(VALU_DEP_1) | instskip(SKIP_1) | instid1(VALU_DEP_1)
	v_fma_f32 v22, 0xbfb8aa3b, v19, -v20
	v_rndne_f32_e32 v23, v20
	v_sub_f32_e32 v20, v20, v23
	s_delay_alu instid0(VALU_DEP_3) | instskip(SKIP_1) | instid1(VALU_DEP_2)
	v_fmac_f32_e32 v22, 0xb2a5705f, v19
	v_cmp_nlt_f32_e32 vcc_lo, 0x42ce8ed0, v19
	v_add_f32_e32 v20, v20, v22
	v_cvt_i32_f32_e32 v22, v23
	s_delay_alu instid0(VALU_DEP_2) | instskip(SKIP_2) | instid1(VALU_DEP_1)
	v_exp_f32_e32 v20, v20
	s_waitcnt_depctr 0xfff
	v_ldexp_f32 v20, v20, v22
	v_cndmask_b32_e32 v20, 0, v20, vcc_lo
	v_cmp_ngt_f32_e32 vcc_lo, 0xc2b17218, v19
	s_delay_alu instid0(VALU_DEP_2) | instskip(NEXT) | instid1(VALU_DEP_1)
	v_cndmask_b32_e32 v19, 0x7f800000, v20, vcc_lo
	v_add_f32_e32 v19, 1.0, v19
	s_delay_alu instid0(VALU_DEP_1) | instskip(SKIP_1) | instid1(VALU_DEP_2)
	v_div_scale_f32 v20, null, v19, v19, 1.0
	v_div_scale_f32 v24, vcc_lo, 1.0, v19, 1.0
	v_rcp_f32_e32 v22, v20
	s_waitcnt_depctr 0xfff
	v_fma_f32 v23, -v20, v22, 1.0
	s_delay_alu instid0(VALU_DEP_1) | instskip(NEXT) | instid1(VALU_DEP_1)
	v_fmac_f32_e32 v22, v23, v22
	v_mul_f32_e32 v23, v24, v22
	s_delay_alu instid0(VALU_DEP_1) | instskip(NEXT) | instid1(VALU_DEP_1)
	v_fma_f32 v25, -v20, v23, v24
	v_fmac_f32_e32 v23, v25, v22
	v_lshlrev_b32_e32 v25, 16, v12
	s_delay_alu instid0(VALU_DEP_2) | instskip(SKIP_3) | instid1(VALU_DEP_3)
	v_fma_f32 v12, -v20, v23, v24
	s_waitcnt vmcnt(0)
	v_and_b32_e32 v20, 0xffff0000, v21
	v_lshlrev_b32_e32 v21, 16, v21
	v_div_fmas_f32 v22, v12, v22, v23
	s_delay_alu instid0(VALU_DEP_3) | instskip(NEXT) | instid1(VALU_DEP_2)
	v_add_f32_e32 v12, v14, v20
                                        ; implicit-def: $vgpr20
	v_div_fixup_f32 v14, v22, v19, 1.0
	s_delay_alu instid0(VALU_DEP_4) | instskip(NEXT) | instid1(VALU_DEP_1)
	v_add_f32_e32 v19, v25, v21
	v_fmac_f32_e32 v19, v12, v14
	s_delay_alu instid0(VALU_DEP_1) | instskip(NEXT) | instid1(VALU_DEP_1)
	v_cmp_ngt_f32_e64 s0, 0x3f200000, |v19|
	s_and_saveexec_b32 s1, s0
	s_delay_alu instid0(SALU_CYCLE_1)
	s_xor_b32 s0, exec_lo, s1
	s_cbranch_execz .LBB45_7
; %bb.6:                                ;   in Loop: Header=BB45_3 Depth=1
	v_add_f32_e64 v20, |v19|, |v19|
	s_delay_alu instid0(VALU_DEP_1) | instskip(SKIP_1) | instid1(VALU_DEP_2)
	v_mul_f32_e32 v21, 0x3fb8aa3b, v20
	v_cmp_ngt_f32_e32 vcc_lo, 0xc2ce8ed0, v20
	v_rndne_f32_e32 v22, v21
	v_fma_f32 v23, 0x3fb8aa3b, v20, -v21
	s_delay_alu instid0(VALU_DEP_2) | instskip(NEXT) | instid1(VALU_DEP_2)
	v_sub_f32_e32 v21, v21, v22
	v_fmac_f32_e32 v23, 0x32a5705f, v20
	v_cvt_i32_f32_e32 v22, v22
	s_delay_alu instid0(VALU_DEP_2) | instskip(NEXT) | instid1(VALU_DEP_1)
	v_add_f32_e32 v21, v21, v23
	v_exp_f32_e32 v21, v21
	s_waitcnt_depctr 0xfff
	v_ldexp_f32 v21, v21, v22
	s_delay_alu instid0(VALU_DEP_1) | instskip(SKIP_1) | instid1(VALU_DEP_2)
	v_cndmask_b32_e32 v21, 0, v21, vcc_lo
	v_cmp_nlt_f32_e32 vcc_lo, 0x42b17218, v20
	v_cndmask_b32_e32 v20, 0x7f800000, v21, vcc_lo
	s_delay_alu instid0(VALU_DEP_1) | instskip(NEXT) | instid1(VALU_DEP_1)
	v_add_f32_e32 v20, 1.0, v20
	v_rcp_f32_e32 v20, v20
	s_waitcnt_depctr 0xfff
	v_fma_f32 v20, v20, -2.0, 1.0
.LBB45_7:                               ;   in Loop: Header=BB45_3 Depth=1
	s_and_not1_saveexec_b32 s0, s0
	s_cbranch_execz .LBB45_2
; %bb.8:                                ;   in Loop: Header=BB45_3 Depth=1
	v_mul_f32_e32 v20, v19, v19
	s_delay_alu instid0(VALU_DEP_1) | instskip(NEXT) | instid1(VALU_DEP_1)
	v_fmaak_f32 v21, s55, v20, 0x3ca908c9
	v_fmaak_f32 v21, v20, v21, 0xbd5c1c4e
	s_delay_alu instid0(VALU_DEP_1) | instskip(NEXT) | instid1(VALU_DEP_1)
	v_fmaak_f32 v21, v20, v21, 0x3e088382
	v_fmaak_f32 v21, v20, v21, 0xbeaaaa99
	s_delay_alu instid0(VALU_DEP_1) | instskip(NEXT) | instid1(VALU_DEP_1)
	v_mul_f32_e64 v21, |v19|, v21
	v_fma_f32 v20, v20, v21, |v19|
	s_branch .LBB45_2
.LBB45_9:
	s_nop 0
	s_sendmsg sendmsg(MSG_DEALLOC_VGPRS)
	s_endpgm
	.section	.rodata,"a",@progbits
	.p2align	6, 0x0
	.amdhsa_kernel _ZN2at6native12_GLOBAL__N_16kernel16gru_cell_forwardIN3c108BFloat16EfiLi2EEEvNS_4cuda6detail10TensorInfoIT_T1_EESB_SB_SB_SB_SB_SB_SA_SA_
		.amdhsa_group_segment_fixed_size 0
		.amdhsa_private_segment_fixed_size 0
		.amdhsa_kernarg_size 1776
		.amdhsa_user_sgpr_count 15
		.amdhsa_user_sgpr_dispatch_ptr 0
		.amdhsa_user_sgpr_queue_ptr 0
		.amdhsa_user_sgpr_kernarg_segment_ptr 1
		.amdhsa_user_sgpr_dispatch_id 0
		.amdhsa_user_sgpr_private_segment_size 0
		.amdhsa_wavefront_size32 1
		.amdhsa_uses_dynamic_stack 0
		.amdhsa_enable_private_segment 0
		.amdhsa_system_sgpr_workgroup_id_x 1
		.amdhsa_system_sgpr_workgroup_id_y 0
		.amdhsa_system_sgpr_workgroup_id_z 0
		.amdhsa_system_sgpr_workgroup_info 0
		.amdhsa_system_vgpr_workitem_id 0
		.amdhsa_next_free_vgpr 44
		.amdhsa_next_free_sgpr 56
		.amdhsa_reserve_vcc 1
		.amdhsa_float_round_mode_32 0
		.amdhsa_float_round_mode_16_64 0
		.amdhsa_float_denorm_mode_32 3
		.amdhsa_float_denorm_mode_16_64 3
		.amdhsa_dx10_clamp 1
		.amdhsa_ieee_mode 1
		.amdhsa_fp16_overflow 0
		.amdhsa_workgroup_processor_mode 1
		.amdhsa_memory_ordered 1
		.amdhsa_forward_progress 0
		.amdhsa_shared_vgpr_count 0
		.amdhsa_exception_fp_ieee_invalid_op 0
		.amdhsa_exception_fp_denorm_src 0
		.amdhsa_exception_fp_ieee_div_zero 0
		.amdhsa_exception_fp_ieee_overflow 0
		.amdhsa_exception_fp_ieee_underflow 0
		.amdhsa_exception_fp_ieee_inexact 0
		.amdhsa_exception_int_div_zero 0
	.end_amdhsa_kernel
	.section	.text._ZN2at6native12_GLOBAL__N_16kernel16gru_cell_forwardIN3c108BFloat16EfiLi2EEEvNS_4cuda6detail10TensorInfoIT_T1_EESB_SB_SB_SB_SB_SB_SA_SA_,"axG",@progbits,_ZN2at6native12_GLOBAL__N_16kernel16gru_cell_forwardIN3c108BFloat16EfiLi2EEEvNS_4cuda6detail10TensorInfoIT_T1_EESB_SB_SB_SB_SB_SB_SA_SA_,comdat
.Lfunc_end45:
	.size	_ZN2at6native12_GLOBAL__N_16kernel16gru_cell_forwardIN3c108BFloat16EfiLi2EEEvNS_4cuda6detail10TensorInfoIT_T1_EESB_SB_SB_SB_SB_SB_SA_SA_, .Lfunc_end45-_ZN2at6native12_GLOBAL__N_16kernel16gru_cell_forwardIN3c108BFloat16EfiLi2EEEvNS_4cuda6detail10TensorInfoIT_T1_EESB_SB_SB_SB_SB_SB_SA_SA_
                                        ; -- End function
	.section	.AMDGPU.csdata,"",@progbits
; Kernel info:
; codeLenInByte = 4264
; NumSgprs: 58
; NumVgprs: 44
; ScratchSize: 0
; MemoryBound: 0
; FloatMode: 240
; IeeeMode: 1
; LDSByteSize: 0 bytes/workgroup (compile time only)
; SGPRBlocks: 7
; VGPRBlocks: 5
; NumSGPRsForWavesPerEU: 58
; NumVGPRsForWavesPerEU: 44
; Occupancy: 16
; WaveLimiterHint : 1
; COMPUTE_PGM_RSRC2:SCRATCH_EN: 0
; COMPUTE_PGM_RSRC2:USER_SGPR: 15
; COMPUTE_PGM_RSRC2:TRAP_HANDLER: 0
; COMPUTE_PGM_RSRC2:TGID_X_EN: 1
; COMPUTE_PGM_RSRC2:TGID_Y_EN: 0
; COMPUTE_PGM_RSRC2:TGID_Z_EN: 0
; COMPUTE_PGM_RSRC2:TIDIG_COMP_CNT: 0
	.section	.text._ZN2at6native12_GLOBAL__N_16kernel16gru_cell_forwardIN3c108BFloat16EflLi1EEEvNS_4cuda6detail10TensorInfoIT_T1_EESB_SB_SB_SB_SB_SB_SA_SA_,"axG",@progbits,_ZN2at6native12_GLOBAL__N_16kernel16gru_cell_forwardIN3c108BFloat16EflLi1EEEvNS_4cuda6detail10TensorInfoIT_T1_EESB_SB_SB_SB_SB_SB_SA_SA_,comdat
	.globl	_ZN2at6native12_GLOBAL__N_16kernel16gru_cell_forwardIN3c108BFloat16EflLi1EEEvNS_4cuda6detail10TensorInfoIT_T1_EESB_SB_SB_SB_SB_SB_SA_SA_ ; -- Begin function _ZN2at6native12_GLOBAL__N_16kernel16gru_cell_forwardIN3c108BFloat16EflLi1EEEvNS_4cuda6detail10TensorInfoIT_T1_EESB_SB_SB_SB_SB_SB_SA_SA_
	.p2align	8
	.type	_ZN2at6native12_GLOBAL__N_16kernel16gru_cell_forwardIN3c108BFloat16EflLi1EEEvNS_4cuda6detail10TensorInfoIT_T1_EESB_SB_SB_SB_SB_SB_SA_SA_,@function
_ZN2at6native12_GLOBAL__N_16kernel16gru_cell_forwardIN3c108BFloat16EflLi1EEEvNS_4cuda6detail10TensorInfoIT_T1_EESB_SB_SB_SB_SB_SB_SA_SA_: ; @_ZN2at6native12_GLOBAL__N_16kernel16gru_cell_forwardIN3c108BFloat16EflLi1EEEvNS_4cuda6detail10TensorInfoIT_T1_EESB_SB_SB_SB_SB_SB_SA_SA_
; %bb.0:
	s_clause 0x1
	s_load_b32 s2, s[0:1], 0xb7c
	s_load_b128 s[4:7], s[0:1], 0xb60
	v_mov_b32_e32 v1, 0
	s_add_u32 s8, s0, 0xb70
	s_addc_u32 s9, s1, 0
	s_waitcnt lgkmcnt(0)
	s_and_b32 s26, s2, 0xffff
	s_mov_b32 s2, exec_lo
	v_mad_u64_u32 v[3:4], null, s15, s26, v[0:1]
	v_mov_b32_e32 v4, v1
	s_delay_alu instid0(VALU_DEP_1)
	v_cmpx_gt_i64_e64 s[6:7], v[3:4]
	s_cbranch_execz .LBB46_14
; %bb.1:
	s_clause 0x2
	s_load_b64 s[30:31], s[0:1], 0x750
	s_load_b64 s[34:35], s[0:1], 0x680
	s_load_b64 s[2:3], s[0:1], 0x340
	s_load_b32 s27, s[8:9], 0x0
	s_clause 0x5
	s_load_b64 s[36:37], s[0:1], 0x8f0
	s_load_b64 s[38:39], s[0:1], 0x820
	;; [unrolled: 1-line block ×6, first 2 shown]
	v_cvt_f32_u32_e32 v0, s4
	s_clause 0x4
	s_load_b64 s[16:17], s[0:1], 0x410
	s_load_b64 s[18:19], s[0:1], 0x4e0
	;; [unrolled: 1-line block ×5, first 2 shown]
	s_mov_b32 s1, 0
	v_rcp_iflag_f32_e32 v0, v0
	s_waitcnt lgkmcnt(0)
	v_mul_lo_u32 v2, 0, s30
	v_mul_lo_u32 v7, v3, s31
	v_mad_u64_u32 v[5:6], null, v3, s30, 0
	v_mul_lo_u32 v9, 0, s36
	s_waitcnt_depctr 0xfff
	v_mul_f32_e32 v0, 0x4f7ffffe, v0
	s_cmp_lg_u64 s[2:3], 0
	s_mul_i32 s33, s27, s26
	s_cselect_b32 s40, -1, 0
	s_lshl_b64 s[26:27], s[4:5], 1
	v_add3_u32 v6, v6, v7, v2
	v_mul_lo_u32 v2, v3, s37
	v_mad_u64_u32 v[7:8], null, v3, s36, 0
	v_cvt_u32_f32_e32 v0, v0
	s_lshl_b64 s[28:29], s[4:5], 2
	s_sub_u32 s41, 0, s4
	s_subb_u32 s42, 0, s5
	s_sub_i32 s43, 0, s4
	v_lshlrev_b64 v[5:6], 1, v[5:6]
	s_delay_alu instid0(VALU_DEP_3)
	v_add3_u32 v8, v8, v2, v9
	v_mul_lo_u32 v2, s43, v0
	s_mul_i32 s0, s33, s31
	s_mul_hi_u32 s31, s33, s30
	s_mul_i32 s30, s33, s30
	v_lshlrev_b64 v[7:8], 1, v[7:8]
	v_add_co_u32 v5, vcc_lo, s34, v5
	v_add_co_ci_u32_e32 v6, vcc_lo, s35, v6, vcc_lo
	s_delay_alu instid0(VALU_DEP_4) | instskip(NEXT) | instid1(VALU_DEP_4)
	v_mul_hi_u32 v2, v0, v2
	v_add_co_u32 v7, vcc_lo, s38, v7
	s_add_i32 s31, s31, s0
	s_mul_i32 s0, s33, s37
	s_mul_hi_u32 s34, s33, s36
	v_add_co_ci_u32_e32 v8, vcc_lo, s39, v8, vcc_lo
	s_delay_alu instid0(VALU_DEP_3)
	v_add_nc_u32_e32 v0, v0, v2
	s_add_i32 s35, s34, s0
	s_mul_i32 s34, s33, s36
	s_lshl_b64 s[30:31], s[30:31], 1
	s_lshl_b64 s[34:35], s[34:35], 1
	s_ashr_i32 s36, s5, 31
	s_mov_b32 s43, 0xbbbac73d
	s_branch .LBB46_3
.LBB46_2:                               ;   in Loop: Header=BB46_3 Depth=1
	s_or_b32 exec_lo, exec_lo, s0
	v_lshlrev_b32_e32 v11, 16, v11
	v_lshlrev_b32_e32 v18, 16, v19
	;; [unrolled: 1-line block ×3, first 2 shown]
	s_waitcnt_depctr 0xfff
	v_bfi_b32 v23, 0x7fffffff, v16, v15
	v_lshlrev_b32_e32 v15, 16, v2
	v_mul_lo_u32 v19, s28, v10
	v_mul_lo_u32 v20, s29, v9
	v_dual_add_f32 v11, v11, v12 :: v_dual_lshlrev_b32 v12, 16, v17
	s_delay_alu instid0(VALU_DEP_4) | instskip(SKIP_2) | instid1(VALU_DEP_4)
	v_sub_f32_e32 v25, v15, v23
	v_bfe_u32 v22, v14, 16, 1
	v_bfe_u32 v24, v13, 16, 1
	v_add_f32_e32 v11, v11, v18
	v_cmp_o_f32_e64 s0, v23, v23
	s_delay_alu instid0(VALU_DEP_4) | instskip(NEXT) | instid1(VALU_DEP_4)
	v_add3_u32 v15, v14, v22, 0x7fff
	v_add3_u32 v24, v13, v24, 0x7fff
	s_delay_alu instid0(VALU_DEP_4) | instskip(SKIP_2) | instid1(VALU_DEP_4)
	v_add_f32_e32 v17, v11, v12
	v_mad_u64_u32 v[11:12], null, s28, v9, v[3:4]
	v_lshlrev_b64 v[9:10], 2, v[9:10]
	v_lshrrev_b32_e32 v24, 16, v24
	s_delay_alu instid0(VALU_DEP_4) | instskip(SKIP_1) | instid1(VALU_DEP_4)
	v_mul_f32_e32 v18, 0xbfb8aa3b, v17
	v_bfe_u32 v22, v23, 16, 1
	v_add_co_u32 v29, vcc_lo, v9, 4
	s_delay_alu instid0(VALU_DEP_3) | instskip(SKIP_4) | instid1(VALU_DEP_4)
	v_fma_f32 v16, 0xbfb8aa3b, v17, -v18
	v_rndne_f32_e32 v21, v18
	v_add_co_ci_u32_e32 v30, vcc_lo, 0, v10, vcc_lo
	v_mul_lo_u32 v26, s4, v10
	v_or_b32_e32 v27, 2, v9
	v_sub_f32_e32 v18, v18, v21
	v_fmac_f32_e32 v16, 0xb2a5705f, v17
	v_cmp_nlt_f32_e32 vcc_lo, 0x42ce8ed0, v17
	v_cvt_i32_f32_e32 v21, v21
	v_or_b32_e32 v28, 3, v9
	v_mul_lo_u32 v32, v11, s25
	v_add_f32_e32 v16, v18, v16
	v_or_b32_e32 v18, 1, v9
	v_mad_u64_u32 v[9:10], null, v11, s24, 0
	v_add3_u32 v31, v20, v12, v19
	s_delay_alu instid0(VALU_DEP_4) | instskip(NEXT) | instid1(VALU_DEP_3)
	v_exp_f32_e32 v16, v16
	v_mul_lo_u32 v33, s5, v18
	v_mul_lo_u32 v34, s5, v27
	;; [unrolled: 1-line block ×3, first 2 shown]
	v_mad_u64_u32 v[19:20], null, s4, v29, v[3:4]
	v_mul_lo_u32 v29, v31, s24
	v_add3_u32 v22, v23, v22, 0x7fff
	s_delay_alu instid0(TRANS32_DEP_1) | instskip(SKIP_1) | instid1(VALU_DEP_3)
	v_ldexp_f32 v11, v16, v21
	v_lshrrev_b32_e32 v21, 16, v15
	v_lshrrev_b32_e32 v38, 16, v22
	v_add3_u32 v10, v10, v32, v29
	s_delay_alu instid0(VALU_DEP_4) | instskip(SKIP_2) | instid1(VALU_DEP_4)
	v_cndmask_b32_e32 v15, 0, v11, vcc_lo
	v_cmp_ngt_f32_e32 vcc_lo, 0xc2b17218, v17
	v_mad_u64_u32 v[11:12], null, s4, v18, v[3:4]
	v_lshlrev_b64 v[9:10], 1, v[9:10]
	s_delay_alu instid0(VALU_DEP_4)
	v_cndmask_b32_e32 v17, 0x7f800000, v15, vcc_lo
	v_cmp_o_f32_e32 vcc_lo, v14, v14
	v_mad_u64_u32 v[15:16], null, s4, v27, v[3:4]
	v_mul_lo_u32 v27, s5, v28
	v_add3_u32 v33, v33, v12, v26
	v_cndmask_b32_e32 v37, 0x7fc0, v21, vcc_lo
	v_cmp_o_f32_e32 vcc_lo, v13, v13
	v_add_f32_e32 v35, 1.0, v17
	v_mad_u64_u32 v[17:18], null, s4, v28, v[3:4]
	v_mul_lo_u32 v28, s4, v30
	v_cndmask_b32_e32 v24, 0x7fc0, v24, vcc_lo
	s_delay_alu instid0(VALU_DEP_4) | instskip(SKIP_2) | instid1(VALU_DEP_3)
	v_div_scale_f32 v30, null, v35, v35, 1.0
	v_mul_lo_u32 v39, v11, s25
	v_mad_u64_u32 v[12:13], null, v11, s24, 0
	v_rcp_f32_e32 v31, v30
	v_div_scale_f32 v41, vcc_lo, 1.0, v35, 1.0
	v_add3_u32 v34, v34, v16, v26
	v_add3_u32 v20, v36, v20, v28
	v_mul_lo_u32 v40, v15, s25
	v_mad_u64_u32 v[21:22], null, v15, s24, 0
	v_mad_u64_u32 v[14:15], null, v17, s24, 0
	s_delay_alu instid0(TRANS32_DEP_1) | instskip(SKIP_2) | instid1(VALU_DEP_3)
	v_fma_f32 v11, -v30, v31, 1.0
	v_mul_lo_u32 v20, v20, s24
	v_cndmask_b32_e64 v36, 0x7fc0, v38, s0
	v_fmac_f32_e32 v31, v11, v31
	v_add3_u32 v11, v27, v18, v26
	v_mul_lo_u32 v18, v17, s25
	v_mul_lo_u32 v27, v19, s25
	v_mad_u64_u32 v[16:17], null, v19, s24, 0
	v_mul_f32_e32 v26, v41, v31
	v_mul_lo_u32 v19, v33, s24
	v_mul_lo_u32 v11, v11, s24
	s_delay_alu instid0(VALU_DEP_3) | instskip(SKIP_1) | instid1(VALU_DEP_4)
	v_fma_f32 v28, -v30, v26, v41
	v_add3_u32 v17, v17, v27, v20
	v_add3_u32 v13, v13, v39, v19
	s_delay_alu instid0(VALU_DEP_3) | instskip(SKIP_2) | instid1(VALU_DEP_4)
	v_fmac_f32_e32 v26, v28, v31
	v_mul_lo_u32 v28, v34, s24
	v_add3_u32 v15, v15, v18, v11
	v_lshlrev_b64 v[11:12], 1, v[12:13]
	s_delay_alu instid0(VALU_DEP_4) | instskip(NEXT) | instid1(VALU_DEP_3)
	v_fma_f32 v29, -v30, v26, v41
	v_lshlrev_b64 v[13:14], 1, v[14:15]
	v_lshlrev_b64 v[15:16], 1, v[16:17]
	v_add3_u32 v22, v22, v40, v28
	s_delay_alu instid0(VALU_DEP_4) | instskip(SKIP_2) | instid1(VALU_DEP_3)
	v_div_fmas_f32 v26, v29, v31, v26
	v_add_co_u32 v9, vcc_lo, s22, v9
	v_add_co_ci_u32_e32 v10, vcc_lo, s23, v10, vcc_lo
	v_div_fixup_f32 v26, v26, v35, 1.0
	v_lshlrev_b64 v[18:19], 1, v[21:22]
	v_add_co_u32 v11, vcc_lo, s22, v11
	v_add_co_ci_u32_e32 v12, vcc_lo, s23, v12, vcc_lo
	s_delay_alu instid0(VALU_DEP_4) | instskip(SKIP_1) | instid1(VALU_DEP_2)
	v_bfe_u32 v17, v26, 16, 1
	v_fma_f32 v20, v26, v25, v23
	v_add3_u32 v22, v26, v17, 0x7fff
	v_add_co_u32 v17, vcc_lo, s22, v18
	s_delay_alu instid0(VALU_DEP_3) | instskip(SKIP_3) | instid1(VALU_DEP_4)
	v_bfe_u32 v21, v20, 16, 1
	v_add_co_ci_u32_e32 v18, vcc_lo, s23, v19, vcc_lo
	v_add_co_u32 v13, vcc_lo, s22, v13
	v_add_co_ci_u32_e32 v14, vcc_lo, s23, v14, vcc_lo
	v_add3_u32 v21, v20, v21, 0x7fff
	v_lshrrev_b32_e32 v19, 16, v22
	v_cmp_o_f32_e32 vcc_lo, v26, v26
	s_delay_alu instid0(VALU_DEP_3) | instskip(NEXT) | instid1(VALU_DEP_3)
	v_lshrrev_b32_e32 v21, 16, v21
	v_cndmask_b32_e32 v19, 0x7fc0, v19, vcc_lo
	v_cmp_o_f32_e32 vcc_lo, v20, v20
	s_delay_alu instid0(VALU_DEP_3)
	v_cndmask_b32_e32 v20, 0x7fc0, v21, vcc_lo
	v_add_co_u32 v15, vcc_lo, s22, v15
	v_add_co_ci_u32_e32 v16, vcc_lo, s23, v16, vcc_lo
	v_add_co_u32 v3, vcc_lo, v3, s33
	v_add_co_ci_u32_e32 v4, vcc_lo, 0, v4, vcc_lo
	;; [unrolled: 2-line block ×3, first 2 shown]
	s_delay_alu instid0(VALU_DEP_3)
	v_cmp_le_i64_e32 vcc_lo, s[6:7], v[3:4]
	global_store_b16 v[7:8], v20, off
	s_clause 0x1
	global_store_b16 v[9:10], v37, off
	global_store_b16 v[11:12], v19, off
	v_add_co_u32 v7, s0, v7, s34
	s_delay_alu instid0(VALU_DEP_1)
	v_add_co_ci_u32_e64 v8, s0, s35, v8, s0
	s_or_b32 s1, vcc_lo, s1
	s_clause 0x2
	global_store_b16 v[17:18], v36, off
	global_store_b16 v[13:14], v2, off
	;; [unrolled: 1-line block ×3, first 2 shown]
	s_and_not1_b32 exec_lo, exec_lo, s1
	s_cbranch_execz .LBB46_14
.LBB46_3:                               ; =>This Inner Loop Header: Depth=1
	v_or_b32_e32 v2, s5, v4
                                        ; implicit-def: $vgpr9_vgpr10
	s_mov_b32 s0, exec_lo
	s_delay_alu instid0(VALU_DEP_1)
	v_cmpx_ne_u64_e32 0, v[1:2]
	s_xor_b32 s44, exec_lo, s0
	s_cbranch_execz .LBB46_5
; %bb.4:                                ;   in Loop: Header=BB46_3 Depth=1
	s_add_u32 s38, s4, s36
	s_mov_b32 s37, s36
	s_addc_u32 s39, s5, s36
	s_delay_alu instid0(SALU_CYCLE_1) | instskip(NEXT) | instid1(SALU_CYCLE_1)
	s_xor_b64 s[38:39], s[38:39], s[36:37]
	v_cvt_f32_u32_e32 v2, s38
	v_cvt_f32_u32_e32 v9, s39
	s_sub_u32 s0, 0, s38
	s_subb_u32 s37, 0, s39
	s_delay_alu instid0(VALU_DEP_1) | instskip(NEXT) | instid1(VALU_DEP_1)
	v_fmac_f32_e32 v2, 0x4f800000, v9
	v_rcp_f32_e32 v2, v2
	s_waitcnt_depctr 0xfff
	v_mul_f32_e32 v2, 0x5f7ffffc, v2
	s_delay_alu instid0(VALU_DEP_1) | instskip(NEXT) | instid1(VALU_DEP_1)
	v_mul_f32_e32 v9, 0x2f800000, v2
	v_trunc_f32_e32 v9, v9
	s_delay_alu instid0(VALU_DEP_1) | instskip(SKIP_1) | instid1(VALU_DEP_2)
	v_fmac_f32_e32 v2, 0xcf800000, v9
	v_cvt_u32_f32_e32 v9, v9
	v_cvt_u32_f32_e32 v2, v2
	s_delay_alu instid0(VALU_DEP_2) | instskip(NEXT) | instid1(VALU_DEP_2)
	v_mul_lo_u32 v10, s0, v9
	v_mul_hi_u32 v11, s0, v2
	v_mul_lo_u32 v12, s37, v2
	s_delay_alu instid0(VALU_DEP_2) | instskip(SKIP_1) | instid1(VALU_DEP_2)
	v_add_nc_u32_e32 v10, v11, v10
	v_mul_lo_u32 v11, s0, v2
	v_add_nc_u32_e32 v10, v10, v12
	s_delay_alu instid0(VALU_DEP_2) | instskip(NEXT) | instid1(VALU_DEP_2)
	v_mul_hi_u32 v12, v2, v11
	v_mul_lo_u32 v13, v2, v10
	v_mul_hi_u32 v14, v2, v10
	v_mul_hi_u32 v15, v9, v11
	v_mul_lo_u32 v11, v9, v11
	v_mul_hi_u32 v16, v9, v10
	v_mul_lo_u32 v10, v9, v10
	v_add_co_u32 v12, vcc_lo, v12, v13
	v_add_co_ci_u32_e32 v13, vcc_lo, 0, v14, vcc_lo
	s_delay_alu instid0(VALU_DEP_2) | instskip(NEXT) | instid1(VALU_DEP_2)
	v_add_co_u32 v11, vcc_lo, v12, v11
	v_add_co_ci_u32_e32 v11, vcc_lo, v13, v15, vcc_lo
	v_add_co_ci_u32_e32 v12, vcc_lo, 0, v16, vcc_lo
	v_ashrrev_i32_e32 v15, 31, v4
	s_delay_alu instid0(VALU_DEP_3) | instskip(NEXT) | instid1(VALU_DEP_3)
	v_add_co_u32 v10, vcc_lo, v11, v10
	v_add_co_ci_u32_e32 v11, vcc_lo, 0, v12, vcc_lo
	s_delay_alu instid0(VALU_DEP_2) | instskip(NEXT) | instid1(VALU_DEP_2)
	v_add_co_u32 v2, vcc_lo, v2, v10
	v_add_co_ci_u32_e32 v9, vcc_lo, v9, v11, vcc_lo
	s_delay_alu instid0(VALU_DEP_2) | instskip(SKIP_1) | instid1(VALU_DEP_3)
	v_mul_hi_u32 v10, s0, v2
	v_mul_lo_u32 v12, s37, v2
	v_mul_lo_u32 v11, s0, v9
	s_delay_alu instid0(VALU_DEP_1) | instskip(SKIP_1) | instid1(VALU_DEP_2)
	v_add_nc_u32_e32 v10, v10, v11
	v_mul_lo_u32 v11, s0, v2
	v_add_nc_u32_e32 v10, v10, v12
	s_delay_alu instid0(VALU_DEP_2) | instskip(NEXT) | instid1(VALU_DEP_2)
	v_mul_hi_u32 v12, v2, v11
	v_mul_lo_u32 v13, v2, v10
	v_mul_hi_u32 v14, v2, v10
	v_mul_hi_u32 v16, v9, v11
	v_mul_lo_u32 v11, v9, v11
	v_mul_hi_u32 v17, v9, v10
	v_mul_lo_u32 v10, v9, v10
	v_add_co_u32 v12, vcc_lo, v12, v13
	v_add_co_ci_u32_e32 v13, vcc_lo, 0, v14, vcc_lo
	s_delay_alu instid0(VALU_DEP_2) | instskip(NEXT) | instid1(VALU_DEP_2)
	v_add_co_u32 v11, vcc_lo, v12, v11
	v_add_co_ci_u32_e32 v11, vcc_lo, v13, v16, vcc_lo
	v_add_co_ci_u32_e32 v12, vcc_lo, 0, v17, vcc_lo
	v_add_co_u32 v13, vcc_lo, v3, v15
	v_add_co_ci_u32_e32 v14, vcc_lo, v4, v15, vcc_lo
	s_delay_alu instid0(VALU_DEP_4) | instskip(NEXT) | instid1(VALU_DEP_4)
	v_add_co_u32 v10, vcc_lo, v11, v10
	v_add_co_ci_u32_e32 v11, vcc_lo, 0, v12, vcc_lo
	s_delay_alu instid0(VALU_DEP_4) | instskip(NEXT) | instid1(VALU_DEP_3)
	v_xor_b32_e32 v16, v13, v15
	v_add_co_u32 v2, vcc_lo, v2, v10
	s_delay_alu instid0(VALU_DEP_3) | instskip(SKIP_1) | instid1(VALU_DEP_3)
	v_add_co_ci_u32_e32 v17, vcc_lo, v9, v11, vcc_lo
	v_xor_b32_e32 v18, v14, v15
	v_mul_hi_u32 v19, v16, v2
	s_delay_alu instid0(VALU_DEP_3) | instskip(NEXT) | instid1(VALU_DEP_3)
	v_mad_u64_u32 v[9:10], null, v16, v17, 0
	v_mad_u64_u32 v[11:12], null, v18, v2, 0
	;; [unrolled: 1-line block ×3, first 2 shown]
	s_delay_alu instid0(VALU_DEP_3) | instskip(NEXT) | instid1(VALU_DEP_4)
	v_add_co_u32 v2, vcc_lo, v19, v9
	v_add_co_ci_u32_e32 v9, vcc_lo, 0, v10, vcc_lo
	s_delay_alu instid0(VALU_DEP_2) | instskip(NEXT) | instid1(VALU_DEP_2)
	v_add_co_u32 v2, vcc_lo, v2, v11
	v_add_co_ci_u32_e32 v2, vcc_lo, v9, v12, vcc_lo
	v_add_co_ci_u32_e32 v9, vcc_lo, 0, v14, vcc_lo
	s_delay_alu instid0(VALU_DEP_2) | instskip(NEXT) | instid1(VALU_DEP_2)
	v_add_co_u32 v2, vcc_lo, v2, v13
	v_add_co_ci_u32_e32 v11, vcc_lo, 0, v9, vcc_lo
	s_delay_alu instid0(VALU_DEP_2) | instskip(SKIP_1) | instid1(VALU_DEP_3)
	v_mul_lo_u32 v12, s39, v2
	v_mad_u64_u32 v[9:10], null, s38, v2, 0
	v_mul_lo_u32 v13, s38, v11
	s_delay_alu instid0(VALU_DEP_2) | instskip(NEXT) | instid1(VALU_DEP_2)
	v_sub_co_u32 v9, vcc_lo, v16, v9
	v_add3_u32 v10, v10, v13, v12
	s_delay_alu instid0(VALU_DEP_1) | instskip(NEXT) | instid1(VALU_DEP_1)
	v_sub_nc_u32_e32 v12, v18, v10
	v_subrev_co_ci_u32_e64 v12, s0, s39, v12, vcc_lo
	v_add_co_u32 v13, s0, v2, 2
	s_delay_alu instid0(VALU_DEP_1) | instskip(SKIP_3) | instid1(VALU_DEP_3)
	v_add_co_ci_u32_e64 v14, s0, 0, v11, s0
	v_sub_co_u32 v16, s0, v9, s38
	v_sub_co_ci_u32_e32 v10, vcc_lo, v18, v10, vcc_lo
	v_subrev_co_ci_u32_e64 v12, s0, 0, v12, s0
	v_cmp_le_u32_e32 vcc_lo, s38, v16
	s_delay_alu instid0(VALU_DEP_3) | instskip(SKIP_1) | instid1(VALU_DEP_4)
	v_cmp_eq_u32_e64 s0, s39, v10
	v_cndmask_b32_e64 v16, 0, -1, vcc_lo
	v_cmp_le_u32_e32 vcc_lo, s39, v12
	v_cndmask_b32_e64 v17, 0, -1, vcc_lo
	v_cmp_le_u32_e32 vcc_lo, s38, v9
	;; [unrolled: 2-line block ×3, first 2 shown]
	v_cndmask_b32_e64 v18, 0, -1, vcc_lo
	v_cmp_eq_u32_e32 vcc_lo, s39, v12
	s_delay_alu instid0(VALU_DEP_2) | instskip(SKIP_3) | instid1(VALU_DEP_3)
	v_cndmask_b32_e64 v9, v18, v9, s0
	v_cndmask_b32_e32 v12, v17, v16, vcc_lo
	v_add_co_u32 v16, vcc_lo, v2, 1
	v_add_co_ci_u32_e32 v17, vcc_lo, 0, v11, vcc_lo
	v_cmp_ne_u32_e32 vcc_lo, 0, v12
	s_delay_alu instid0(VALU_DEP_2) | instskip(NEXT) | instid1(VALU_DEP_4)
	v_cndmask_b32_e32 v10, v17, v14, vcc_lo
	v_cndmask_b32_e32 v12, v16, v13, vcc_lo
	v_cmp_ne_u32_e32 vcc_lo, 0, v9
	v_xor_b32_e32 v13, s36, v15
	s_delay_alu instid0(VALU_DEP_3) | instskip(NEXT) | instid1(VALU_DEP_1)
	v_dual_cndmask_b32 v2, v2, v12 :: v_dual_cndmask_b32 v9, v11, v10
	v_xor_b32_e32 v2, v2, v13
	s_delay_alu instid0(VALU_DEP_2) | instskip(NEXT) | instid1(VALU_DEP_2)
	v_xor_b32_e32 v10, v9, v13
	v_sub_co_u32 v9, vcc_lo, v2, v13
	s_delay_alu instid0(VALU_DEP_2)
	v_sub_co_ci_u32_e32 v10, vcc_lo, v10, v13, vcc_lo
.LBB46_5:                               ;   in Loop: Header=BB46_3 Depth=1
	s_and_not1_saveexec_b32 s0, s44
; %bb.6:                                ;   in Loop: Header=BB46_3 Depth=1
	v_mul_hi_u32 v2, v3, v0
	s_delay_alu instid0(VALU_DEP_1) | instskip(NEXT) | instid1(VALU_DEP_1)
	v_mul_lo_u32 v9, v2, s4
	v_sub_nc_u32_e32 v9, v3, v9
	s_delay_alu instid0(VALU_DEP_1) | instskip(SKIP_1) | instid1(VALU_DEP_2)
	v_subrev_nc_u32_e32 v11, s4, v9
	v_cmp_le_u32_e32 vcc_lo, s4, v9
	v_dual_cndmask_b32 v9, v9, v11 :: v_dual_add_nc_u32 v10, 1, v2
	s_delay_alu instid0(VALU_DEP_1) | instskip(NEXT) | instid1(VALU_DEP_2)
	v_cndmask_b32_e32 v2, v2, v10, vcc_lo
	v_cmp_le_u32_e32 vcc_lo, s4, v9
	s_delay_alu instid0(VALU_DEP_2) | instskip(NEXT) | instid1(VALU_DEP_1)
	v_add_nc_u32_e32 v10, 1, v2
	v_dual_cndmask_b32 v9, v2, v10 :: v_dual_mov_b32 v10, v1
; %bb.7:                                ;   in Loop: Header=BB46_3 Depth=1
	s_or_b32 exec_lo, exec_lo, s0
	s_delay_alu instid0(VALU_DEP_1) | instskip(SKIP_3) | instid1(VALU_DEP_4)
	v_lshlrev_b64 v[13:14], 1, v[9:10]
	v_mad_u64_u32 v[11:12], null, s26, v9, v[3:4]
	v_mul_lo_u32 v2, s26, v10
	v_mul_lo_u32 v15, s27, v9
	v_or_b32_e32 v17, 1, v13
	v_mul_lo_u32 v18, s4, v14
	v_add_co_u32 v21, vcc_lo, v13, 2
	v_mul_lo_u32 v19, v11, s11
	s_delay_alu instid0(VALU_DEP_4) | instskip(SKIP_3) | instid1(VALU_DEP_3)
	v_mul_lo_u32 v20, s5, v17
	v_add3_u32 v2, v15, v12, v2
	v_mad_u64_u32 v[15:16], null, s4, v17, v[3:4]
	v_mad_u64_u32 v[12:13], null, v11, s10, 0
	v_mul_lo_u32 v22, v2, s10
	v_add_co_ci_u32_e32 v14, vcc_lo, 0, v14, vcc_lo
	v_mul_lo_u32 v26, v11, s15
	v_add3_u32 v23, v20, v16, v18
	v_mul_lo_u32 v20, s5, v21
	s_delay_alu instid0(VALU_DEP_4)
	v_mul_lo_u32 v14, s4, v14
	v_mad_u64_u32 v[16:17], null, s4, v21, v[3:4]
	v_add3_u32 v13, v13, v19, v22
	v_mul_lo_u32 v21, v23, s10
	v_mul_lo_u32 v22, v15, s11
	v_mad_u64_u32 v[18:19], null, v15, s10, 0
	v_mul_lo_u32 v2, v2, s14
	v_add3_u32 v25, v20, v17, v14
	v_mul_lo_u32 v24, v16, s11
	v_lshlrev_b64 v[12:13], 1, v[12:13]
	v_mul_lo_u32 v27, v15, s15
	v_mul_lo_u32 v28, v16, s15
	v_add3_u32 v19, v19, v22, v21
	v_mul_lo_u32 v14, v25, s10
	v_mad_u64_u32 v[21:22], null, v11, s14, 0
	v_mul_lo_u32 v11, v23, s14
	s_delay_alu instid0(VALU_DEP_4)
	v_lshlrev_b64 v[17:18], 1, v[18:19]
	v_mad_u64_u32 v[19:20], null, v16, s10, 0
	v_add_co_u32 v12, vcc_lo, s8, v12
	v_add3_u32 v22, v22, v26, v2
	v_mul_lo_u32 v2, v25, s14
	v_add_co_ci_u32_e32 v13, vcc_lo, s9, v13, vcc_lo
	v_add3_u32 v20, v20, v24, v14
	v_mad_u64_u32 v[23:24], null, v15, s14, 0
	v_add_co_u32 v17, vcc_lo, s8, v17
	s_delay_alu instid0(VALU_DEP_3)
	v_lshlrev_b64 v[14:15], 1, v[19:20]
	v_mad_u64_u32 v[19:20], null, v16, s14, 0
	v_add_co_ci_u32_e32 v18, vcc_lo, s9, v18, vcc_lo
	v_add3_u32 v24, v24, v27, v11
	v_lshlrev_b64 v[21:22], 1, v[21:22]
	v_add_co_u32 v25, vcc_lo, s8, v14
	v_add3_u32 v20, v20, v28, v2
	v_add_co_ci_u32_e32 v26, vcc_lo, s9, v15, vcc_lo
	v_lshlrev_b64 v[14:15], 1, v[23:24]
	v_add_co_u32 v21, vcc_lo, s12, v21
	s_delay_alu instid0(VALU_DEP_4) | instskip(SKIP_1) | instid1(VALU_DEP_4)
	v_lshlrev_b64 v[19:20], 1, v[19:20]
	v_add_co_ci_u32_e32 v22, vcc_lo, s13, v22, vcc_lo
	v_add_co_u32 v23, vcc_lo, s12, v14
	v_add_co_ci_u32_e32 v24, vcc_lo, s13, v15, vcc_lo
	s_delay_alu instid0(VALU_DEP_4)
	v_add_co_u32 v19, vcc_lo, s12, v19
	v_add_co_ci_u32_e32 v20, vcc_lo, s13, v20, vcc_lo
	s_clause 0x2
	global_load_u16 v15, v[12:13], off
	global_load_u16 v11, v[17:18], off
	;; [unrolled: 1-line block ×3, first 2 shown]
	s_clause 0x2
	global_load_u16 v16, v[21:22], off
	global_load_u16 v12, v[23:24], off
	;; [unrolled: 1-line block ×4, first 2 shown]
	v_mov_b32_e32 v17, 0
	s_and_not1_b32 vcc_lo, exec_lo, s40
	s_cbranch_vccnz .LBB46_9
; %bb.8:                                ;   in Loop: Header=BB46_3 Depth=1
	v_sub_co_u32 v19, vcc_lo, 2, v9
	v_sub_co_ci_u32_e32 v17, vcc_lo, 0, v10, vcc_lo
	v_mul_lo_u32 v22, s42, v9
	s_delay_alu instid0(VALU_DEP_3) | instskip(NEXT) | instid1(VALU_DEP_3)
	v_mul_lo_u32 v21, s5, v19
	v_mul_lo_u32 v20, s4, v17
	v_mad_u64_u32 v[17:18], null, s4, v19, v[3:4]
	s_delay_alu instid0(VALU_DEP_1) | instskip(NEXT) | instid1(VALU_DEP_2)
	v_add3_u32 v29, v21, v18, v20
	v_mul_lo_u32 v20, v17, s17
	v_mad_u64_u32 v[18:19], null, v17, s16, 0
	s_delay_alu instid0(VALU_DEP_3) | instskip(NEXT) | instid1(VALU_DEP_1)
	v_mul_lo_u32 v21, v29, s16
	v_add3_u32 v19, v19, v20, v21
	v_mul_lo_u32 v21, s41, v10
	s_delay_alu instid0(VALU_DEP_2) | instskip(NEXT) | instid1(VALU_DEP_1)
	v_lshlrev_b64 v[18:19], 1, v[18:19]
	v_add_co_u32 v18, vcc_lo, s2, v18
	s_delay_alu instid0(VALU_DEP_2) | instskip(SKIP_4) | instid1(VALU_DEP_2)
	v_add_co_ci_u32_e32 v19, vcc_lo, s3, v19, vcc_lo
	v_sub_co_u32 v24, vcc_lo, 1, v9
	global_load_u16 v18, v[18:19], off
	v_mad_u64_u32 v[19:20], null, s41, v9, v[3:4]
	v_mul_lo_u32 v30, s5, v24
	v_add3_u32 v25, v22, v20, v21
	v_sub_co_ci_u32_e32 v22, vcc_lo, 0, v10, vcc_lo
	s_delay_alu instid0(VALU_DEP_4) | instskip(SKIP_1) | instid1(VALU_DEP_4)
	v_mul_lo_u32 v26, v19, s17
	v_mad_u64_u32 v[20:21], null, v19, s16, 0
	v_mul_lo_u32 v27, v25, s16
	s_delay_alu instid0(VALU_DEP_4)
	v_mul_lo_u32 v28, s4, v22
	v_mad_u64_u32 v[22:23], null, s4, v24, v[3:4]
	v_mul_lo_u32 v31, v19, s21
	v_mul_lo_u32 v32, v25, s20
	v_add3_u32 v21, v21, v26, v27
	v_mad_u64_u32 v[25:26], null, v19, s20, 0
	v_add3_u32 v27, v30, v23, v28
	v_mul_lo_u32 v30, v22, s17
	v_mad_u64_u32 v[23:24], null, v22, s16, 0
	v_lshlrev_b64 v[20:21], 1, v[20:21]
	s_delay_alu instid0(VALU_DEP_4)
	v_mul_lo_u32 v28, v27, s16
	v_mul_lo_u32 v33, v22, s21
	v_add3_u32 v26, v26, v31, v32
	v_mul_lo_u32 v31, v29, s20
	v_mul_lo_u32 v32, v17, s21
	v_add_co_u32 v19, vcc_lo, s2, v20
	v_add_co_ci_u32_e32 v20, vcc_lo, s3, v21, vcc_lo
	v_add3_u32 v24, v24, v30, v28
	v_mul_lo_u32 v30, v27, s20
	v_mad_u64_u32 v[27:28], null, v22, s20, 0
	v_lshlrev_b64 v[25:26], 1, v[25:26]
	s_delay_alu instid0(VALU_DEP_4) | instskip(SKIP_1) | instid1(VALU_DEP_4)
	v_lshlrev_b64 v[21:22], 1, v[23:24]
	v_mad_u64_u32 v[23:24], null, v17, s20, 0
	v_add3_u32 v28, v28, v33, v30
	s_delay_alu instid0(VALU_DEP_3) | instskip(NEXT) | instid1(VALU_DEP_4)
	v_add_co_u32 v29, vcc_lo, s2, v21
	v_add_co_ci_u32_e32 v30, vcc_lo, s3, v22, vcc_lo
	s_delay_alu instid0(VALU_DEP_4) | instskip(NEXT) | instid1(VALU_DEP_4)
	v_add3_u32 v24, v24, v32, v31
	v_lshlrev_b64 v[21:22], 1, v[27:28]
	v_add_co_u32 v25, vcc_lo, s18, v25
	v_add_co_ci_u32_e32 v26, vcc_lo, s19, v26, vcc_lo
	s_delay_alu instid0(VALU_DEP_4) | instskip(NEXT) | instid1(VALU_DEP_4)
	v_lshlrev_b64 v[23:24], 1, v[23:24]
	v_add_co_u32 v27, vcc_lo, s18, v21
	v_add_co_ci_u32_e32 v28, vcc_lo, s19, v22, vcc_lo
	s_delay_alu instid0(VALU_DEP_3) | instskip(NEXT) | instid1(VALU_DEP_4)
	v_add_co_u32 v22, vcc_lo, s18, v23
	v_add_co_ci_u32_e32 v23, vcc_lo, s19, v24, vcc_lo
	s_clause 0x1
	global_load_u16 v21, v[19:20], off
	global_load_u16 v19, v[29:30], off
	s_clause 0x2
	global_load_u16 v20, v[25:26], off
	global_load_u16 v17, v[27:28], off
	global_load_d16_hi_b16 v18, v[22:23], off
	s_branch .LBB46_10
.LBB46_9:                               ;   in Loop: Header=BB46_3 Depth=1
	v_dual_mov_b32 v18, 0 :: v_dual_mov_b32 v19, 0
	v_dual_mov_b32 v20, 0 :: v_dual_mov_b32 v21, 0
.LBB46_10:                              ;   in Loop: Header=BB46_3 Depth=1
	s_waitcnt vmcnt(6)
	v_lshlrev_b32_e32 v15, 16, v15
	s_waitcnt vmcnt(4)
	s_delay_alu instid0(VALU_DEP_2) | instskip(SKIP_3) | instid1(VALU_DEP_1)
	v_lshlrev_b32_e32 v21, 16, v21
	s_waitcnt vmcnt(3)
	v_lshlrev_b32_e32 v16, 16, v16
	s_waitcnt vmcnt(1)
	v_dual_add_f32 v15, v15, v16 :: v_dual_lshlrev_b32 v14, 16, v14
	s_delay_alu instid0(VALU_DEP_1) | instskip(NEXT) | instid1(VALU_DEP_1)
	v_dual_add_f32 v15, v15, v21 :: v_dual_lshlrev_b32 v16, 16, v20
	v_add_f32_e32 v15, v15, v16
	s_delay_alu instid0(VALU_DEP_1) | instskip(SKIP_1) | instid1(VALU_DEP_2)
	v_mul_f32_e32 v16, 0xbfb8aa3b, v15
	v_cmp_nlt_f32_e32 vcc_lo, 0x42ce8ed0, v15
	v_fma_f32 v20, 0xbfb8aa3b, v15, -v16
	v_rndne_f32_e32 v21, v16
	s_delay_alu instid0(VALU_DEP_2) | instskip(NEXT) | instid1(VALU_DEP_2)
	v_fmac_f32_e32 v20, 0xb2a5705f, v15
	v_sub_f32_e32 v16, v16, v21
	s_delay_alu instid0(VALU_DEP_1) | instskip(SKIP_1) | instid1(VALU_DEP_2)
	v_add_f32_e32 v16, v16, v20
	v_cvt_i32_f32_e32 v20, v21
	v_exp_f32_e32 v16, v16
	s_waitcnt_depctr 0xfff
	v_ldexp_f32 v16, v16, v20
	s_delay_alu instid0(VALU_DEP_1) | instskip(SKIP_1) | instid1(VALU_DEP_2)
	v_cndmask_b32_e32 v16, 0, v16, vcc_lo
	v_cmp_ngt_f32_e32 vcc_lo, 0xc2b17218, v15
	v_cndmask_b32_e32 v15, 0x7f800000, v16, vcc_lo
	s_delay_alu instid0(VALU_DEP_1) | instskip(NEXT) | instid1(VALU_DEP_1)
	v_add_f32_e32 v15, 1.0, v15
	v_div_scale_f32 v16, null, v15, v15, 1.0
	v_div_scale_f32 v22, vcc_lo, 1.0, v15, 1.0
	s_delay_alu instid0(VALU_DEP_2) | instskip(SKIP_2) | instid1(VALU_DEP_1)
	v_rcp_f32_e32 v20, v16
	s_waitcnt_depctr 0xfff
	v_fma_f32 v21, -v16, v20, 1.0
	v_fmac_f32_e32 v20, v21, v20
	s_delay_alu instid0(VALU_DEP_1) | instskip(NEXT) | instid1(VALU_DEP_1)
	v_mul_f32_e32 v21, v22, v20
	v_fma_f32 v23, -v16, v21, v22
	s_delay_alu instid0(VALU_DEP_1) | instskip(SKIP_1) | instid1(VALU_DEP_2)
	v_fmac_f32_e32 v21, v23, v20
	v_lshlrev_b32_e32 v23, 16, v13
	v_fma_f32 v13, -v16, v21, v22
	s_waitcnt vmcnt(0)
	v_and_b32_e32 v16, 0xffff0000, v18
	v_lshlrev_b32_e32 v18, 16, v18
	s_delay_alu instid0(VALU_DEP_3) | instskip(NEXT) | instid1(VALU_DEP_3)
	v_div_fmas_f32 v20, v13, v20, v21
	v_add_f32_e32 v13, v14, v16
                                        ; implicit-def: $vgpr16
	s_delay_alu instid0(VALU_DEP_2) | instskip(NEXT) | instid1(VALU_DEP_4)
	v_div_fixup_f32 v14, v20, v15, 1.0
	v_add_f32_e32 v15, v23, v18
	s_delay_alu instid0(VALU_DEP_1) | instskip(NEXT) | instid1(VALU_DEP_1)
	v_fmac_f32_e32 v15, v13, v14
	v_cmp_ngt_f32_e64 s0, 0x3f200000, |v15|
	s_delay_alu instid0(VALU_DEP_1) | instskip(NEXT) | instid1(SALU_CYCLE_1)
	s_and_saveexec_b32 s37, s0
	s_xor_b32 s0, exec_lo, s37
	s_cbranch_execz .LBB46_12
; %bb.11:                               ;   in Loop: Header=BB46_3 Depth=1
	v_add_f32_e64 v16, |v15|, |v15|
	s_delay_alu instid0(VALU_DEP_1) | instskip(SKIP_1) | instid1(VALU_DEP_2)
	v_mul_f32_e32 v18, 0x3fb8aa3b, v16
	v_cmp_ngt_f32_e32 vcc_lo, 0xc2ce8ed0, v16
	v_rndne_f32_e32 v20, v18
	v_fma_f32 v21, 0x3fb8aa3b, v16, -v18
	s_delay_alu instid0(VALU_DEP_2) | instskip(NEXT) | instid1(VALU_DEP_2)
	v_sub_f32_e32 v18, v18, v20
	v_fmac_f32_e32 v21, 0x32a5705f, v16
	v_cvt_i32_f32_e32 v20, v20
	s_delay_alu instid0(VALU_DEP_2) | instskip(NEXT) | instid1(VALU_DEP_1)
	v_add_f32_e32 v18, v18, v21
	v_exp_f32_e32 v18, v18
	s_waitcnt_depctr 0xfff
	v_ldexp_f32 v18, v18, v20
	s_delay_alu instid0(VALU_DEP_1) | instskip(SKIP_1) | instid1(VALU_DEP_2)
	v_cndmask_b32_e32 v18, 0, v18, vcc_lo
	v_cmp_nlt_f32_e32 vcc_lo, 0x42b17218, v16
	v_cndmask_b32_e32 v16, 0x7f800000, v18, vcc_lo
	s_delay_alu instid0(VALU_DEP_1) | instskip(NEXT) | instid1(VALU_DEP_1)
	v_add_f32_e32 v16, 1.0, v16
	v_rcp_f32_e32 v16, v16
	s_waitcnt_depctr 0xfff
	v_fma_f32 v16, v16, -2.0, 1.0
.LBB46_12:                              ;   in Loop: Header=BB46_3 Depth=1
	s_and_not1_saveexec_b32 s0, s0
	s_cbranch_execz .LBB46_2
; %bb.13:                               ;   in Loop: Header=BB46_3 Depth=1
	v_mul_f32_e32 v16, v15, v15
	s_delay_alu instid0(VALU_DEP_1) | instskip(NEXT) | instid1(VALU_DEP_1)
	v_fmaak_f32 v18, s43, v16, 0x3ca908c9
	v_fmaak_f32 v18, v16, v18, 0xbd5c1c4e
	s_delay_alu instid0(VALU_DEP_1) | instskip(NEXT) | instid1(VALU_DEP_1)
	v_fmaak_f32 v18, v16, v18, 0x3e088382
	v_fmaak_f32 v18, v16, v18, 0xbeaaaa99
	s_delay_alu instid0(VALU_DEP_1) | instskip(NEXT) | instid1(VALU_DEP_1)
	v_mul_f32_e64 v18, |v15|, v18
	v_fma_f32 v16, v16, v18, |v15|
	s_branch .LBB46_2
.LBB46_14:
	s_nop 0
	s_sendmsg sendmsg(MSG_DEALLOC_VGPRS)
	s_endpgm
	.section	.rodata,"a",@progbits
	.p2align	6, 0x0
	.amdhsa_kernel _ZN2at6native12_GLOBAL__N_16kernel16gru_cell_forwardIN3c108BFloat16EflLi1EEEvNS_4cuda6detail10TensorInfoIT_T1_EESB_SB_SB_SB_SB_SB_SA_SA_
		.amdhsa_group_segment_fixed_size 0
		.amdhsa_private_segment_fixed_size 0
		.amdhsa_kernarg_size 3184
		.amdhsa_user_sgpr_count 15
		.amdhsa_user_sgpr_dispatch_ptr 0
		.amdhsa_user_sgpr_queue_ptr 0
		.amdhsa_user_sgpr_kernarg_segment_ptr 1
		.amdhsa_user_sgpr_dispatch_id 0
		.amdhsa_user_sgpr_private_segment_size 0
		.amdhsa_wavefront_size32 1
		.amdhsa_uses_dynamic_stack 0
		.amdhsa_enable_private_segment 0
		.amdhsa_system_sgpr_workgroup_id_x 1
		.amdhsa_system_sgpr_workgroup_id_y 0
		.amdhsa_system_sgpr_workgroup_id_z 0
		.amdhsa_system_sgpr_workgroup_info 0
		.amdhsa_system_vgpr_workitem_id 0
		.amdhsa_next_free_vgpr 42
		.amdhsa_next_free_sgpr 45
		.amdhsa_reserve_vcc 1
		.amdhsa_float_round_mode_32 0
		.amdhsa_float_round_mode_16_64 0
		.amdhsa_float_denorm_mode_32 3
		.amdhsa_float_denorm_mode_16_64 3
		.amdhsa_dx10_clamp 1
		.amdhsa_ieee_mode 1
		.amdhsa_fp16_overflow 0
		.amdhsa_workgroup_processor_mode 1
		.amdhsa_memory_ordered 1
		.amdhsa_forward_progress 0
		.amdhsa_shared_vgpr_count 0
		.amdhsa_exception_fp_ieee_invalid_op 0
		.amdhsa_exception_fp_denorm_src 0
		.amdhsa_exception_fp_ieee_div_zero 0
		.amdhsa_exception_fp_ieee_overflow 0
		.amdhsa_exception_fp_ieee_underflow 0
		.amdhsa_exception_fp_ieee_inexact 0
		.amdhsa_exception_int_div_zero 0
	.end_amdhsa_kernel
	.section	.text._ZN2at6native12_GLOBAL__N_16kernel16gru_cell_forwardIN3c108BFloat16EflLi1EEEvNS_4cuda6detail10TensorInfoIT_T1_EESB_SB_SB_SB_SB_SB_SA_SA_,"axG",@progbits,_ZN2at6native12_GLOBAL__N_16kernel16gru_cell_forwardIN3c108BFloat16EflLi1EEEvNS_4cuda6detail10TensorInfoIT_T1_EESB_SB_SB_SB_SB_SB_SA_SA_,comdat
.Lfunc_end46:
	.size	_ZN2at6native12_GLOBAL__N_16kernel16gru_cell_forwardIN3c108BFloat16EflLi1EEEvNS_4cuda6detail10TensorInfoIT_T1_EESB_SB_SB_SB_SB_SB_SA_SA_, .Lfunc_end46-_ZN2at6native12_GLOBAL__N_16kernel16gru_cell_forwardIN3c108BFloat16EflLi1EEEvNS_4cuda6detail10TensorInfoIT_T1_EESB_SB_SB_SB_SB_SB_SA_SA_
                                        ; -- End function
	.section	.AMDGPU.csdata,"",@progbits
; Kernel info:
; codeLenInByte = 4084
; NumSgprs: 47
; NumVgprs: 42
; ScratchSize: 0
; MemoryBound: 0
; FloatMode: 240
; IeeeMode: 1
; LDSByteSize: 0 bytes/workgroup (compile time only)
; SGPRBlocks: 5
; VGPRBlocks: 5
; NumSGPRsForWavesPerEU: 47
; NumVGPRsForWavesPerEU: 42
; Occupancy: 16
; WaveLimiterHint : 1
; COMPUTE_PGM_RSRC2:SCRATCH_EN: 0
; COMPUTE_PGM_RSRC2:USER_SGPR: 15
; COMPUTE_PGM_RSRC2:TRAP_HANDLER: 0
; COMPUTE_PGM_RSRC2:TGID_X_EN: 1
; COMPUTE_PGM_RSRC2:TGID_Y_EN: 0
; COMPUTE_PGM_RSRC2:TGID_Z_EN: 0
; COMPUTE_PGM_RSRC2:TIDIG_COMP_CNT: 0
	.section	.text._ZN2at6native12_GLOBAL__N_16kernel16gru_cell_forwardIN3c108BFloat16EflLi2EEEvNS_4cuda6detail10TensorInfoIT_T1_EESB_SB_SB_SB_SB_SB_SA_SA_,"axG",@progbits,_ZN2at6native12_GLOBAL__N_16kernel16gru_cell_forwardIN3c108BFloat16EflLi2EEEvNS_4cuda6detail10TensorInfoIT_T1_EESB_SB_SB_SB_SB_SB_SA_SA_,comdat
	.globl	_ZN2at6native12_GLOBAL__N_16kernel16gru_cell_forwardIN3c108BFloat16EflLi2EEEvNS_4cuda6detail10TensorInfoIT_T1_EESB_SB_SB_SB_SB_SB_SA_SA_ ; -- Begin function _ZN2at6native12_GLOBAL__N_16kernel16gru_cell_forwardIN3c108BFloat16EflLi2EEEvNS_4cuda6detail10TensorInfoIT_T1_EESB_SB_SB_SB_SB_SB_SA_SA_
	.p2align	8
	.type	_ZN2at6native12_GLOBAL__N_16kernel16gru_cell_forwardIN3c108BFloat16EflLi2EEEvNS_4cuda6detail10TensorInfoIT_T1_EESB_SB_SB_SB_SB_SB_SA_SA_,@function
_ZN2at6native12_GLOBAL__N_16kernel16gru_cell_forwardIN3c108BFloat16EflLi2EEEvNS_4cuda6detail10TensorInfoIT_T1_EESB_SB_SB_SB_SB_SB_SA_SA_: ; @_ZN2at6native12_GLOBAL__N_16kernel16gru_cell_forwardIN3c108BFloat16EflLi2EEEvNS_4cuda6detail10TensorInfoIT_T1_EESB_SB_SB_SB_SB_SB_SA_SA_
; %bb.0:
	s_clause 0x1
	s_load_b32 s2, s[0:1], 0xb7c
	s_load_b128 s[4:7], s[0:1], 0xb60
	v_mov_b32_e32 v1, 0
	s_add_u32 s16, s0, 0xb70
	s_addc_u32 s17, s1, 0
	s_waitcnt lgkmcnt(0)
	s_and_b32 s33, s2, 0xffff
	s_mov_b32 s2, exec_lo
	v_mad_u64_u32 v[3:4], null, s15, s33, v[0:1]
	v_mov_b32_e32 v4, v1
	s_delay_alu instid0(VALU_DEP_1)
	v_cmpx_gt_i64_e64 s[6:7], v[3:4]
	s_cbranch_execz .LBB47_66
; %bb.1:
	v_cvt_f32_u32_e32 v0, s4
	s_clause 0x6
	s_load_b64 s[2:3], s[0:1], 0x0
	s_load_b64 s[28:29], s[0:1], 0x10
	s_load_b128 s[8:11], s[0:1], 0xd0
	s_load_b64 s[30:31], s[0:1], 0x1a0
	s_load_b64 s[34:35], s[0:1], 0x340
	;; [unrolled: 1-line block ×3, first 2 shown]
	s_load_b128 s[12:15], s[0:1], 0x270
	s_load_b32 s56, s[16:17], 0x0
	s_clause 0xb
	s_load_b64 s[38:39], s[0:1], 0x410
	s_load_b64 s[40:41], s[0:1], 0x4e0
	s_load_b64 s[42:43], s[0:1], 0x5b0
	s_load_b64 s[44:45], s[0:1], 0x680
	s_load_b64 s[46:47], s[0:1], 0x690
	s_load_b128 s[16:19], s[0:1], 0x750
	s_load_b64 s[48:49], s[0:1], 0x820
	s_load_b64 s[50:51], s[0:1], 0x830
	s_load_b128 s[20:23], s[0:1], 0x8f0
	s_load_b64 s[52:53], s[0:1], 0x9c0
	s_load_b64 s[54:55], s[0:1], 0x9d0
	s_load_b128 s[24:27], s[0:1], 0xa90
	s_mov_b32 s64, 0
	s_mov_b32 s71, 0xbbbac73d
	v_rcp_iflag_f32_e32 v0, v0
	s_waitcnt lgkmcnt(0)
	s_cmp_lg_u64 s[34:35], 0
	s_cselect_b32 s1, -1, 0
	s_mul_i32 s33, s56, s33
	s_waitcnt_depctr 0xfff
	v_mul_f32_e32 v0, 0x4f7ffffe, v0
	s_lshl_b64 s[56:57], s[4:5], 1
	s_lshl_b64 s[58:59], s[4:5], 2
	s_sub_u32 s65, 0, s4
	s_subb_u32 s66, 0, s5
	s_sub_u32 s67, 0, s46
	v_cvt_u32_f32_e32 v0, v0
	s_subb_u32 s68, 0, s47
	s_sub_u32 s69, 0, s50
	s_subb_u32 s70, 0, s51
	s_branch .LBB47_3
.LBB47_2:                               ;   in Loop: Header=BB47_3 Depth=1
	s_or_b32 exec_lo, exec_lo, s0
	s_delay_alu instid0(VALU_DEP_1) | instskip(NEXT) | instid1(VALU_DEP_2)
	v_mul_lo_u32 v2, v8, s54
	v_mul_lo_u32 v11, v7, s55
	v_mad_u64_u32 v[9:10], null, v7, s54, 0
	v_mul_lo_u32 v14, v8, s24
	v_mul_lo_u32 v15, v7, s25
	v_bfe_u32 v13, v12, 16, 1
	s_delay_alu instid0(VALU_DEP_4) | instskip(SKIP_2) | instid1(VALU_DEP_3)
	v_add3_u32 v2, v10, v11, v2
	v_sub_co_u32 v5, vcc_lo, v5, v9
	v_mad_u64_u32 v[8:9], null, v7, s24, 0
	v_sub_co_ci_u32_e32 v2, vcc_lo, v6, v2, vcc_lo
	s_delay_alu instid0(VALU_DEP_3) | instskip(SKIP_1) | instid1(VALU_DEP_3)
	v_add_co_u32 v7, vcc_lo, v3, v5
	v_add3_u32 v10, v12, v13, 0x7fff
	v_add_co_ci_u32_e32 v2, vcc_lo, v4, v2, vcc_lo
	s_delay_alu instid0(VALU_DEP_3) | instskip(SKIP_1) | instid1(VALU_DEP_3)
	v_mul_lo_u32 v11, v7, s27
	v_mad_u64_u32 v[5:6], null, v7, s26, 0
	v_mul_lo_u32 v2, v2, s26
	v_add3_u32 v9, v9, v15, v14
	v_lshrrev_b32_e32 v10, 16, v10
	v_cmp_o_f32_e32 vcc_lo, v12, v12
	s_delay_alu instid0(VALU_DEP_3) | instskip(SKIP_1) | instid1(VALU_DEP_4)
	v_lshlrev_b64 v[7:8], 1, v[8:9]
	v_add3_u32 v6, v6, v11, v2
	v_cndmask_b32_e32 v9, 0x7fc0, v10, vcc_lo
	v_add_co_u32 v3, vcc_lo, v3, s33
	v_add_co_ci_u32_e32 v4, vcc_lo, 0, v4, vcc_lo
	s_delay_alu instid0(VALU_DEP_4) | instskip(SKIP_2) | instid1(VALU_DEP_4)
	v_lshlrev_b64 v[5:6], 1, v[5:6]
	v_add_co_u32 v2, vcc_lo, s52, v7
	v_add_co_ci_u32_e32 v7, vcc_lo, s53, v8, vcc_lo
	v_cmp_le_i64_e32 vcc_lo, s[6:7], v[3:4]
	s_delay_alu instid0(VALU_DEP_3) | instskip(NEXT) | instid1(VALU_DEP_1)
	v_add_co_u32 v5, s0, v2, v5
	v_add_co_ci_u32_e64 v6, s0, v7, v6, s0
	s_or_b32 s64, vcc_lo, s64
	global_store_b16 v[5:6], v9, off
	s_and_not1_b32 exec_lo, exec_lo, s64
	s_cbranch_execz .LBB47_66
.LBB47_3:                               ; =>This Inner Loop Header: Depth=1
	v_or_b32_e32 v2, s5, v4
	v_ashrrev_i32_e32 v15, 31, v4
                                        ; implicit-def: $vgpr5_vgpr6
	s_mov_b32 s0, exec_lo
	s_delay_alu instid0(VALU_DEP_2)
	v_cmpx_ne_u64_e32 0, v[1:2]
	s_xor_b32 s72, exec_lo, s0
	s_cbranch_execz .LBB47_5
; %bb.4:                                ;   in Loop: Header=BB47_3 Depth=1
	s_ashr_i32 s60, s5, 31
	s_delay_alu instid0(SALU_CYCLE_1) | instskip(SKIP_2) | instid1(SALU_CYCLE_1)
	s_add_u32 s62, s4, s60
	s_mov_b32 s61, s60
	s_addc_u32 s63, s5, s60
	s_xor_b64 s[62:63], s[62:63], s[60:61]
	s_delay_alu instid0(SALU_CYCLE_1) | instskip(SKIP_3) | instid1(VALU_DEP_1)
	v_cvt_f32_u32_e32 v2, s62
	v_cvt_f32_u32_e32 v5, s63
	s_sub_u32 s0, 0, s62
	s_subb_u32 s61, 0, s63
	v_fmac_f32_e32 v2, 0x4f800000, v5
	s_delay_alu instid0(VALU_DEP_1) | instskip(SKIP_2) | instid1(VALU_DEP_1)
	v_rcp_f32_e32 v2, v2
	s_waitcnt_depctr 0xfff
	v_mul_f32_e32 v2, 0x5f7ffffc, v2
	v_mul_f32_e32 v5, 0x2f800000, v2
	s_delay_alu instid0(VALU_DEP_1) | instskip(NEXT) | instid1(VALU_DEP_1)
	v_trunc_f32_e32 v5, v5
	v_fmac_f32_e32 v2, 0xcf800000, v5
	v_cvt_u32_f32_e32 v5, v5
	s_delay_alu instid0(VALU_DEP_2) | instskip(NEXT) | instid1(VALU_DEP_2)
	v_cvt_u32_f32_e32 v2, v2
	v_mul_lo_u32 v6, s0, v5
	s_delay_alu instid0(VALU_DEP_2) | instskip(SKIP_1) | instid1(VALU_DEP_2)
	v_mul_hi_u32 v7, s0, v2
	v_mul_lo_u32 v8, s61, v2
	v_add_nc_u32_e32 v6, v7, v6
	v_mul_lo_u32 v7, s0, v2
	s_delay_alu instid0(VALU_DEP_2) | instskip(NEXT) | instid1(VALU_DEP_2)
	v_add_nc_u32_e32 v6, v6, v8
	v_mul_hi_u32 v8, v2, v7
	s_delay_alu instid0(VALU_DEP_2)
	v_mul_lo_u32 v9, v2, v6
	v_mul_hi_u32 v10, v2, v6
	v_mul_hi_u32 v11, v5, v7
	v_mul_lo_u32 v7, v5, v7
	v_mul_hi_u32 v12, v5, v6
	v_mul_lo_u32 v6, v5, v6
	v_add_co_u32 v8, vcc_lo, v8, v9
	v_add_co_ci_u32_e32 v9, vcc_lo, 0, v10, vcc_lo
	s_delay_alu instid0(VALU_DEP_2) | instskip(NEXT) | instid1(VALU_DEP_2)
	v_add_co_u32 v7, vcc_lo, v8, v7
	v_add_co_ci_u32_e32 v7, vcc_lo, v9, v11, vcc_lo
	v_add_co_ci_u32_e32 v8, vcc_lo, 0, v12, vcc_lo
	s_delay_alu instid0(VALU_DEP_2) | instskip(NEXT) | instid1(VALU_DEP_2)
	v_add_co_u32 v6, vcc_lo, v7, v6
	v_add_co_ci_u32_e32 v7, vcc_lo, 0, v8, vcc_lo
	s_delay_alu instid0(VALU_DEP_2) | instskip(NEXT) | instid1(VALU_DEP_2)
	v_add_co_u32 v2, vcc_lo, v2, v6
	v_add_co_ci_u32_e32 v5, vcc_lo, v5, v7, vcc_lo
	s_delay_alu instid0(VALU_DEP_2) | instskip(SKIP_1) | instid1(VALU_DEP_3)
	v_mul_hi_u32 v6, s0, v2
	v_mul_lo_u32 v8, s61, v2
	v_mul_lo_u32 v7, s0, v5
	s_delay_alu instid0(VALU_DEP_1) | instskip(SKIP_1) | instid1(VALU_DEP_2)
	v_add_nc_u32_e32 v6, v6, v7
	v_mul_lo_u32 v7, s0, v2
	v_add_nc_u32_e32 v6, v6, v8
	s_delay_alu instid0(VALU_DEP_2) | instskip(NEXT) | instid1(VALU_DEP_2)
	v_mul_hi_u32 v8, v2, v7
	v_mul_lo_u32 v9, v2, v6
	v_mul_hi_u32 v10, v2, v6
	v_mul_hi_u32 v11, v5, v7
	v_mul_lo_u32 v7, v5, v7
	v_mul_hi_u32 v12, v5, v6
	v_mul_lo_u32 v6, v5, v6
	v_add_co_u32 v8, vcc_lo, v8, v9
	v_add_co_ci_u32_e32 v9, vcc_lo, 0, v10, vcc_lo
	s_delay_alu instid0(VALU_DEP_2) | instskip(NEXT) | instid1(VALU_DEP_2)
	v_add_co_u32 v7, vcc_lo, v8, v7
	v_add_co_ci_u32_e32 v7, vcc_lo, v9, v11, vcc_lo
	v_add_co_ci_u32_e32 v8, vcc_lo, 0, v12, vcc_lo
	v_add_co_u32 v9, vcc_lo, v3, v15
	v_add_co_ci_u32_e32 v10, vcc_lo, v4, v15, vcc_lo
	s_delay_alu instid0(VALU_DEP_4) | instskip(NEXT) | instid1(VALU_DEP_4)
	v_add_co_u32 v6, vcc_lo, v7, v6
	v_add_co_ci_u32_e32 v7, vcc_lo, 0, v8, vcc_lo
	s_delay_alu instid0(VALU_DEP_4) | instskip(NEXT) | instid1(VALU_DEP_3)
	v_xor_b32_e32 v11, v9, v15
	v_add_co_u32 v2, vcc_lo, v2, v6
	s_delay_alu instid0(VALU_DEP_3) | instskip(SKIP_1) | instid1(VALU_DEP_3)
	v_add_co_ci_u32_e32 v12, vcc_lo, v5, v7, vcc_lo
	v_xor_b32_e32 v13, v10, v15
	v_mul_hi_u32 v14, v11, v2
	s_delay_alu instid0(VALU_DEP_3) | instskip(NEXT) | instid1(VALU_DEP_3)
	v_mad_u64_u32 v[5:6], null, v11, v12, 0
	v_mad_u64_u32 v[7:8], null, v13, v2, 0
	v_mad_u64_u32 v[9:10], null, v13, v12, 0
	s_delay_alu instid0(VALU_DEP_3) | instskip(NEXT) | instid1(VALU_DEP_4)
	v_add_co_u32 v2, vcc_lo, v14, v5
	v_add_co_ci_u32_e32 v5, vcc_lo, 0, v6, vcc_lo
	s_delay_alu instid0(VALU_DEP_2) | instskip(NEXT) | instid1(VALU_DEP_2)
	v_add_co_u32 v2, vcc_lo, v2, v7
	v_add_co_ci_u32_e32 v2, vcc_lo, v5, v8, vcc_lo
	v_add_co_ci_u32_e32 v5, vcc_lo, 0, v10, vcc_lo
	s_delay_alu instid0(VALU_DEP_2) | instskip(NEXT) | instid1(VALU_DEP_2)
	v_add_co_u32 v2, vcc_lo, v2, v9
	v_add_co_ci_u32_e32 v7, vcc_lo, 0, v5, vcc_lo
	s_delay_alu instid0(VALU_DEP_2) | instskip(SKIP_1) | instid1(VALU_DEP_3)
	v_mul_lo_u32 v8, s63, v2
	v_mad_u64_u32 v[5:6], null, s62, v2, 0
	v_mul_lo_u32 v9, s62, v7
	s_delay_alu instid0(VALU_DEP_2) | instskip(NEXT) | instid1(VALU_DEP_2)
	v_sub_co_u32 v5, vcc_lo, v11, v5
	v_add3_u32 v6, v6, v9, v8
	s_delay_alu instid0(VALU_DEP_1) | instskip(NEXT) | instid1(VALU_DEP_1)
	v_sub_nc_u32_e32 v8, v13, v6
	v_subrev_co_ci_u32_e64 v8, s0, s63, v8, vcc_lo
	v_add_co_u32 v9, s0, v2, 2
	s_delay_alu instid0(VALU_DEP_1) | instskip(SKIP_3) | instid1(VALU_DEP_3)
	v_add_co_ci_u32_e64 v10, s0, 0, v7, s0
	v_sub_co_u32 v11, s0, v5, s62
	v_sub_co_ci_u32_e32 v6, vcc_lo, v13, v6, vcc_lo
	v_subrev_co_ci_u32_e64 v8, s0, 0, v8, s0
	v_cmp_le_u32_e32 vcc_lo, s62, v11
	s_delay_alu instid0(VALU_DEP_3) | instskip(SKIP_1) | instid1(VALU_DEP_4)
	v_cmp_eq_u32_e64 s0, s63, v6
	v_cndmask_b32_e64 v11, 0, -1, vcc_lo
	v_cmp_le_u32_e32 vcc_lo, s63, v8
	v_cndmask_b32_e64 v12, 0, -1, vcc_lo
	v_cmp_le_u32_e32 vcc_lo, s62, v5
	;; [unrolled: 2-line block ×3, first 2 shown]
	v_cndmask_b32_e64 v13, 0, -1, vcc_lo
	v_cmp_eq_u32_e32 vcc_lo, s63, v8
	s_delay_alu instid0(VALU_DEP_2) | instskip(SKIP_3) | instid1(VALU_DEP_3)
	v_cndmask_b32_e64 v5, v13, v5, s0
	v_cndmask_b32_e32 v8, v12, v11, vcc_lo
	v_add_co_u32 v11, vcc_lo, v2, 1
	v_add_co_ci_u32_e32 v12, vcc_lo, 0, v7, vcc_lo
	v_cmp_ne_u32_e32 vcc_lo, 0, v8
	s_delay_alu instid0(VALU_DEP_2) | instskip(NEXT) | instid1(VALU_DEP_4)
	v_cndmask_b32_e32 v6, v12, v10, vcc_lo
	v_cndmask_b32_e32 v8, v11, v9, vcc_lo
	v_cmp_ne_u32_e32 vcc_lo, 0, v5
	v_xor_b32_e32 v9, s60, v15
	s_delay_alu instid0(VALU_DEP_3) | instskip(NEXT) | instid1(VALU_DEP_1)
	v_dual_cndmask_b32 v2, v2, v8 :: v_dual_cndmask_b32 v5, v7, v6
	v_xor_b32_e32 v2, v2, v9
	s_delay_alu instid0(VALU_DEP_2) | instskip(NEXT) | instid1(VALU_DEP_2)
	v_xor_b32_e32 v6, v5, v9
	v_sub_co_u32 v5, vcc_lo, v2, v9
	s_delay_alu instid0(VALU_DEP_2)
	v_sub_co_ci_u32_e32 v6, vcc_lo, v6, v9, vcc_lo
.LBB47_5:                               ;   in Loop: Header=BB47_3 Depth=1
	s_and_not1_saveexec_b32 s0, s72
	s_cbranch_execz .LBB47_7
; %bb.6:                                ;   in Loop: Header=BB47_3 Depth=1
	s_sub_i32 s60, 0, s4
	s_delay_alu instid0(SALU_CYCLE_1) | instskip(NEXT) | instid1(VALU_DEP_1)
	v_mul_lo_u32 v2, s60, v0
	v_mul_hi_u32 v2, v0, v2
	s_delay_alu instid0(VALU_DEP_1) | instskip(NEXT) | instid1(VALU_DEP_1)
	v_add_nc_u32_e32 v2, v0, v2
	v_mul_hi_u32 v2, v3, v2
	s_delay_alu instid0(VALU_DEP_1) | instskip(SKIP_1) | instid1(VALU_DEP_2)
	v_mul_lo_u32 v5, v2, s4
	v_add_nc_u32_e32 v6, 1, v2
	v_sub_nc_u32_e32 v5, v3, v5
	s_delay_alu instid0(VALU_DEP_1) | instskip(SKIP_1) | instid1(VALU_DEP_2)
	v_subrev_nc_u32_e32 v7, s4, v5
	v_cmp_le_u32_e32 vcc_lo, s4, v5
	v_dual_cndmask_b32 v5, v5, v7 :: v_dual_cndmask_b32 v2, v2, v6
	s_delay_alu instid0(VALU_DEP_1) | instskip(NEXT) | instid1(VALU_DEP_2)
	v_cmp_le_u32_e32 vcc_lo, s4, v5
	v_add_nc_u32_e32 v6, 1, v2
	s_delay_alu instid0(VALU_DEP_1)
	v_dual_cndmask_b32 v5, v2, v6 :: v_dual_mov_b32 v6, v1
.LBB47_7:                               ;   in Loop: Header=BB47_3 Depth=1
	s_or_b32 exec_lo, exec_lo, s0
	s_delay_alu instid0(VALU_DEP_1) | instskip(NEXT) | instid1(VALU_DEP_2)
	v_mul_lo_u32 v2, s57, v5
	v_mul_lo_u32 v9, s56, v6
	v_mad_u64_u32 v[7:8], null, s56, v5, 0
	s_mov_b32 s0, exec_lo
	s_delay_alu instid0(VALU_DEP_1) | instskip(NEXT) | instid1(VALU_DEP_2)
	v_add3_u32 v8, v8, v9, v2
	v_add_co_u32 v22, vcc_lo, v3, v7
                                        ; implicit-def: $vgpr9_vgpr10
	s_delay_alu instid0(VALU_DEP_2) | instskip(NEXT) | instid1(VALU_DEP_1)
	v_add_co_ci_u32_e32 v25, vcc_lo, v4, v8, vcc_lo
	v_or_b32_e32 v2, s29, v25
	v_ashrrev_i32_e32 v19, 31, v25
	s_delay_alu instid0(VALU_DEP_2)
	v_cmpx_ne_u64_e32 0, v[1:2]
	s_xor_b32 s72, exec_lo, s0
	s_cbranch_execz .LBB47_9
; %bb.8:                                ;   in Loop: Header=BB47_3 Depth=1
	s_ashr_i32 s60, s29, 31
	s_delay_alu instid0(SALU_CYCLE_1) | instskip(SKIP_2) | instid1(SALU_CYCLE_1)
	s_add_u32 s62, s28, s60
	s_mov_b32 s61, s60
	s_addc_u32 s63, s29, s60
	s_xor_b64 s[62:63], s[62:63], s[60:61]
	s_delay_alu instid0(SALU_CYCLE_1) | instskip(SKIP_3) | instid1(VALU_DEP_1)
	v_cvt_f32_u32_e32 v2, s62
	v_cvt_f32_u32_e32 v9, s63
	s_sub_u32 s0, 0, s62
	s_subb_u32 s61, 0, s63
	v_fmac_f32_e32 v2, 0x4f800000, v9
	s_delay_alu instid0(VALU_DEP_1) | instskip(SKIP_2) | instid1(VALU_DEP_1)
	v_rcp_f32_e32 v2, v2
	s_waitcnt_depctr 0xfff
	v_mul_f32_e32 v2, 0x5f7ffffc, v2
	v_mul_f32_e32 v9, 0x2f800000, v2
	s_delay_alu instid0(VALU_DEP_1) | instskip(NEXT) | instid1(VALU_DEP_1)
	v_trunc_f32_e32 v9, v9
	v_fmac_f32_e32 v2, 0xcf800000, v9
	v_cvt_u32_f32_e32 v9, v9
	s_delay_alu instid0(VALU_DEP_2) | instskip(NEXT) | instid1(VALU_DEP_2)
	v_cvt_u32_f32_e32 v2, v2
	v_mul_lo_u32 v10, s0, v9
	s_delay_alu instid0(VALU_DEP_2) | instskip(SKIP_1) | instid1(VALU_DEP_2)
	v_mul_hi_u32 v11, s0, v2
	v_mul_lo_u32 v12, s61, v2
	v_add_nc_u32_e32 v10, v11, v10
	v_mul_lo_u32 v11, s0, v2
	s_delay_alu instid0(VALU_DEP_2) | instskip(NEXT) | instid1(VALU_DEP_2)
	v_add_nc_u32_e32 v10, v10, v12
	v_mul_hi_u32 v12, v2, v11
	s_delay_alu instid0(VALU_DEP_2)
	v_mul_lo_u32 v13, v2, v10
	v_mul_hi_u32 v14, v2, v10
	v_mul_hi_u32 v16, v9, v11
	v_mul_lo_u32 v11, v9, v11
	v_mul_hi_u32 v17, v9, v10
	v_mul_lo_u32 v10, v9, v10
	v_add_co_u32 v12, vcc_lo, v12, v13
	v_add_co_ci_u32_e32 v13, vcc_lo, 0, v14, vcc_lo
	s_delay_alu instid0(VALU_DEP_2) | instskip(NEXT) | instid1(VALU_DEP_2)
	v_add_co_u32 v11, vcc_lo, v12, v11
	v_add_co_ci_u32_e32 v11, vcc_lo, v13, v16, vcc_lo
	v_add_co_ci_u32_e32 v12, vcc_lo, 0, v17, vcc_lo
	s_delay_alu instid0(VALU_DEP_2) | instskip(NEXT) | instid1(VALU_DEP_2)
	v_add_co_u32 v10, vcc_lo, v11, v10
	v_add_co_ci_u32_e32 v11, vcc_lo, 0, v12, vcc_lo
	s_delay_alu instid0(VALU_DEP_2) | instskip(NEXT) | instid1(VALU_DEP_2)
	v_add_co_u32 v2, vcc_lo, v2, v10
	v_add_co_ci_u32_e32 v9, vcc_lo, v9, v11, vcc_lo
	s_delay_alu instid0(VALU_DEP_2) | instskip(SKIP_1) | instid1(VALU_DEP_3)
	v_mul_hi_u32 v10, s0, v2
	v_mul_lo_u32 v12, s61, v2
	v_mul_lo_u32 v11, s0, v9
	s_delay_alu instid0(VALU_DEP_1) | instskip(SKIP_1) | instid1(VALU_DEP_2)
	v_add_nc_u32_e32 v10, v10, v11
	v_mul_lo_u32 v11, s0, v2
	v_add_nc_u32_e32 v10, v10, v12
	s_delay_alu instid0(VALU_DEP_2) | instskip(NEXT) | instid1(VALU_DEP_2)
	v_mul_hi_u32 v12, v2, v11
	v_mul_lo_u32 v13, v2, v10
	v_mul_hi_u32 v14, v2, v10
	v_mul_hi_u32 v16, v9, v11
	v_mul_lo_u32 v11, v9, v11
	v_mul_hi_u32 v17, v9, v10
	v_mul_lo_u32 v10, v9, v10
	v_add_co_u32 v12, vcc_lo, v12, v13
	v_add_co_ci_u32_e32 v13, vcc_lo, 0, v14, vcc_lo
	s_delay_alu instid0(VALU_DEP_2) | instskip(NEXT) | instid1(VALU_DEP_2)
	v_add_co_u32 v11, vcc_lo, v12, v11
	v_add_co_ci_u32_e32 v11, vcc_lo, v13, v16, vcc_lo
	v_add_co_ci_u32_e32 v12, vcc_lo, 0, v17, vcc_lo
	v_add_co_u32 v13, vcc_lo, v22, v19
	v_add_co_ci_u32_e32 v14, vcc_lo, v25, v19, vcc_lo
	s_delay_alu instid0(VALU_DEP_4) | instskip(NEXT) | instid1(VALU_DEP_4)
	v_add_co_u32 v10, vcc_lo, v11, v10
	v_add_co_ci_u32_e32 v11, vcc_lo, 0, v12, vcc_lo
	s_delay_alu instid0(VALU_DEP_4) | instskip(NEXT) | instid1(VALU_DEP_3)
	v_xor_b32_e32 v16, v13, v19
	v_add_co_u32 v2, vcc_lo, v2, v10
	s_delay_alu instid0(VALU_DEP_3) | instskip(SKIP_1) | instid1(VALU_DEP_3)
	v_add_co_ci_u32_e32 v17, vcc_lo, v9, v11, vcc_lo
	v_xor_b32_e32 v18, v14, v19
	v_mul_hi_u32 v20, v16, v2
	s_delay_alu instid0(VALU_DEP_3) | instskip(NEXT) | instid1(VALU_DEP_3)
	v_mad_u64_u32 v[9:10], null, v16, v17, 0
	v_mad_u64_u32 v[11:12], null, v18, v2, 0
	v_mad_u64_u32 v[13:14], null, v18, v17, 0
	s_delay_alu instid0(VALU_DEP_3) | instskip(NEXT) | instid1(VALU_DEP_4)
	v_add_co_u32 v2, vcc_lo, v20, v9
	v_add_co_ci_u32_e32 v9, vcc_lo, 0, v10, vcc_lo
	s_delay_alu instid0(VALU_DEP_2) | instskip(NEXT) | instid1(VALU_DEP_2)
	v_add_co_u32 v2, vcc_lo, v2, v11
	v_add_co_ci_u32_e32 v2, vcc_lo, v9, v12, vcc_lo
	v_add_co_ci_u32_e32 v9, vcc_lo, 0, v14, vcc_lo
	s_delay_alu instid0(VALU_DEP_2) | instskip(NEXT) | instid1(VALU_DEP_2)
	v_add_co_u32 v2, vcc_lo, v2, v13
	v_add_co_ci_u32_e32 v11, vcc_lo, 0, v9, vcc_lo
	s_delay_alu instid0(VALU_DEP_2) | instskip(SKIP_1) | instid1(VALU_DEP_3)
	v_mul_lo_u32 v12, s63, v2
	v_mad_u64_u32 v[9:10], null, s62, v2, 0
	v_mul_lo_u32 v13, s62, v11
	s_delay_alu instid0(VALU_DEP_2) | instskip(NEXT) | instid1(VALU_DEP_2)
	v_sub_co_u32 v9, vcc_lo, v16, v9
	v_add3_u32 v10, v10, v13, v12
	s_delay_alu instid0(VALU_DEP_1) | instskip(NEXT) | instid1(VALU_DEP_1)
	v_sub_nc_u32_e32 v12, v18, v10
	v_subrev_co_ci_u32_e64 v12, s0, s63, v12, vcc_lo
	v_add_co_u32 v13, s0, v2, 2
	s_delay_alu instid0(VALU_DEP_1) | instskip(SKIP_3) | instid1(VALU_DEP_3)
	v_add_co_ci_u32_e64 v14, s0, 0, v11, s0
	v_sub_co_u32 v16, s0, v9, s62
	v_sub_co_ci_u32_e32 v10, vcc_lo, v18, v10, vcc_lo
	v_subrev_co_ci_u32_e64 v12, s0, 0, v12, s0
	v_cmp_le_u32_e32 vcc_lo, s62, v16
	s_delay_alu instid0(VALU_DEP_3) | instskip(SKIP_1) | instid1(VALU_DEP_4)
	v_cmp_eq_u32_e64 s0, s63, v10
	v_cndmask_b32_e64 v16, 0, -1, vcc_lo
	v_cmp_le_u32_e32 vcc_lo, s63, v12
	v_cndmask_b32_e64 v17, 0, -1, vcc_lo
	v_cmp_le_u32_e32 vcc_lo, s62, v9
	;; [unrolled: 2-line block ×3, first 2 shown]
	v_cndmask_b32_e64 v18, 0, -1, vcc_lo
	v_cmp_eq_u32_e32 vcc_lo, s63, v12
	s_delay_alu instid0(VALU_DEP_2) | instskip(SKIP_3) | instid1(VALU_DEP_3)
	v_cndmask_b32_e64 v9, v18, v9, s0
	v_cndmask_b32_e32 v12, v17, v16, vcc_lo
	v_add_co_u32 v16, vcc_lo, v2, 1
	v_add_co_ci_u32_e32 v17, vcc_lo, 0, v11, vcc_lo
	v_cmp_ne_u32_e32 vcc_lo, 0, v12
	s_delay_alu instid0(VALU_DEP_2) | instskip(NEXT) | instid1(VALU_DEP_4)
	v_cndmask_b32_e32 v10, v17, v14, vcc_lo
	v_cndmask_b32_e32 v12, v16, v13, vcc_lo
	v_cmp_ne_u32_e32 vcc_lo, 0, v9
	v_xor_b32_e32 v13, s60, v19
	s_delay_alu instid0(VALU_DEP_3) | instskip(NEXT) | instid1(VALU_DEP_1)
	v_dual_cndmask_b32 v2, v2, v12 :: v_dual_cndmask_b32 v9, v11, v10
	v_xor_b32_e32 v2, v2, v13
	s_delay_alu instid0(VALU_DEP_2) | instskip(NEXT) | instid1(VALU_DEP_2)
	v_xor_b32_e32 v10, v9, v13
	v_sub_co_u32 v9, vcc_lo, v2, v13
	s_delay_alu instid0(VALU_DEP_2)
	v_sub_co_ci_u32_e32 v10, vcc_lo, v10, v13, vcc_lo
.LBB47_9:                               ;   in Loop: Header=BB47_3 Depth=1
	s_or_saveexec_b32 s0, s72
	v_cvt_f32_u32_e32 v18, s28
	s_xor_b32 exec_lo, exec_lo, s0
	s_cbranch_execz .LBB47_11
; %bb.10:                               ;   in Loop: Header=BB47_3 Depth=1
	s_delay_alu instid0(VALU_DEP_1) | instskip(SKIP_3) | instid1(VALU_DEP_1)
	v_rcp_iflag_f32_e32 v2, v18
	s_sub_i32 s60, 0, s28
	s_waitcnt_depctr 0xfff
	v_mul_f32_e32 v2, 0x4f7ffffe, v2
	v_cvt_u32_f32_e32 v2, v2
	s_delay_alu instid0(VALU_DEP_1) | instskip(NEXT) | instid1(VALU_DEP_1)
	v_mul_lo_u32 v9, s60, v2
	v_mul_hi_u32 v9, v2, v9
	s_delay_alu instid0(VALU_DEP_1) | instskip(NEXT) | instid1(VALU_DEP_1)
	v_add_nc_u32_e32 v2, v2, v9
	v_mul_hi_u32 v2, v22, v2
	s_delay_alu instid0(VALU_DEP_1) | instskip(SKIP_1) | instid1(VALU_DEP_2)
	v_mul_lo_u32 v9, v2, s28
	v_add_nc_u32_e32 v10, 1, v2
	v_sub_nc_u32_e32 v9, v22, v9
	s_delay_alu instid0(VALU_DEP_1) | instskip(SKIP_1) | instid1(VALU_DEP_2)
	v_subrev_nc_u32_e32 v11, s28, v9
	v_cmp_le_u32_e32 vcc_lo, s28, v9
	v_dual_cndmask_b32 v9, v9, v11 :: v_dual_cndmask_b32 v2, v2, v10
	s_delay_alu instid0(VALU_DEP_1) | instskip(NEXT) | instid1(VALU_DEP_2)
	v_cmp_le_u32_e32 vcc_lo, s28, v9
	v_add_nc_u32_e32 v10, 1, v2
	s_delay_alu instid0(VALU_DEP_1)
	v_dual_cndmask_b32 v9, v2, v10 :: v_dual_mov_b32 v10, v1
.LBB47_11:                              ;   in Loop: Header=BB47_3 Depth=1
	s_or_b32 exec_lo, exec_lo, s0
	s_delay_alu instid0(VALU_DEP_1) | instskip(NEXT) | instid1(VALU_DEP_2)
	v_mul_lo_u32 v2, v10, s28
	v_mul_lo_u32 v13, v9, s29
	v_mad_u64_u32 v[11:12], null, v9, s28, 0
	v_mul_lo_u32 v14, v10, s8
	v_mul_lo_u32 v16, v9, s9
	s_mov_b32 s0, exec_lo
	s_delay_alu instid0(VALU_DEP_3) | instskip(NEXT) | instid1(VALU_DEP_4)
	v_add3_u32 v2, v12, v13, v2
	v_sub_co_u32 v10, vcc_lo, v7, v11
	s_delay_alu instid0(VALU_DEP_2) | instskip(NEXT) | instid1(VALU_DEP_2)
	v_sub_co_ci_u32_e32 v2, vcc_lo, v8, v2, vcc_lo
	v_add_co_u32 v17, vcc_lo, v3, v10
	v_mad_u64_u32 v[10:11], null, v9, s8, 0
	s_delay_alu instid0(VALU_DEP_3) | instskip(NEXT) | instid1(VALU_DEP_3)
	v_add_co_ci_u32_e32 v2, vcc_lo, v4, v2, vcc_lo
	v_mul_lo_u32 v9, v17, s11
	v_mad_u64_u32 v[12:13], null, v17, s10, 0
	s_delay_alu instid0(VALU_DEP_3) | instskip(SKIP_1) | instid1(VALU_DEP_2)
	v_mul_lo_u32 v2, v2, s10
	v_add3_u32 v11, v11, v16, v14
	v_add3_u32 v13, v13, v9, v2
	s_delay_alu instid0(VALU_DEP_2) | instskip(NEXT) | instid1(VALU_DEP_2)
	v_lshlrev_b64 v[9:10], 1, v[10:11]
	v_lshlrev_b64 v[11:12], 1, v[12:13]
	s_delay_alu instid0(VALU_DEP_2) | instskip(NEXT) | instid1(VALU_DEP_3)
	v_add_co_u32 v2, vcc_lo, s2, v9
	v_add_co_ci_u32_e32 v10, vcc_lo, s3, v10, vcc_lo
	s_delay_alu instid0(VALU_DEP_2) | instskip(NEXT) | instid1(VALU_DEP_2)
	v_add_co_u32 v9, vcc_lo, v2, v11
	v_add_co_ci_u32_e32 v10, vcc_lo, v10, v12, vcc_lo
	v_lshlrev_b64 v[11:12], 1, v[5:6]
	v_alignbit_b32 v2, v6, v5, 31
	global_load_u16 v16, v[9:10], off
	v_mul_lo_u32 v2, s4, v2
	v_mul_lo_u32 v13, s5, v11
	v_mad_u64_u32 v[9:10], null, s4, v11, s[4:5]
	s_delay_alu instid0(VALU_DEP_1) | instskip(NEXT) | instid1(VALU_DEP_2)
	v_add3_u32 v10, v13, v10, v2
	v_add_co_u32 v23, vcc_lo, v3, v9
                                        ; implicit-def: $vgpr13_vgpr14
	s_delay_alu instid0(VALU_DEP_2) | instskip(NEXT) | instid1(VALU_DEP_1)
	v_add_co_ci_u32_e32 v26, vcc_lo, v4, v10, vcc_lo
	v_or_b32_e32 v2, s29, v26
	v_ashrrev_i32_e32 v20, 31, v26
	s_delay_alu instid0(VALU_DEP_2)
	v_cmpx_ne_u64_e32 0, v[1:2]
	s_xor_b32 s72, exec_lo, s0
	s_cbranch_execz .LBB47_13
; %bb.12:                               ;   in Loop: Header=BB47_3 Depth=1
	s_ashr_i32 s60, s29, 31
	s_delay_alu instid0(SALU_CYCLE_1) | instskip(SKIP_2) | instid1(SALU_CYCLE_1)
	s_add_u32 s62, s28, s60
	s_mov_b32 s61, s60
	s_addc_u32 s63, s29, s60
	s_xor_b64 s[62:63], s[62:63], s[60:61]
	s_delay_alu instid0(SALU_CYCLE_1) | instskip(SKIP_3) | instid1(VALU_DEP_1)
	v_cvt_f32_u32_e32 v2, s62
	v_cvt_f32_u32_e32 v13, s63
	s_sub_u32 s0, 0, s62
	s_subb_u32 s61, 0, s63
	v_fmac_f32_e32 v2, 0x4f800000, v13
	s_delay_alu instid0(VALU_DEP_1) | instskip(SKIP_2) | instid1(VALU_DEP_1)
	v_rcp_f32_e32 v2, v2
	s_waitcnt_depctr 0xfff
	v_mul_f32_e32 v2, 0x5f7ffffc, v2
	v_mul_f32_e32 v13, 0x2f800000, v2
	s_delay_alu instid0(VALU_DEP_1) | instskip(NEXT) | instid1(VALU_DEP_1)
	v_trunc_f32_e32 v13, v13
	v_fmac_f32_e32 v2, 0xcf800000, v13
	v_cvt_u32_f32_e32 v13, v13
	s_delay_alu instid0(VALU_DEP_2) | instskip(NEXT) | instid1(VALU_DEP_2)
	v_cvt_u32_f32_e32 v2, v2
	v_mul_lo_u32 v14, s0, v13
	s_delay_alu instid0(VALU_DEP_2) | instskip(SKIP_1) | instid1(VALU_DEP_2)
	v_mul_hi_u32 v17, s0, v2
	v_mul_lo_u32 v21, s61, v2
	v_add_nc_u32_e32 v14, v17, v14
	v_mul_lo_u32 v17, s0, v2
	s_delay_alu instid0(VALU_DEP_2) | instskip(NEXT) | instid1(VALU_DEP_2)
	v_add_nc_u32_e32 v14, v14, v21
	v_mul_hi_u32 v21, v2, v17
	s_delay_alu instid0(VALU_DEP_2)
	v_mul_lo_u32 v24, v2, v14
	v_mul_hi_u32 v27, v2, v14
	v_mul_hi_u32 v28, v13, v17
	v_mul_lo_u32 v17, v13, v17
	v_mul_hi_u32 v29, v13, v14
	v_mul_lo_u32 v14, v13, v14
	v_add_co_u32 v21, vcc_lo, v21, v24
	v_add_co_ci_u32_e32 v24, vcc_lo, 0, v27, vcc_lo
	s_delay_alu instid0(VALU_DEP_2) | instskip(NEXT) | instid1(VALU_DEP_2)
	v_add_co_u32 v17, vcc_lo, v21, v17
	v_add_co_ci_u32_e32 v17, vcc_lo, v24, v28, vcc_lo
	v_add_co_ci_u32_e32 v21, vcc_lo, 0, v29, vcc_lo
	s_delay_alu instid0(VALU_DEP_2) | instskip(NEXT) | instid1(VALU_DEP_2)
	v_add_co_u32 v14, vcc_lo, v17, v14
	v_add_co_ci_u32_e32 v17, vcc_lo, 0, v21, vcc_lo
	s_delay_alu instid0(VALU_DEP_2) | instskip(NEXT) | instid1(VALU_DEP_2)
	v_add_co_u32 v2, vcc_lo, v2, v14
	v_add_co_ci_u32_e32 v13, vcc_lo, v13, v17, vcc_lo
	s_delay_alu instid0(VALU_DEP_2) | instskip(SKIP_1) | instid1(VALU_DEP_3)
	v_mul_hi_u32 v14, s0, v2
	v_mul_lo_u32 v21, s61, v2
	v_mul_lo_u32 v17, s0, v13
	s_delay_alu instid0(VALU_DEP_1) | instskip(SKIP_1) | instid1(VALU_DEP_2)
	v_add_nc_u32_e32 v14, v14, v17
	v_mul_lo_u32 v17, s0, v2
	v_add_nc_u32_e32 v14, v14, v21
	s_delay_alu instid0(VALU_DEP_2) | instskip(NEXT) | instid1(VALU_DEP_2)
	v_mul_hi_u32 v21, v2, v17
	v_mul_lo_u32 v24, v2, v14
	v_mul_hi_u32 v27, v2, v14
	v_mul_hi_u32 v28, v13, v17
	v_mul_lo_u32 v17, v13, v17
	v_mul_hi_u32 v29, v13, v14
	v_mul_lo_u32 v14, v13, v14
	v_add_co_u32 v21, vcc_lo, v21, v24
	v_add_co_ci_u32_e32 v24, vcc_lo, 0, v27, vcc_lo
	s_delay_alu instid0(VALU_DEP_2) | instskip(NEXT) | instid1(VALU_DEP_2)
	v_add_co_u32 v17, vcc_lo, v21, v17
	v_add_co_ci_u32_e32 v17, vcc_lo, v24, v28, vcc_lo
	v_add_co_ci_u32_e32 v21, vcc_lo, 0, v29, vcc_lo
	v_add_co_u32 v24, vcc_lo, v23, v20
	v_add_co_ci_u32_e32 v27, vcc_lo, v26, v20, vcc_lo
	s_delay_alu instid0(VALU_DEP_4) | instskip(NEXT) | instid1(VALU_DEP_4)
	v_add_co_u32 v14, vcc_lo, v17, v14
	v_add_co_ci_u32_e32 v17, vcc_lo, 0, v21, vcc_lo
	s_delay_alu instid0(VALU_DEP_4) | instskip(NEXT) | instid1(VALU_DEP_3)
	v_xor_b32_e32 v21, v24, v20
	v_add_co_u32 v2, vcc_lo, v2, v14
	s_delay_alu instid0(VALU_DEP_3) | instskip(SKIP_1) | instid1(VALU_DEP_3)
	v_add_co_ci_u32_e32 v17, vcc_lo, v13, v17, vcc_lo
	v_xor_b32_e32 v24, v27, v20
	v_mul_hi_u32 v31, v21, v2
	s_delay_alu instid0(VALU_DEP_3) | instskip(NEXT) | instid1(VALU_DEP_3)
	v_mad_u64_u32 v[13:14], null, v21, v17, 0
	v_mad_u64_u32 v[27:28], null, v24, v2, 0
	v_mad_u64_u32 v[29:30], null, v24, v17, 0
	s_delay_alu instid0(VALU_DEP_3) | instskip(NEXT) | instid1(VALU_DEP_4)
	v_add_co_u32 v2, vcc_lo, v31, v13
	v_add_co_ci_u32_e32 v13, vcc_lo, 0, v14, vcc_lo
	s_delay_alu instid0(VALU_DEP_2) | instskip(NEXT) | instid1(VALU_DEP_2)
	v_add_co_u32 v2, vcc_lo, v2, v27
	v_add_co_ci_u32_e32 v2, vcc_lo, v13, v28, vcc_lo
	v_add_co_ci_u32_e32 v13, vcc_lo, 0, v30, vcc_lo
	s_delay_alu instid0(VALU_DEP_2) | instskip(NEXT) | instid1(VALU_DEP_2)
	v_add_co_u32 v2, vcc_lo, v2, v29
	v_add_co_ci_u32_e32 v17, vcc_lo, 0, v13, vcc_lo
	s_delay_alu instid0(VALU_DEP_2) | instskip(SKIP_1) | instid1(VALU_DEP_3)
	v_mul_lo_u32 v27, s63, v2
	v_mad_u64_u32 v[13:14], null, s62, v2, 0
	v_mul_lo_u32 v28, s62, v17
	s_delay_alu instid0(VALU_DEP_2) | instskip(NEXT) | instid1(VALU_DEP_2)
	v_sub_co_u32 v13, vcc_lo, v21, v13
	v_add3_u32 v14, v14, v28, v27
	s_delay_alu instid0(VALU_DEP_1) | instskip(NEXT) | instid1(VALU_DEP_1)
	v_sub_nc_u32_e32 v27, v24, v14
	v_subrev_co_ci_u32_e64 v21, s0, s63, v27, vcc_lo
	v_add_co_u32 v27, s0, v2, 2
	s_delay_alu instid0(VALU_DEP_1) | instskip(SKIP_3) | instid1(VALU_DEP_3)
	v_add_co_ci_u32_e64 v28, s0, 0, v17, s0
	v_sub_co_u32 v29, s0, v13, s62
	v_sub_co_ci_u32_e32 v14, vcc_lo, v24, v14, vcc_lo
	v_subrev_co_ci_u32_e64 v21, s0, 0, v21, s0
	v_cmp_le_u32_e32 vcc_lo, s62, v29
	s_delay_alu instid0(VALU_DEP_3) | instskip(SKIP_1) | instid1(VALU_DEP_4)
	v_cmp_eq_u32_e64 s0, s63, v14
	v_cndmask_b32_e64 v24, 0, -1, vcc_lo
	v_cmp_le_u32_e32 vcc_lo, s63, v21
	v_cndmask_b32_e64 v29, 0, -1, vcc_lo
	v_cmp_le_u32_e32 vcc_lo, s62, v13
	;; [unrolled: 2-line block ×3, first 2 shown]
	v_cndmask_b32_e64 v30, 0, -1, vcc_lo
	v_cmp_eq_u32_e32 vcc_lo, s63, v21
	s_delay_alu instid0(VALU_DEP_2) | instskip(SKIP_3) | instid1(VALU_DEP_3)
	v_cndmask_b32_e64 v13, v30, v13, s0
	v_cndmask_b32_e32 v21, v29, v24, vcc_lo
	v_add_co_u32 v24, vcc_lo, v2, 1
	v_add_co_ci_u32_e32 v29, vcc_lo, 0, v17, vcc_lo
	v_cmp_ne_u32_e32 vcc_lo, 0, v21
	s_delay_alu instid0(VALU_DEP_2) | instskip(SKIP_2) | instid1(VALU_DEP_3)
	v_dual_cndmask_b32 v14, v29, v28 :: v_dual_cndmask_b32 v21, v24, v27
	v_cmp_ne_u32_e32 vcc_lo, 0, v13
	v_xor_b32_e32 v24, s60, v20
	v_dual_cndmask_b32 v13, v17, v14 :: v_dual_cndmask_b32 v2, v2, v21
	s_delay_alu instid0(VALU_DEP_1) | instskip(NEXT) | instid1(VALU_DEP_2)
	v_xor_b32_e32 v14, v13, v24
	v_xor_b32_e32 v2, v2, v24
	s_delay_alu instid0(VALU_DEP_1) | instskip(NEXT) | instid1(VALU_DEP_3)
	v_sub_co_u32 v13, vcc_lo, v2, v24
	v_sub_co_ci_u32_e32 v14, vcc_lo, v14, v24, vcc_lo
.LBB47_13:                              ;   in Loop: Header=BB47_3 Depth=1
	s_and_not1_saveexec_b32 s0, s72
	s_cbranch_execz .LBB47_15
; %bb.14:                               ;   in Loop: Header=BB47_3 Depth=1
	v_rcp_iflag_f32_e32 v2, v18
	s_sub_i32 s60, 0, s28
	s_waitcnt_depctr 0xfff
	v_mul_f32_e32 v2, 0x4f7ffffe, v2
	s_delay_alu instid0(VALU_DEP_1) | instskip(NEXT) | instid1(VALU_DEP_1)
	v_cvt_u32_f32_e32 v2, v2
	v_mul_lo_u32 v13, s60, v2
	s_delay_alu instid0(VALU_DEP_1) | instskip(NEXT) | instid1(VALU_DEP_1)
	v_mul_hi_u32 v13, v2, v13
	v_add_nc_u32_e32 v2, v2, v13
	s_delay_alu instid0(VALU_DEP_1) | instskip(NEXT) | instid1(VALU_DEP_1)
	v_mul_hi_u32 v2, v23, v2
	v_mul_lo_u32 v13, v2, s28
	v_add_nc_u32_e32 v14, 1, v2
	s_delay_alu instid0(VALU_DEP_2) | instskip(NEXT) | instid1(VALU_DEP_1)
	v_sub_nc_u32_e32 v13, v23, v13
	v_subrev_nc_u32_e32 v17, s28, v13
	v_cmp_le_u32_e32 vcc_lo, s28, v13
	s_delay_alu instid0(VALU_DEP_2) | instskip(NEXT) | instid1(VALU_DEP_1)
	v_dual_cndmask_b32 v13, v13, v17 :: v_dual_cndmask_b32 v2, v2, v14
	v_cmp_le_u32_e32 vcc_lo, s28, v13
	s_delay_alu instid0(VALU_DEP_2) | instskip(NEXT) | instid1(VALU_DEP_1)
	v_add_nc_u32_e32 v14, 1, v2
	v_dual_cndmask_b32 v13, v2, v14 :: v_dual_mov_b32 v14, v1
.LBB47_15:                              ;   in Loop: Header=BB47_3 Depth=1
	s_or_b32 exec_lo, exec_lo, s0
	s_delay_alu instid0(VALU_DEP_1) | instskip(NEXT) | instid1(VALU_DEP_2)
	v_mul_lo_u32 v2, v14, s28
	v_mul_lo_u32 v17, v13, s29
	v_mad_u64_u32 v[27:28], null, v13, s28, 0
	v_mul_lo_u32 v21, v13, s9
	s_mov_b32 s0, exec_lo
	s_delay_alu instid0(VALU_DEP_2) | instskip(SKIP_1) | instid1(VALU_DEP_4)
	v_add3_u32 v2, v28, v17, v2
	v_mul_lo_u32 v17, v14, s8
	v_sub_co_u32 v14, vcc_lo, v9, v27
	v_mad_u64_u32 v[27:28], null, v13, s8, 0
	s_delay_alu instid0(VALU_DEP_4) | instskip(NEXT) | instid1(VALU_DEP_3)
	v_sub_co_ci_u32_e32 v2, vcc_lo, v10, v2, vcc_lo
	v_add_co_u32 v24, vcc_lo, v3, v14
	s_delay_alu instid0(VALU_DEP_2) | instskip(NEXT) | instid1(VALU_DEP_2)
	v_add_co_ci_u32_e32 v2, vcc_lo, v4, v2, vcc_lo
	v_mul_lo_u32 v29, v24, s11
	v_mad_u64_u32 v[13:14], null, v24, s10, 0
	s_delay_alu instid0(VALU_DEP_3) | instskip(SKIP_1) | instid1(VALU_DEP_1)
	v_mul_lo_u32 v2, v2, s10
	v_add3_u32 v28, v28, v21, v17
	v_lshlrev_b64 v[27:28], 1, v[27:28]
	s_delay_alu instid0(VALU_DEP_3) | instskip(NEXT) | instid1(VALU_DEP_2)
	v_add3_u32 v14, v14, v29, v2
	v_add_co_u32 v2, vcc_lo, s2, v27
	s_delay_alu instid0(VALU_DEP_2) | instskip(NEXT) | instid1(VALU_DEP_4)
	v_lshlrev_b64 v[13:14], 1, v[13:14]
	v_add_co_ci_u32_e32 v17, vcc_lo, s3, v28, vcc_lo
	s_delay_alu instid0(VALU_DEP_2) | instskip(NEXT) | instid1(VALU_DEP_2)
	v_add_co_u32 v13, vcc_lo, v2, v13
	v_add_co_ci_u32_e32 v14, vcc_lo, v17, v14, vcc_lo
	v_add_co_u32 v2, vcc_lo, v11, 2
	v_add_co_ci_u32_e32 v11, vcc_lo, 0, v12, vcc_lo
	global_load_u16 v17, v[13:14], off
	v_mul_lo_u32 v13, s5, v2
	v_mul_lo_u32 v14, s4, v11
	v_mad_u64_u32 v[11:12], null, s4, v2, 0
	s_delay_alu instid0(VALU_DEP_1) | instskip(NEXT) | instid1(VALU_DEP_2)
	v_add3_u32 v12, v12, v14, v13
	v_add_co_u32 v24, vcc_lo, v3, v11
                                        ; implicit-def: $vgpr13_vgpr14
	s_delay_alu instid0(VALU_DEP_2) | instskip(NEXT) | instid1(VALU_DEP_1)
	v_add_co_ci_u32_e32 v27, vcc_lo, v4, v12, vcc_lo
	v_or_b32_e32 v2, s29, v27
	v_ashrrev_i32_e32 v21, 31, v27
	s_delay_alu instid0(VALU_DEP_2)
	v_cmpx_ne_u64_e32 0, v[1:2]
	s_xor_b32 s72, exec_lo, s0
	s_cbranch_execz .LBB47_17
; %bb.16:                               ;   in Loop: Header=BB47_3 Depth=1
	s_ashr_i32 s60, s29, 31
	s_delay_alu instid0(SALU_CYCLE_1) | instskip(SKIP_2) | instid1(SALU_CYCLE_1)
	s_add_u32 s62, s28, s60
	s_mov_b32 s61, s60
	s_addc_u32 s63, s29, s60
	s_xor_b64 s[62:63], s[62:63], s[60:61]
	s_delay_alu instid0(SALU_CYCLE_1) | instskip(SKIP_3) | instid1(VALU_DEP_1)
	v_cvt_f32_u32_e32 v2, s62
	v_cvt_f32_u32_e32 v13, s63
	s_sub_u32 s0, 0, s62
	s_subb_u32 s61, 0, s63
	v_fmac_f32_e32 v2, 0x4f800000, v13
	s_delay_alu instid0(VALU_DEP_1) | instskip(SKIP_2) | instid1(VALU_DEP_1)
	v_rcp_f32_e32 v2, v2
	s_waitcnt_depctr 0xfff
	v_mul_f32_e32 v2, 0x5f7ffffc, v2
	v_mul_f32_e32 v13, 0x2f800000, v2
	s_delay_alu instid0(VALU_DEP_1) | instskip(NEXT) | instid1(VALU_DEP_1)
	v_trunc_f32_e32 v13, v13
	v_fmac_f32_e32 v2, 0xcf800000, v13
	v_cvt_u32_f32_e32 v13, v13
	s_delay_alu instid0(VALU_DEP_2) | instskip(NEXT) | instid1(VALU_DEP_2)
	v_cvt_u32_f32_e32 v2, v2
	v_mul_lo_u32 v14, s0, v13
	s_delay_alu instid0(VALU_DEP_2) | instskip(SKIP_1) | instid1(VALU_DEP_2)
	v_mul_hi_u32 v18, s0, v2
	v_mul_lo_u32 v28, s61, v2
	v_add_nc_u32_e32 v14, v18, v14
	v_mul_lo_u32 v18, s0, v2
	s_delay_alu instid0(VALU_DEP_2) | instskip(NEXT) | instid1(VALU_DEP_2)
	v_add_nc_u32_e32 v14, v14, v28
	v_mul_hi_u32 v28, v2, v18
	s_delay_alu instid0(VALU_DEP_2)
	v_mul_lo_u32 v29, v2, v14
	v_mul_hi_u32 v30, v2, v14
	v_mul_hi_u32 v31, v13, v18
	v_mul_lo_u32 v18, v13, v18
	v_mul_hi_u32 v32, v13, v14
	v_mul_lo_u32 v14, v13, v14
	v_add_co_u32 v28, vcc_lo, v28, v29
	v_add_co_ci_u32_e32 v29, vcc_lo, 0, v30, vcc_lo
	s_delay_alu instid0(VALU_DEP_2) | instskip(NEXT) | instid1(VALU_DEP_2)
	v_add_co_u32 v18, vcc_lo, v28, v18
	v_add_co_ci_u32_e32 v18, vcc_lo, v29, v31, vcc_lo
	v_add_co_ci_u32_e32 v28, vcc_lo, 0, v32, vcc_lo
	s_delay_alu instid0(VALU_DEP_2) | instskip(NEXT) | instid1(VALU_DEP_2)
	v_add_co_u32 v14, vcc_lo, v18, v14
	v_add_co_ci_u32_e32 v18, vcc_lo, 0, v28, vcc_lo
	s_delay_alu instid0(VALU_DEP_2) | instskip(NEXT) | instid1(VALU_DEP_2)
	v_add_co_u32 v2, vcc_lo, v2, v14
	v_add_co_ci_u32_e32 v13, vcc_lo, v13, v18, vcc_lo
	s_delay_alu instid0(VALU_DEP_2) | instskip(SKIP_1) | instid1(VALU_DEP_3)
	v_mul_hi_u32 v14, s0, v2
	v_mul_lo_u32 v28, s61, v2
	v_mul_lo_u32 v18, s0, v13
	s_delay_alu instid0(VALU_DEP_1) | instskip(SKIP_1) | instid1(VALU_DEP_2)
	v_add_nc_u32_e32 v14, v14, v18
	v_mul_lo_u32 v18, s0, v2
	v_add_nc_u32_e32 v14, v14, v28
	s_delay_alu instid0(VALU_DEP_2) | instskip(NEXT) | instid1(VALU_DEP_2)
	v_mul_hi_u32 v28, v2, v18
	v_mul_lo_u32 v29, v2, v14
	v_mul_hi_u32 v30, v2, v14
	v_mul_hi_u32 v31, v13, v18
	v_mul_lo_u32 v18, v13, v18
	v_mul_hi_u32 v32, v13, v14
	v_mul_lo_u32 v14, v13, v14
	v_add_co_u32 v28, vcc_lo, v28, v29
	v_add_co_ci_u32_e32 v29, vcc_lo, 0, v30, vcc_lo
	s_delay_alu instid0(VALU_DEP_2) | instskip(NEXT) | instid1(VALU_DEP_2)
	v_add_co_u32 v18, vcc_lo, v28, v18
	v_add_co_ci_u32_e32 v18, vcc_lo, v29, v31, vcc_lo
	v_add_co_ci_u32_e32 v28, vcc_lo, 0, v32, vcc_lo
	v_add_co_u32 v29, vcc_lo, v24, v21
	v_add_co_ci_u32_e32 v30, vcc_lo, v27, v21, vcc_lo
	s_delay_alu instid0(VALU_DEP_4) | instskip(NEXT) | instid1(VALU_DEP_4)
	v_add_co_u32 v14, vcc_lo, v18, v14
	v_add_co_ci_u32_e32 v18, vcc_lo, 0, v28, vcc_lo
	s_delay_alu instid0(VALU_DEP_4) | instskip(NEXT) | instid1(VALU_DEP_3)
	v_xor_b32_e32 v32, v29, v21
	v_add_co_u32 v2, vcc_lo, v2, v14
	s_delay_alu instid0(VALU_DEP_3) | instskip(SKIP_1) | instid1(VALU_DEP_3)
	v_add_co_ci_u32_e32 v18, vcc_lo, v13, v18, vcc_lo
	v_xor_b32_e32 v33, v30, v21
	v_mul_hi_u32 v34, v32, v2
	s_delay_alu instid0(VALU_DEP_3) | instskip(NEXT) | instid1(VALU_DEP_3)
	v_mad_u64_u32 v[13:14], null, v32, v18, 0
	v_mad_u64_u32 v[28:29], null, v33, v2, 0
	;; [unrolled: 1-line block ×3, first 2 shown]
	s_delay_alu instid0(VALU_DEP_3) | instskip(NEXT) | instid1(VALU_DEP_4)
	v_add_co_u32 v2, vcc_lo, v34, v13
	v_add_co_ci_u32_e32 v13, vcc_lo, 0, v14, vcc_lo
	s_delay_alu instid0(VALU_DEP_2) | instskip(NEXT) | instid1(VALU_DEP_2)
	v_add_co_u32 v2, vcc_lo, v2, v28
	v_add_co_ci_u32_e32 v2, vcc_lo, v13, v29, vcc_lo
	v_add_co_ci_u32_e32 v13, vcc_lo, 0, v31, vcc_lo
	s_delay_alu instid0(VALU_DEP_2) | instskip(NEXT) | instid1(VALU_DEP_2)
	v_add_co_u32 v2, vcc_lo, v2, v30
	v_add_co_ci_u32_e32 v18, vcc_lo, 0, v13, vcc_lo
	s_delay_alu instid0(VALU_DEP_2) | instskip(SKIP_1) | instid1(VALU_DEP_3)
	v_mul_lo_u32 v28, s63, v2
	v_mad_u64_u32 v[13:14], null, s62, v2, 0
	v_mul_lo_u32 v29, s62, v18
	s_delay_alu instid0(VALU_DEP_2) | instskip(NEXT) | instid1(VALU_DEP_2)
	v_sub_co_u32 v13, vcc_lo, v32, v13
	v_add3_u32 v14, v14, v29, v28
	s_delay_alu instid0(VALU_DEP_1) | instskip(NEXT) | instid1(VALU_DEP_1)
	v_sub_nc_u32_e32 v28, v33, v14
	v_subrev_co_ci_u32_e64 v28, s0, s63, v28, vcc_lo
	v_add_co_u32 v29, s0, v2, 2
	s_delay_alu instid0(VALU_DEP_1) | instskip(SKIP_3) | instid1(VALU_DEP_3)
	v_add_co_ci_u32_e64 v30, s0, 0, v18, s0
	v_sub_co_u32 v31, s0, v13, s62
	v_sub_co_ci_u32_e32 v14, vcc_lo, v33, v14, vcc_lo
	v_subrev_co_ci_u32_e64 v28, s0, 0, v28, s0
	v_cmp_le_u32_e32 vcc_lo, s62, v31
	s_delay_alu instid0(VALU_DEP_3) | instskip(SKIP_1) | instid1(VALU_DEP_4)
	v_cmp_eq_u32_e64 s0, s63, v14
	v_cndmask_b32_e64 v31, 0, -1, vcc_lo
	v_cmp_le_u32_e32 vcc_lo, s63, v28
	v_cndmask_b32_e64 v32, 0, -1, vcc_lo
	v_cmp_le_u32_e32 vcc_lo, s62, v13
	;; [unrolled: 2-line block ×3, first 2 shown]
	v_cndmask_b32_e64 v33, 0, -1, vcc_lo
	v_cmp_eq_u32_e32 vcc_lo, s63, v28
	s_delay_alu instid0(VALU_DEP_2) | instskip(SKIP_3) | instid1(VALU_DEP_3)
	v_cndmask_b32_e64 v13, v33, v13, s0
	v_cndmask_b32_e32 v28, v32, v31, vcc_lo
	v_add_co_u32 v31, vcc_lo, v2, 1
	v_add_co_ci_u32_e32 v32, vcc_lo, 0, v18, vcc_lo
	v_cmp_ne_u32_e32 vcc_lo, 0, v28
	s_delay_alu instid0(VALU_DEP_2) | instskip(NEXT) | instid1(VALU_DEP_4)
	v_cndmask_b32_e32 v14, v32, v30, vcc_lo
	v_cndmask_b32_e32 v28, v31, v29, vcc_lo
	v_cmp_ne_u32_e32 vcc_lo, 0, v13
	v_xor_b32_e32 v29, s60, v21
	s_delay_alu instid0(VALU_DEP_3) | instskip(SKIP_1) | instid1(VALU_DEP_2)
	v_cndmask_b32_e32 v2, v2, v28, vcc_lo
	v_cndmask_b32_e32 v13, v18, v14, vcc_lo
                                        ; implicit-def: $vgpr18
	v_xor_b32_e32 v2, v2, v29
	s_delay_alu instid0(VALU_DEP_2) | instskip(NEXT) | instid1(VALU_DEP_2)
	v_xor_b32_e32 v14, v13, v29
	v_sub_co_u32 v13, vcc_lo, v2, v29
	s_delay_alu instid0(VALU_DEP_2)
	v_sub_co_ci_u32_e32 v14, vcc_lo, v14, v29, vcc_lo
.LBB47_17:                              ;   in Loop: Header=BB47_3 Depth=1
	s_and_not1_saveexec_b32 s0, s72
	s_cbranch_execz .LBB47_19
; %bb.18:                               ;   in Loop: Header=BB47_3 Depth=1
	v_rcp_iflag_f32_e32 v2, v18
	s_sub_i32 s60, 0, s28
	s_waitcnt_depctr 0xfff
	v_mul_f32_e32 v2, 0x4f7ffffe, v2
	s_delay_alu instid0(VALU_DEP_1) | instskip(NEXT) | instid1(VALU_DEP_1)
	v_cvt_u32_f32_e32 v2, v2
	v_mul_lo_u32 v13, s60, v2
	s_delay_alu instid0(VALU_DEP_1) | instskip(NEXT) | instid1(VALU_DEP_1)
	v_mul_hi_u32 v13, v2, v13
	v_add_nc_u32_e32 v2, v2, v13
	s_delay_alu instid0(VALU_DEP_1) | instskip(NEXT) | instid1(VALU_DEP_1)
	v_mul_hi_u32 v2, v24, v2
	v_mul_lo_u32 v13, v2, s28
	v_add_nc_u32_e32 v14, 1, v2
	s_delay_alu instid0(VALU_DEP_2) | instskip(NEXT) | instid1(VALU_DEP_1)
	v_sub_nc_u32_e32 v13, v24, v13
	v_subrev_nc_u32_e32 v18, s28, v13
	v_cmp_le_u32_e32 vcc_lo, s28, v13
	s_delay_alu instid0(VALU_DEP_2) | instskip(SKIP_1) | instid1(VALU_DEP_2)
	v_cndmask_b32_e32 v13, v13, v18, vcc_lo
	v_cndmask_b32_e32 v2, v2, v14, vcc_lo
	v_cmp_le_u32_e32 vcc_lo, s28, v13
	s_delay_alu instid0(VALU_DEP_2) | instskip(NEXT) | instid1(VALU_DEP_1)
	v_add_nc_u32_e32 v14, 1, v2
	v_dual_cndmask_b32 v13, v2, v14 :: v_dual_mov_b32 v14, v1
.LBB47_19:                              ;   in Loop: Header=BB47_3 Depth=1
	s_or_b32 exec_lo, exec_lo, s0
	s_delay_alu instid0(VALU_DEP_1) | instskip(NEXT) | instid1(VALU_DEP_2)
	v_mul_lo_u32 v2, v14, s28
	v_mul_lo_u32 v18, v13, s29
	v_mad_u64_u32 v[28:29], null, v13, s28, 0
	v_mul_lo_u32 v30, v13, s9
	s_mov_b32 s0, exec_lo
	s_delay_alu instid0(VALU_DEP_2) | instskip(SKIP_1) | instid1(VALU_DEP_4)
	v_add3_u32 v2, v29, v18, v2
	v_mul_lo_u32 v18, v14, s8
	v_sub_co_u32 v14, vcc_lo, v11, v28
	v_mad_u64_u32 v[28:29], null, v13, s8, 0
	s_delay_alu instid0(VALU_DEP_4) | instskip(NEXT) | instid1(VALU_DEP_3)
	v_sub_co_ci_u32_e32 v2, vcc_lo, v12, v2, vcc_lo
	v_add_co_u32 v31, vcc_lo, v3, v14
	s_delay_alu instid0(VALU_DEP_2) | instskip(NEXT) | instid1(VALU_DEP_2)
	v_add_co_ci_u32_e32 v2, vcc_lo, v4, v2, vcc_lo
	v_mul_lo_u32 v32, v31, s11
	v_mad_u64_u32 v[13:14], null, v31, s10, 0
	s_delay_alu instid0(VALU_DEP_3) | instskip(SKIP_1) | instid1(VALU_DEP_1)
	v_mul_lo_u32 v2, v2, s10
	v_add3_u32 v29, v29, v30, v18
	v_lshlrev_b64 v[28:29], 1, v[28:29]
	s_delay_alu instid0(VALU_DEP_3) | instskip(NEXT) | instid1(VALU_DEP_2)
	v_add3_u32 v14, v14, v32, v2
	v_add_co_u32 v2, vcc_lo, s2, v28
	s_delay_alu instid0(VALU_DEP_2) | instskip(NEXT) | instid1(VALU_DEP_4)
	v_lshlrev_b64 v[13:14], 1, v[13:14]
	v_add_co_ci_u32_e32 v18, vcc_lo, s3, v29, vcc_lo
	s_delay_alu instid0(VALU_DEP_2) | instskip(NEXT) | instid1(VALU_DEP_2)
	v_add_co_u32 v13, vcc_lo, v2, v13
	v_add_co_ci_u32_e32 v14, vcc_lo, v18, v14, vcc_lo
	v_or_b32_e32 v2, s37, v25
	global_load_u16 v18, v[13:14], off
                                        ; implicit-def: $vgpr13_vgpr14
	v_cmpx_ne_u64_e32 0, v[1:2]
	s_xor_b32 s72, exec_lo, s0
	s_cbranch_execz .LBB47_21
; %bb.20:                               ;   in Loop: Header=BB47_3 Depth=1
	s_ashr_i32 s60, s37, 31
	s_delay_alu instid0(SALU_CYCLE_1) | instskip(SKIP_2) | instid1(SALU_CYCLE_1)
	s_add_u32 s62, s36, s60
	s_mov_b32 s61, s60
	s_addc_u32 s63, s37, s60
	s_xor_b64 s[62:63], s[62:63], s[60:61]
	s_delay_alu instid0(SALU_CYCLE_1) | instskip(SKIP_3) | instid1(VALU_DEP_1)
	v_cvt_f32_u32_e32 v2, s62
	v_cvt_f32_u32_e32 v13, s63
	s_sub_u32 s0, 0, s62
	s_subb_u32 s61, 0, s63
	v_fmac_f32_e32 v2, 0x4f800000, v13
	s_delay_alu instid0(VALU_DEP_1) | instskip(SKIP_2) | instid1(VALU_DEP_1)
	v_rcp_f32_e32 v2, v2
	s_waitcnt_depctr 0xfff
	v_mul_f32_e32 v2, 0x5f7ffffc, v2
	v_mul_f32_e32 v13, 0x2f800000, v2
	s_delay_alu instid0(VALU_DEP_1) | instskip(NEXT) | instid1(VALU_DEP_1)
	v_trunc_f32_e32 v13, v13
	v_fmac_f32_e32 v2, 0xcf800000, v13
	v_cvt_u32_f32_e32 v13, v13
	s_delay_alu instid0(VALU_DEP_2) | instskip(NEXT) | instid1(VALU_DEP_2)
	v_cvt_u32_f32_e32 v2, v2
	v_mul_lo_u32 v14, s0, v13
	s_delay_alu instid0(VALU_DEP_2) | instskip(SKIP_1) | instid1(VALU_DEP_2)
	v_mul_hi_u32 v28, s0, v2
	v_mul_lo_u32 v29, s61, v2
	v_add_nc_u32_e32 v14, v28, v14
	v_mul_lo_u32 v28, s0, v2
	s_delay_alu instid0(VALU_DEP_2) | instskip(NEXT) | instid1(VALU_DEP_2)
	v_add_nc_u32_e32 v14, v14, v29
	v_mul_hi_u32 v29, v2, v28
	s_delay_alu instid0(VALU_DEP_2)
	v_mul_lo_u32 v30, v2, v14
	v_mul_hi_u32 v31, v2, v14
	v_mul_hi_u32 v32, v13, v28
	v_mul_lo_u32 v28, v13, v28
	v_mul_hi_u32 v33, v13, v14
	v_mul_lo_u32 v14, v13, v14
	v_add_co_u32 v29, vcc_lo, v29, v30
	v_add_co_ci_u32_e32 v30, vcc_lo, 0, v31, vcc_lo
	s_delay_alu instid0(VALU_DEP_2) | instskip(NEXT) | instid1(VALU_DEP_2)
	v_add_co_u32 v28, vcc_lo, v29, v28
	v_add_co_ci_u32_e32 v28, vcc_lo, v30, v32, vcc_lo
	v_add_co_ci_u32_e32 v29, vcc_lo, 0, v33, vcc_lo
	s_delay_alu instid0(VALU_DEP_2) | instskip(NEXT) | instid1(VALU_DEP_2)
	v_add_co_u32 v14, vcc_lo, v28, v14
	v_add_co_ci_u32_e32 v28, vcc_lo, 0, v29, vcc_lo
	s_delay_alu instid0(VALU_DEP_2) | instskip(NEXT) | instid1(VALU_DEP_2)
	v_add_co_u32 v2, vcc_lo, v2, v14
	v_add_co_ci_u32_e32 v13, vcc_lo, v13, v28, vcc_lo
	s_delay_alu instid0(VALU_DEP_2) | instskip(SKIP_1) | instid1(VALU_DEP_3)
	v_mul_hi_u32 v14, s0, v2
	v_mul_lo_u32 v29, s61, v2
	v_mul_lo_u32 v28, s0, v13
	s_delay_alu instid0(VALU_DEP_1) | instskip(SKIP_1) | instid1(VALU_DEP_2)
	v_add_nc_u32_e32 v14, v14, v28
	v_mul_lo_u32 v28, s0, v2
	v_add_nc_u32_e32 v14, v14, v29
	s_delay_alu instid0(VALU_DEP_2) | instskip(NEXT) | instid1(VALU_DEP_2)
	v_mul_hi_u32 v29, v2, v28
	v_mul_lo_u32 v30, v2, v14
	v_mul_hi_u32 v31, v2, v14
	v_mul_hi_u32 v32, v13, v28
	v_mul_lo_u32 v28, v13, v28
	v_mul_hi_u32 v33, v13, v14
	v_mul_lo_u32 v14, v13, v14
	v_add_co_u32 v29, vcc_lo, v29, v30
	v_add_co_ci_u32_e32 v30, vcc_lo, 0, v31, vcc_lo
	s_delay_alu instid0(VALU_DEP_2) | instskip(NEXT) | instid1(VALU_DEP_2)
	v_add_co_u32 v28, vcc_lo, v29, v28
	v_add_co_ci_u32_e32 v28, vcc_lo, v30, v32, vcc_lo
	v_add_co_ci_u32_e32 v29, vcc_lo, 0, v33, vcc_lo
	v_add_co_u32 v22, vcc_lo, v22, v19
	v_add_co_ci_u32_e32 v25, vcc_lo, v25, v19, vcc_lo
	s_delay_alu instid0(VALU_DEP_4) | instskip(NEXT) | instid1(VALU_DEP_4)
	v_add_co_u32 v14, vcc_lo, v28, v14
	v_add_co_ci_u32_e32 v28, vcc_lo, 0, v29, vcc_lo
	s_delay_alu instid0(VALU_DEP_4) | instskip(NEXT) | instid1(VALU_DEP_3)
	v_xor_b32_e32 v22, v22, v19
	v_add_co_u32 v2, vcc_lo, v2, v14
	s_delay_alu instid0(VALU_DEP_3) | instskip(SKIP_1) | instid1(VALU_DEP_3)
	v_add_co_ci_u32_e32 v32, vcc_lo, v13, v28, vcc_lo
	v_xor_b32_e32 v25, v25, v19
	v_mul_hi_u32 v33, v22, v2
	v_xor_b32_e32 v19, s60, v19
	s_delay_alu instid0(VALU_DEP_4) | instskip(NEXT) | instid1(VALU_DEP_4)
	v_mad_u64_u32 v[13:14], null, v22, v32, 0
	v_mad_u64_u32 v[28:29], null, v25, v2, 0
	;; [unrolled: 1-line block ×3, first 2 shown]
	s_delay_alu instid0(VALU_DEP_3) | instskip(NEXT) | instid1(VALU_DEP_4)
	v_add_co_u32 v2, vcc_lo, v33, v13
	v_add_co_ci_u32_e32 v13, vcc_lo, 0, v14, vcc_lo
	s_delay_alu instid0(VALU_DEP_2) | instskip(NEXT) | instid1(VALU_DEP_2)
	v_add_co_u32 v2, vcc_lo, v2, v28
	v_add_co_ci_u32_e32 v2, vcc_lo, v13, v29, vcc_lo
	v_add_co_ci_u32_e32 v13, vcc_lo, 0, v31, vcc_lo
	s_delay_alu instid0(VALU_DEP_2) | instskip(NEXT) | instid1(VALU_DEP_2)
	v_add_co_u32 v2, vcc_lo, v2, v30
	v_add_co_ci_u32_e32 v28, vcc_lo, 0, v13, vcc_lo
	s_delay_alu instid0(VALU_DEP_2) | instskip(SKIP_1) | instid1(VALU_DEP_3)
	v_mul_lo_u32 v29, s63, v2
	v_mad_u64_u32 v[13:14], null, s62, v2, 0
	v_mul_lo_u32 v30, s62, v28
	s_delay_alu instid0(VALU_DEP_2) | instskip(NEXT) | instid1(VALU_DEP_2)
	v_sub_co_u32 v13, vcc_lo, v22, v13
	v_add3_u32 v14, v14, v30, v29
	s_delay_alu instid0(VALU_DEP_1) | instskip(NEXT) | instid1(VALU_DEP_1)
	v_sub_nc_u32_e32 v29, v25, v14
	v_subrev_co_ci_u32_e64 v22, s0, s63, v29, vcc_lo
	v_add_co_u32 v29, s0, v2, 2
	s_delay_alu instid0(VALU_DEP_1) | instskip(SKIP_3) | instid1(VALU_DEP_3)
	v_add_co_ci_u32_e64 v30, s0, 0, v28, s0
	v_sub_co_u32 v31, s0, v13, s62
	v_sub_co_ci_u32_e32 v14, vcc_lo, v25, v14, vcc_lo
	v_subrev_co_ci_u32_e64 v22, s0, 0, v22, s0
	v_cmp_le_u32_e32 vcc_lo, s62, v31
	s_delay_alu instid0(VALU_DEP_3) | instskip(SKIP_1) | instid1(VALU_DEP_4)
	v_cmp_eq_u32_e64 s0, s63, v14
	v_cndmask_b32_e64 v25, 0, -1, vcc_lo
	v_cmp_le_u32_e32 vcc_lo, s63, v22
	v_cndmask_b32_e64 v31, 0, -1, vcc_lo
	v_cmp_le_u32_e32 vcc_lo, s62, v13
	;; [unrolled: 2-line block ×3, first 2 shown]
	v_cndmask_b32_e64 v32, 0, -1, vcc_lo
	v_cmp_eq_u32_e32 vcc_lo, s63, v22
	s_delay_alu instid0(VALU_DEP_2) | instskip(SKIP_3) | instid1(VALU_DEP_3)
	v_cndmask_b32_e64 v13, v32, v13, s0
	v_cndmask_b32_e32 v22, v31, v25, vcc_lo
	v_add_co_u32 v25, vcc_lo, v2, 1
	v_add_co_ci_u32_e32 v31, vcc_lo, 0, v28, vcc_lo
	v_cmp_ne_u32_e32 vcc_lo, 0, v22
	s_delay_alu instid0(VALU_DEP_2) | instskip(NEXT) | instid1(VALU_DEP_4)
	v_cndmask_b32_e32 v14, v31, v30, vcc_lo
	v_cndmask_b32_e32 v22, v25, v29, vcc_lo
	v_cmp_ne_u32_e32 vcc_lo, 0, v13
	s_delay_alu instid0(VALU_DEP_2) | instskip(NEXT) | instid1(VALU_DEP_4)
	v_cndmask_b32_e32 v2, v2, v22, vcc_lo
	v_cndmask_b32_e32 v13, v28, v14, vcc_lo
                                        ; implicit-def: $vgpr22
	s_delay_alu instid0(VALU_DEP_2) | instskip(NEXT) | instid1(VALU_DEP_2)
	v_xor_b32_e32 v2, v2, v19
	v_xor_b32_e32 v14, v13, v19
	s_delay_alu instid0(VALU_DEP_2) | instskip(NEXT) | instid1(VALU_DEP_2)
	v_sub_co_u32 v13, vcc_lo, v2, v19
	v_sub_co_ci_u32_e32 v14, vcc_lo, v14, v19, vcc_lo
.LBB47_21:                              ;   in Loop: Header=BB47_3 Depth=1
	s_or_saveexec_b32 s0, s72
	v_cvt_f32_u32_e32 v19, s36
	s_xor_b32 exec_lo, exec_lo, s0
	s_cbranch_execz .LBB47_23
; %bb.22:                               ;   in Loop: Header=BB47_3 Depth=1
	s_delay_alu instid0(VALU_DEP_1) | instskip(SKIP_3) | instid1(VALU_DEP_1)
	v_rcp_iflag_f32_e32 v2, v19
	s_sub_i32 s60, 0, s36
	s_waitcnt_depctr 0xfff
	v_mul_f32_e32 v2, 0x4f7ffffe, v2
	v_cvt_u32_f32_e32 v2, v2
	s_delay_alu instid0(VALU_DEP_1) | instskip(NEXT) | instid1(VALU_DEP_1)
	v_mul_lo_u32 v13, s60, v2
	v_mul_hi_u32 v13, v2, v13
	s_delay_alu instid0(VALU_DEP_1) | instskip(NEXT) | instid1(VALU_DEP_1)
	v_add_nc_u32_e32 v2, v2, v13
	v_mul_hi_u32 v2, v22, v2
	s_delay_alu instid0(VALU_DEP_1) | instskip(SKIP_1) | instid1(VALU_DEP_2)
	v_mul_lo_u32 v13, v2, s36
	v_add_nc_u32_e32 v14, 1, v2
	v_sub_nc_u32_e32 v13, v22, v13
	s_delay_alu instid0(VALU_DEP_1) | instskip(SKIP_1) | instid1(VALU_DEP_2)
	v_subrev_nc_u32_e32 v22, s36, v13
	v_cmp_le_u32_e32 vcc_lo, s36, v13
	v_cndmask_b32_e32 v13, v13, v22, vcc_lo
	v_cndmask_b32_e32 v2, v2, v14, vcc_lo
	s_delay_alu instid0(VALU_DEP_2) | instskip(NEXT) | instid1(VALU_DEP_2)
	v_cmp_le_u32_e32 vcc_lo, s36, v13
	v_add_nc_u32_e32 v14, 1, v2
	s_delay_alu instid0(VALU_DEP_1)
	v_dual_cndmask_b32 v13, v2, v14 :: v_dual_mov_b32 v14, v1
.LBB47_23:                              ;   in Loop: Header=BB47_3 Depth=1
	s_or_b32 exec_lo, exec_lo, s0
	s_delay_alu instid0(VALU_DEP_1) | instskip(NEXT) | instid1(VALU_DEP_2)
	v_mul_lo_u32 v2, v14, s36
	v_mul_lo_u32 v22, v13, s37
	v_mad_u64_u32 v[28:29], null, v13, s36, 0
	v_mul_lo_u32 v25, v13, s13
	s_mov_b32 s0, exec_lo
	s_delay_alu instid0(VALU_DEP_2) | instskip(NEXT) | instid1(VALU_DEP_3)
	v_add3_u32 v2, v29, v22, v2
	v_sub_co_u32 v7, vcc_lo, v7, v28
	v_mul_lo_u32 v22, v14, s12
	s_delay_alu instid0(VALU_DEP_3) | instskip(NEXT) | instid1(VALU_DEP_3)
	v_sub_co_ci_u32_e32 v2, vcc_lo, v8, v2, vcc_lo
	v_add_co_u32 v28, vcc_lo, v3, v7
	v_mad_u64_u32 v[7:8], null, v13, s12, 0
	s_delay_alu instid0(VALU_DEP_3) | instskip(NEXT) | instid1(VALU_DEP_3)
	v_add_co_ci_u32_e32 v2, vcc_lo, v4, v2, vcc_lo
	v_mul_lo_u32 v29, v28, s15
	v_mad_u64_u32 v[13:14], null, v28, s14, 0
	s_delay_alu instid0(VALU_DEP_3) | instskip(SKIP_1) | instid1(VALU_DEP_1)
	v_mul_lo_u32 v2, v2, s14
	v_add3_u32 v8, v8, v25, v22
	v_lshlrev_b64 v[7:8], 1, v[7:8]
	s_delay_alu instid0(VALU_DEP_3) | instskip(NEXT) | instid1(VALU_DEP_2)
	v_add3_u32 v14, v14, v29, v2
	v_add_co_u32 v2, vcc_lo, s30, v7
	s_delay_alu instid0(VALU_DEP_2) | instskip(NEXT) | instid1(VALU_DEP_4)
	v_lshlrev_b64 v[13:14], 1, v[13:14]
	v_add_co_ci_u32_e32 v8, vcc_lo, s31, v8, vcc_lo
	s_delay_alu instid0(VALU_DEP_2) | instskip(NEXT) | instid1(VALU_DEP_2)
	v_add_co_u32 v7, vcc_lo, v2, v13
	v_add_co_ci_u32_e32 v8, vcc_lo, v8, v14, vcc_lo
	v_or_b32_e32 v2, s37, v26
	global_load_u16 v13, v[7:8], off
                                        ; implicit-def: $vgpr7_vgpr8
	v_cmpx_ne_u64_e32 0, v[1:2]
	s_xor_b32 s72, exec_lo, s0
	s_cbranch_execz .LBB47_25
; %bb.24:                               ;   in Loop: Header=BB47_3 Depth=1
	s_ashr_i32 s60, s37, 31
	s_delay_alu instid0(SALU_CYCLE_1) | instskip(SKIP_2) | instid1(SALU_CYCLE_1)
	s_add_u32 s62, s36, s60
	s_mov_b32 s61, s60
	s_addc_u32 s63, s37, s60
	s_xor_b64 s[62:63], s[62:63], s[60:61]
	s_delay_alu instid0(SALU_CYCLE_1) | instskip(SKIP_3) | instid1(VALU_DEP_1)
	v_cvt_f32_u32_e32 v2, s62
	v_cvt_f32_u32_e32 v7, s63
	s_sub_u32 s0, 0, s62
	s_subb_u32 s61, 0, s63
	v_fmac_f32_e32 v2, 0x4f800000, v7
	s_delay_alu instid0(VALU_DEP_1) | instskip(SKIP_2) | instid1(VALU_DEP_1)
	v_rcp_f32_e32 v2, v2
	s_waitcnt_depctr 0xfff
	v_mul_f32_e32 v2, 0x5f7ffffc, v2
	v_mul_f32_e32 v7, 0x2f800000, v2
	s_delay_alu instid0(VALU_DEP_1) | instskip(NEXT) | instid1(VALU_DEP_1)
	v_trunc_f32_e32 v7, v7
	v_fmac_f32_e32 v2, 0xcf800000, v7
	v_cvt_u32_f32_e32 v7, v7
	s_delay_alu instid0(VALU_DEP_2) | instskip(NEXT) | instid1(VALU_DEP_2)
	v_cvt_u32_f32_e32 v2, v2
	v_mul_lo_u32 v8, s0, v7
	s_delay_alu instid0(VALU_DEP_2) | instskip(SKIP_1) | instid1(VALU_DEP_2)
	v_mul_hi_u32 v14, s0, v2
	v_mul_lo_u32 v22, s61, v2
	v_add_nc_u32_e32 v8, v14, v8
	v_mul_lo_u32 v14, s0, v2
	s_delay_alu instid0(VALU_DEP_2) | instskip(NEXT) | instid1(VALU_DEP_2)
	v_add_nc_u32_e32 v8, v8, v22
	v_mul_hi_u32 v22, v2, v14
	s_delay_alu instid0(VALU_DEP_2)
	v_mul_lo_u32 v25, v2, v8
	v_mul_hi_u32 v28, v2, v8
	v_mul_hi_u32 v29, v7, v14
	v_mul_lo_u32 v14, v7, v14
	v_mul_hi_u32 v30, v7, v8
	v_mul_lo_u32 v8, v7, v8
	v_add_co_u32 v22, vcc_lo, v22, v25
	v_add_co_ci_u32_e32 v25, vcc_lo, 0, v28, vcc_lo
	s_delay_alu instid0(VALU_DEP_2) | instskip(NEXT) | instid1(VALU_DEP_2)
	v_add_co_u32 v14, vcc_lo, v22, v14
	v_add_co_ci_u32_e32 v14, vcc_lo, v25, v29, vcc_lo
	v_add_co_ci_u32_e32 v22, vcc_lo, 0, v30, vcc_lo
	s_delay_alu instid0(VALU_DEP_2) | instskip(NEXT) | instid1(VALU_DEP_2)
	v_add_co_u32 v8, vcc_lo, v14, v8
	v_add_co_ci_u32_e32 v14, vcc_lo, 0, v22, vcc_lo
	s_delay_alu instid0(VALU_DEP_2) | instskip(NEXT) | instid1(VALU_DEP_2)
	v_add_co_u32 v2, vcc_lo, v2, v8
	v_add_co_ci_u32_e32 v7, vcc_lo, v7, v14, vcc_lo
	s_delay_alu instid0(VALU_DEP_2) | instskip(SKIP_1) | instid1(VALU_DEP_3)
	v_mul_hi_u32 v8, s0, v2
	v_mul_lo_u32 v22, s61, v2
	v_mul_lo_u32 v14, s0, v7
	s_delay_alu instid0(VALU_DEP_1) | instskip(SKIP_1) | instid1(VALU_DEP_2)
	v_add_nc_u32_e32 v8, v8, v14
	v_mul_lo_u32 v14, s0, v2
	v_add_nc_u32_e32 v8, v8, v22
	s_delay_alu instid0(VALU_DEP_2) | instskip(NEXT) | instid1(VALU_DEP_2)
	v_mul_hi_u32 v22, v2, v14
	v_mul_lo_u32 v25, v2, v8
	v_mul_hi_u32 v28, v2, v8
	v_mul_hi_u32 v29, v7, v14
	v_mul_lo_u32 v14, v7, v14
	v_mul_hi_u32 v30, v7, v8
	v_mul_lo_u32 v8, v7, v8
	v_add_co_u32 v22, vcc_lo, v22, v25
	v_add_co_ci_u32_e32 v25, vcc_lo, 0, v28, vcc_lo
	s_delay_alu instid0(VALU_DEP_2) | instskip(NEXT) | instid1(VALU_DEP_2)
	v_add_co_u32 v14, vcc_lo, v22, v14
	v_add_co_ci_u32_e32 v14, vcc_lo, v25, v29, vcc_lo
	v_add_co_ci_u32_e32 v22, vcc_lo, 0, v30, vcc_lo
	v_add_co_u32 v23, vcc_lo, v23, v20
	v_add_co_ci_u32_e32 v25, vcc_lo, v26, v20, vcc_lo
	s_delay_alu instid0(VALU_DEP_4) | instskip(NEXT) | instid1(VALU_DEP_4)
	v_add_co_u32 v8, vcc_lo, v14, v8
	v_add_co_ci_u32_e32 v14, vcc_lo, 0, v22, vcc_lo
	s_delay_alu instid0(VALU_DEP_4) | instskip(NEXT) | instid1(VALU_DEP_3)
	v_xor_b32_e32 v28, v23, v20
	v_add_co_u32 v2, vcc_lo, v2, v8
	s_delay_alu instid0(VALU_DEP_3) | instskip(SKIP_1) | instid1(VALU_DEP_3)
	v_add_co_ci_u32_e32 v14, vcc_lo, v7, v14, vcc_lo
	v_xor_b32_e32 v29, v25, v20
	v_mul_hi_u32 v30, v28, v2
	v_xor_b32_e32 v20, s60, v20
	s_delay_alu instid0(VALU_DEP_4) | instskip(NEXT) | instid1(VALU_DEP_4)
	v_mad_u64_u32 v[7:8], null, v28, v14, 0
	v_mad_u64_u32 v[22:23], null, v29, v2, 0
	;; [unrolled: 1-line block ×3, first 2 shown]
	s_delay_alu instid0(VALU_DEP_3) | instskip(NEXT) | instid1(VALU_DEP_4)
	v_add_co_u32 v2, vcc_lo, v30, v7
	v_add_co_ci_u32_e32 v7, vcc_lo, 0, v8, vcc_lo
	s_delay_alu instid0(VALU_DEP_2) | instskip(NEXT) | instid1(VALU_DEP_2)
	v_add_co_u32 v2, vcc_lo, v2, v22
	v_add_co_ci_u32_e32 v2, vcc_lo, v7, v23, vcc_lo
	v_add_co_ci_u32_e32 v7, vcc_lo, 0, v26, vcc_lo
	s_delay_alu instid0(VALU_DEP_2) | instskip(NEXT) | instid1(VALU_DEP_2)
	v_add_co_u32 v2, vcc_lo, v2, v25
	v_add_co_ci_u32_e32 v14, vcc_lo, 0, v7, vcc_lo
	s_delay_alu instid0(VALU_DEP_2) | instskip(SKIP_1) | instid1(VALU_DEP_3)
	v_mul_lo_u32 v22, s63, v2
	v_mad_u64_u32 v[7:8], null, s62, v2, 0
	v_mul_lo_u32 v23, s62, v14
	s_delay_alu instid0(VALU_DEP_2) | instskip(NEXT) | instid1(VALU_DEP_2)
	v_sub_co_u32 v7, vcc_lo, v28, v7
	v_add3_u32 v8, v8, v23, v22
	s_delay_alu instid0(VALU_DEP_1) | instskip(NEXT) | instid1(VALU_DEP_1)
	v_sub_nc_u32_e32 v22, v29, v8
	v_subrev_co_ci_u32_e64 v22, s0, s63, v22, vcc_lo
	v_add_co_u32 v23, s0, v2, 2
	s_delay_alu instid0(VALU_DEP_1) | instskip(SKIP_3) | instid1(VALU_DEP_3)
	v_add_co_ci_u32_e64 v25, s0, 0, v14, s0
	v_sub_co_u32 v26, s0, v7, s62
	v_sub_co_ci_u32_e32 v8, vcc_lo, v29, v8, vcc_lo
	v_subrev_co_ci_u32_e64 v22, s0, 0, v22, s0
	v_cmp_le_u32_e32 vcc_lo, s62, v26
	s_delay_alu instid0(VALU_DEP_3) | instskip(SKIP_1) | instid1(VALU_DEP_4)
	v_cmp_eq_u32_e64 s0, s63, v8
	v_cndmask_b32_e64 v26, 0, -1, vcc_lo
	v_cmp_le_u32_e32 vcc_lo, s63, v22
	v_cndmask_b32_e64 v28, 0, -1, vcc_lo
	v_cmp_le_u32_e32 vcc_lo, s62, v7
	;; [unrolled: 2-line block ×3, first 2 shown]
	v_cndmask_b32_e64 v29, 0, -1, vcc_lo
	v_cmp_eq_u32_e32 vcc_lo, s63, v22
	s_delay_alu instid0(VALU_DEP_2) | instskip(SKIP_3) | instid1(VALU_DEP_3)
	v_cndmask_b32_e64 v7, v29, v7, s0
	v_cndmask_b32_e32 v22, v28, v26, vcc_lo
	v_add_co_u32 v26, vcc_lo, v2, 1
	v_add_co_ci_u32_e32 v28, vcc_lo, 0, v14, vcc_lo
	v_cmp_ne_u32_e32 vcc_lo, 0, v22
	s_delay_alu instid0(VALU_DEP_2) | instskip(NEXT) | instid1(VALU_DEP_4)
	v_cndmask_b32_e32 v8, v28, v25, vcc_lo
	v_cndmask_b32_e32 v22, v26, v23, vcc_lo
	v_cmp_ne_u32_e32 vcc_lo, 0, v7
                                        ; implicit-def: $vgpr23
	s_delay_alu instid0(VALU_DEP_2) | instskip(NEXT) | instid1(VALU_DEP_4)
	v_cndmask_b32_e32 v2, v2, v22, vcc_lo
	v_cndmask_b32_e32 v7, v14, v8, vcc_lo
	s_delay_alu instid0(VALU_DEP_2) | instskip(NEXT) | instid1(VALU_DEP_2)
	v_xor_b32_e32 v2, v2, v20
	v_xor_b32_e32 v8, v7, v20
	s_delay_alu instid0(VALU_DEP_2) | instskip(NEXT) | instid1(VALU_DEP_2)
	v_sub_co_u32 v7, vcc_lo, v2, v20
	v_sub_co_ci_u32_e32 v8, vcc_lo, v8, v20, vcc_lo
.LBB47_25:                              ;   in Loop: Header=BB47_3 Depth=1
	s_and_not1_saveexec_b32 s0, s72
	s_cbranch_execz .LBB47_27
; %bb.26:                               ;   in Loop: Header=BB47_3 Depth=1
	v_rcp_iflag_f32_e32 v2, v19
	s_sub_i32 s60, 0, s36
	s_waitcnt_depctr 0xfff
	v_mul_f32_e32 v2, 0x4f7ffffe, v2
	s_delay_alu instid0(VALU_DEP_1) | instskip(NEXT) | instid1(VALU_DEP_1)
	v_cvt_u32_f32_e32 v2, v2
	v_mul_lo_u32 v7, s60, v2
	s_delay_alu instid0(VALU_DEP_1) | instskip(NEXT) | instid1(VALU_DEP_1)
	v_mul_hi_u32 v7, v2, v7
	v_add_nc_u32_e32 v2, v2, v7
	s_delay_alu instid0(VALU_DEP_1) | instskip(NEXT) | instid1(VALU_DEP_1)
	v_mul_hi_u32 v2, v23, v2
	v_mul_lo_u32 v7, v2, s36
	v_add_nc_u32_e32 v8, 1, v2
	s_delay_alu instid0(VALU_DEP_2) | instskip(NEXT) | instid1(VALU_DEP_1)
	v_sub_nc_u32_e32 v7, v23, v7
	v_subrev_nc_u32_e32 v14, s36, v7
	v_cmp_le_u32_e32 vcc_lo, s36, v7
	s_delay_alu instid0(VALU_DEP_2) | instskip(NEXT) | instid1(VALU_DEP_1)
	v_dual_cndmask_b32 v7, v7, v14 :: v_dual_cndmask_b32 v2, v2, v8
	v_cmp_le_u32_e32 vcc_lo, s36, v7
	s_delay_alu instid0(VALU_DEP_2) | instskip(NEXT) | instid1(VALU_DEP_1)
	v_add_nc_u32_e32 v8, 1, v2
	v_dual_cndmask_b32 v7, v2, v8 :: v_dual_mov_b32 v8, v1
.LBB47_27:                              ;   in Loop: Header=BB47_3 Depth=1
	s_or_b32 exec_lo, exec_lo, s0
	s_delay_alu instid0(VALU_DEP_1) | instskip(NEXT) | instid1(VALU_DEP_2)
	v_mul_lo_u32 v2, v8, s36
	v_mul_lo_u32 v14, v7, s37
	v_mad_u64_u32 v[22:23], null, v7, s36, 0
	s_mov_b32 s0, exec_lo
	s_delay_alu instid0(VALU_DEP_1) | instskip(SKIP_1) | instid1(VALU_DEP_3)
	v_add3_u32 v2, v23, v14, v2
	v_mul_lo_u32 v14, v8, s12
	v_sub_co_u32 v8, vcc_lo, v9, v22
	s_delay_alu instid0(VALU_DEP_3) | instskip(NEXT) | instid1(VALU_DEP_2)
	v_sub_co_ci_u32_e32 v2, vcc_lo, v10, v2, vcc_lo
	v_add_co_u32 v20, vcc_lo, v3, v8
	v_mul_lo_u32 v10, v7, s13
	s_delay_alu instid0(VALU_DEP_3) | instskip(SKIP_1) | instid1(VALU_DEP_4)
	v_add_co_ci_u32_e32 v2, vcc_lo, v4, v2, vcc_lo
	v_mad_u64_u32 v[8:9], null, v7, s12, 0
	v_mul_lo_u32 v7, v20, s15
	v_mad_u64_u32 v[22:23], null, v20, s14, 0
	s_delay_alu instid0(VALU_DEP_4) | instskip(NEXT) | instid1(VALU_DEP_4)
	v_mul_lo_u32 v2, v2, s14
	v_add3_u32 v9, v9, v10, v14
	s_delay_alu instid0(VALU_DEP_2) | instskip(NEXT) | instid1(VALU_DEP_2)
	v_add3_u32 v23, v23, v7, v2
	v_lshlrev_b64 v[7:8], 1, v[8:9]
	s_delay_alu instid0(VALU_DEP_2) | instskip(NEXT) | instid1(VALU_DEP_2)
	v_lshlrev_b64 v[9:10], 1, v[22:23]
	v_add_co_u32 v2, vcc_lo, s30, v7
	s_delay_alu instid0(VALU_DEP_3) | instskip(NEXT) | instid1(VALU_DEP_2)
	v_add_co_ci_u32_e32 v8, vcc_lo, s31, v8, vcc_lo
	v_add_co_u32 v7, vcc_lo, v2, v9
	s_delay_alu instid0(VALU_DEP_2)
	v_add_co_ci_u32_e32 v8, vcc_lo, v8, v10, vcc_lo
	v_or_b32_e32 v2, s37, v27
	global_load_u16 v9, v[7:8], off
                                        ; implicit-def: $vgpr7_vgpr8
	v_cmpx_ne_u64_e32 0, v[1:2]
	s_xor_b32 s72, exec_lo, s0
	s_cbranch_execz .LBB47_29
; %bb.28:                               ;   in Loop: Header=BB47_3 Depth=1
	s_ashr_i32 s60, s37, 31
	s_delay_alu instid0(SALU_CYCLE_1) | instskip(SKIP_2) | instid1(SALU_CYCLE_1)
	s_add_u32 s62, s36, s60
	s_mov_b32 s61, s60
	s_addc_u32 s63, s37, s60
	s_xor_b64 s[62:63], s[62:63], s[60:61]
	s_delay_alu instid0(SALU_CYCLE_1) | instskip(SKIP_3) | instid1(VALU_DEP_1)
	v_cvt_f32_u32_e32 v2, s62
	v_cvt_f32_u32_e32 v7, s63
	s_sub_u32 s0, 0, s62
	s_subb_u32 s61, 0, s63
	v_fmac_f32_e32 v2, 0x4f800000, v7
	s_delay_alu instid0(VALU_DEP_1) | instskip(SKIP_2) | instid1(VALU_DEP_1)
	v_rcp_f32_e32 v2, v2
	s_waitcnt_depctr 0xfff
	v_mul_f32_e32 v2, 0x5f7ffffc, v2
	v_mul_f32_e32 v7, 0x2f800000, v2
	s_delay_alu instid0(VALU_DEP_1) | instskip(NEXT) | instid1(VALU_DEP_1)
	v_trunc_f32_e32 v7, v7
	v_fmac_f32_e32 v2, 0xcf800000, v7
	v_cvt_u32_f32_e32 v7, v7
	s_delay_alu instid0(VALU_DEP_2) | instskip(NEXT) | instid1(VALU_DEP_2)
	v_cvt_u32_f32_e32 v2, v2
	v_mul_lo_u32 v8, s0, v7
	s_delay_alu instid0(VALU_DEP_2) | instskip(SKIP_1) | instid1(VALU_DEP_2)
	v_mul_hi_u32 v10, s0, v2
	v_mul_lo_u32 v14, s61, v2
	v_add_nc_u32_e32 v8, v10, v8
	v_mul_lo_u32 v10, s0, v2
	s_delay_alu instid0(VALU_DEP_2) | instskip(NEXT) | instid1(VALU_DEP_2)
	v_add_nc_u32_e32 v8, v8, v14
	v_mul_hi_u32 v14, v2, v10
	s_delay_alu instid0(VALU_DEP_2)
	v_mul_lo_u32 v19, v2, v8
	v_mul_hi_u32 v20, v2, v8
	v_mul_hi_u32 v22, v7, v10
	v_mul_lo_u32 v10, v7, v10
	v_mul_hi_u32 v23, v7, v8
	v_mul_lo_u32 v8, v7, v8
	v_add_co_u32 v14, vcc_lo, v14, v19
	v_add_co_ci_u32_e32 v19, vcc_lo, 0, v20, vcc_lo
	s_delay_alu instid0(VALU_DEP_2) | instskip(NEXT) | instid1(VALU_DEP_2)
	v_add_co_u32 v10, vcc_lo, v14, v10
	v_add_co_ci_u32_e32 v10, vcc_lo, v19, v22, vcc_lo
	v_add_co_ci_u32_e32 v14, vcc_lo, 0, v23, vcc_lo
	s_delay_alu instid0(VALU_DEP_2) | instskip(NEXT) | instid1(VALU_DEP_2)
	v_add_co_u32 v8, vcc_lo, v10, v8
	v_add_co_ci_u32_e32 v10, vcc_lo, 0, v14, vcc_lo
	s_delay_alu instid0(VALU_DEP_2) | instskip(NEXT) | instid1(VALU_DEP_2)
	v_add_co_u32 v2, vcc_lo, v2, v8
	v_add_co_ci_u32_e32 v7, vcc_lo, v7, v10, vcc_lo
	s_delay_alu instid0(VALU_DEP_2) | instskip(SKIP_1) | instid1(VALU_DEP_3)
	v_mul_hi_u32 v8, s0, v2
	v_mul_lo_u32 v14, s61, v2
	v_mul_lo_u32 v10, s0, v7
	s_delay_alu instid0(VALU_DEP_1) | instskip(SKIP_1) | instid1(VALU_DEP_2)
	v_add_nc_u32_e32 v8, v8, v10
	v_mul_lo_u32 v10, s0, v2
	v_add_nc_u32_e32 v8, v8, v14
	s_delay_alu instid0(VALU_DEP_2) | instskip(NEXT) | instid1(VALU_DEP_2)
	v_mul_hi_u32 v14, v2, v10
	v_mul_lo_u32 v19, v2, v8
	v_mul_hi_u32 v20, v2, v8
	v_mul_hi_u32 v22, v7, v10
	v_mul_lo_u32 v10, v7, v10
	v_mul_hi_u32 v23, v7, v8
	v_mul_lo_u32 v8, v7, v8
	v_add_co_u32 v14, vcc_lo, v14, v19
	v_add_co_ci_u32_e32 v19, vcc_lo, 0, v20, vcc_lo
	s_delay_alu instid0(VALU_DEP_2) | instskip(NEXT) | instid1(VALU_DEP_2)
	v_add_co_u32 v10, vcc_lo, v14, v10
	v_add_co_ci_u32_e32 v10, vcc_lo, v19, v22, vcc_lo
	v_add_co_ci_u32_e32 v14, vcc_lo, 0, v23, vcc_lo
	v_add_co_u32 v19, vcc_lo, v24, v21
	v_add_co_ci_u32_e32 v20, vcc_lo, v27, v21, vcc_lo
	s_delay_alu instid0(VALU_DEP_4) | instskip(NEXT) | instid1(VALU_DEP_4)
	v_add_co_u32 v8, vcc_lo, v10, v8
	v_add_co_ci_u32_e32 v10, vcc_lo, 0, v14, vcc_lo
	s_delay_alu instid0(VALU_DEP_4) | instskip(NEXT) | instid1(VALU_DEP_3)
	v_xor_b32_e32 v14, v19, v21
	v_add_co_u32 v2, vcc_lo, v2, v8
	s_delay_alu instid0(VALU_DEP_3) | instskip(SKIP_1) | instid1(VALU_DEP_3)
	v_add_co_ci_u32_e32 v10, vcc_lo, v7, v10, vcc_lo
	v_xor_b32_e32 v24, v20, v21
	v_mul_hi_u32 v25, v14, v2
	s_delay_alu instid0(VALU_DEP_3) | instskip(NEXT) | instid1(VALU_DEP_3)
	v_mad_u64_u32 v[7:8], null, v14, v10, 0
	v_mad_u64_u32 v[19:20], null, v24, v2, 0
	;; [unrolled: 1-line block ×3, first 2 shown]
	s_delay_alu instid0(VALU_DEP_3) | instskip(NEXT) | instid1(VALU_DEP_4)
	v_add_co_u32 v2, vcc_lo, v25, v7
	v_add_co_ci_u32_e32 v7, vcc_lo, 0, v8, vcc_lo
	s_delay_alu instid0(VALU_DEP_2) | instskip(NEXT) | instid1(VALU_DEP_2)
	v_add_co_u32 v2, vcc_lo, v2, v19
	v_add_co_ci_u32_e32 v2, vcc_lo, v7, v20, vcc_lo
	v_add_co_ci_u32_e32 v7, vcc_lo, 0, v23, vcc_lo
	s_delay_alu instid0(VALU_DEP_2) | instskip(NEXT) | instid1(VALU_DEP_2)
	v_add_co_u32 v2, vcc_lo, v2, v22
	v_add_co_ci_u32_e32 v10, vcc_lo, 0, v7, vcc_lo
	s_delay_alu instid0(VALU_DEP_2) | instskip(SKIP_1) | instid1(VALU_DEP_3)
	v_mul_lo_u32 v19, s63, v2
	v_mad_u64_u32 v[7:8], null, s62, v2, 0
	v_mul_lo_u32 v20, s62, v10
	s_delay_alu instid0(VALU_DEP_2) | instskip(NEXT) | instid1(VALU_DEP_2)
	v_sub_co_u32 v7, vcc_lo, v14, v7
	v_add3_u32 v8, v8, v20, v19
	s_delay_alu instid0(VALU_DEP_1) | instskip(NEXT) | instid1(VALU_DEP_1)
	v_sub_nc_u32_e32 v19, v24, v8
	v_subrev_co_ci_u32_e64 v14, s0, s63, v19, vcc_lo
	v_add_co_u32 v19, s0, v2, 2
	s_delay_alu instid0(VALU_DEP_1) | instskip(SKIP_3) | instid1(VALU_DEP_3)
	v_add_co_ci_u32_e64 v20, s0, 0, v10, s0
	v_sub_co_u32 v22, s0, v7, s62
	v_sub_co_ci_u32_e32 v8, vcc_lo, v24, v8, vcc_lo
	v_subrev_co_ci_u32_e64 v14, s0, 0, v14, s0
	v_cmp_le_u32_e32 vcc_lo, s62, v22
	s_delay_alu instid0(VALU_DEP_3) | instskip(SKIP_1) | instid1(VALU_DEP_4)
	v_cmp_eq_u32_e64 s0, s63, v8
	v_cndmask_b32_e64 v22, 0, -1, vcc_lo
	v_cmp_le_u32_e32 vcc_lo, s63, v14
	v_cndmask_b32_e64 v23, 0, -1, vcc_lo
	v_cmp_le_u32_e32 vcc_lo, s62, v7
	;; [unrolled: 2-line block ×3, first 2 shown]
	v_cndmask_b32_e64 v24, 0, -1, vcc_lo
	v_cmp_eq_u32_e32 vcc_lo, s63, v14
	s_delay_alu instid0(VALU_DEP_2) | instskip(SKIP_3) | instid1(VALU_DEP_3)
	v_cndmask_b32_e64 v7, v24, v7, s0
	v_cndmask_b32_e32 v14, v23, v22, vcc_lo
	v_add_co_u32 v22, vcc_lo, v2, 1
	v_add_co_ci_u32_e32 v23, vcc_lo, 0, v10, vcc_lo
	v_cmp_ne_u32_e32 vcc_lo, 0, v14
                                        ; implicit-def: $vgpr24
	s_delay_alu instid0(VALU_DEP_2) | instskip(NEXT) | instid1(VALU_DEP_4)
	v_cndmask_b32_e32 v8, v23, v20, vcc_lo
	v_cndmask_b32_e32 v14, v22, v19, vcc_lo
	v_cmp_ne_u32_e32 vcc_lo, 0, v7
	v_xor_b32_e32 v19, s60, v21
	s_delay_alu instid0(VALU_DEP_3) | instskip(SKIP_1) | instid1(VALU_DEP_2)
	v_cndmask_b32_e32 v2, v2, v14, vcc_lo
	v_cndmask_b32_e32 v7, v10, v8, vcc_lo
	v_xor_b32_e32 v2, v2, v19
	s_delay_alu instid0(VALU_DEP_2) | instskip(NEXT) | instid1(VALU_DEP_2)
	v_xor_b32_e32 v8, v7, v19
	v_sub_co_u32 v7, vcc_lo, v2, v19
	s_delay_alu instid0(VALU_DEP_2)
	v_sub_co_ci_u32_e32 v8, vcc_lo, v8, v19, vcc_lo
                                        ; implicit-def: $vgpr19
.LBB47_29:                              ;   in Loop: Header=BB47_3 Depth=1
	s_and_not1_saveexec_b32 s0, s72
	s_cbranch_execz .LBB47_31
; %bb.30:                               ;   in Loop: Header=BB47_3 Depth=1
	v_rcp_iflag_f32_e32 v2, v19
	s_sub_i32 s60, 0, s36
	s_waitcnt_depctr 0xfff
	v_mul_f32_e32 v2, 0x4f7ffffe, v2
	s_delay_alu instid0(VALU_DEP_1) | instskip(NEXT) | instid1(VALU_DEP_1)
	v_cvt_u32_f32_e32 v2, v2
	v_mul_lo_u32 v7, s60, v2
	s_delay_alu instid0(VALU_DEP_1) | instskip(NEXT) | instid1(VALU_DEP_1)
	v_mul_hi_u32 v7, v2, v7
	v_add_nc_u32_e32 v2, v2, v7
	s_delay_alu instid0(VALU_DEP_1) | instskip(NEXT) | instid1(VALU_DEP_1)
	v_mul_hi_u32 v2, v24, v2
	v_mul_lo_u32 v7, v2, s36
	v_add_nc_u32_e32 v8, 1, v2
	s_delay_alu instid0(VALU_DEP_2) | instskip(NEXT) | instid1(VALU_DEP_1)
	v_sub_nc_u32_e32 v7, v24, v7
	v_subrev_nc_u32_e32 v10, s36, v7
	v_cmp_le_u32_e32 vcc_lo, s36, v7
	s_delay_alu instid0(VALU_DEP_2) | instskip(NEXT) | instid1(VALU_DEP_1)
	v_dual_cndmask_b32 v7, v7, v10 :: v_dual_cndmask_b32 v2, v2, v8
	v_cmp_le_u32_e32 vcc_lo, s36, v7
	s_delay_alu instid0(VALU_DEP_2) | instskip(NEXT) | instid1(VALU_DEP_1)
	v_add_nc_u32_e32 v8, 1, v2
	v_dual_cndmask_b32 v7, v2, v8 :: v_dual_mov_b32 v8, v1
.LBB47_31:                              ;   in Loop: Header=BB47_3 Depth=1
	s_or_b32 exec_lo, exec_lo, s0
	s_delay_alu instid0(VALU_DEP_1) | instskip(NEXT) | instid1(VALU_DEP_2)
	v_mul_lo_u32 v2, v8, s36
	v_mul_lo_u32 v10, v7, s37
	v_mad_u64_u32 v[19:20], null, v7, s36, 0
	v_mul_lo_u32 v14, v8, s12
	s_mov_b32 s0, exec_lo
	s_delay_alu instid0(VALU_DEP_2) | instskip(NEXT) | instid1(VALU_DEP_3)
	v_add3_u32 v2, v20, v10, v2
	v_sub_co_u32 v8, vcc_lo, v11, v19
	v_mad_u64_u32 v[10:11], null, v7, s12, 0
	s_delay_alu instid0(VALU_DEP_3) | instskip(NEXT) | instid1(VALU_DEP_3)
	v_sub_co_ci_u32_e32 v2, vcc_lo, v12, v2, vcc_lo
	v_add_co_u32 v19, vcc_lo, v3, v8
	v_mul_lo_u32 v12, v7, s13
	s_delay_alu instid0(VALU_DEP_3) | instskip(NEXT) | instid1(VALU_DEP_3)
	v_add_co_ci_u32_e32 v2, vcc_lo, v4, v2, vcc_lo
	v_mul_lo_u32 v20, v19, s15
	v_mad_u64_u32 v[7:8], null, v19, s14, 0
	s_delay_alu instid0(VALU_DEP_3) | instskip(SKIP_1) | instid1(VALU_DEP_1)
	v_mul_lo_u32 v2, v2, s14
	v_add3_u32 v11, v11, v12, v14
	v_lshlrev_b64 v[10:11], 1, v[10:11]
	s_delay_alu instid0(VALU_DEP_3) | instskip(NEXT) | instid1(VALU_DEP_2)
	v_add3_u32 v8, v8, v20, v2
	v_add_co_u32 v2, vcc_lo, s30, v10
	s_delay_alu instid0(VALU_DEP_2) | instskip(NEXT) | instid1(VALU_DEP_4)
	v_lshlrev_b64 v[7:8], 1, v[7:8]
	v_add_co_ci_u32_e32 v10, vcc_lo, s31, v11, vcc_lo
	s_delay_alu instid0(VALU_DEP_2) | instskip(NEXT) | instid1(VALU_DEP_2)
	v_add_co_u32 v7, vcc_lo, v2, v7
	v_add_co_ci_u32_e32 v8, vcc_lo, v10, v8, vcc_lo
	v_or_b32_e32 v2, s47, v4
	global_load_u16 v10, v[7:8], off
                                        ; implicit-def: $vgpr7_vgpr8
	v_cmpx_ne_u64_e32 0, v[1:2]
	s_xor_b32 s72, exec_lo, s0
	s_cbranch_execz .LBB47_33
; %bb.32:                               ;   in Loop: Header=BB47_3 Depth=1
	s_ashr_i32 s60, s47, 31
	s_delay_alu instid0(SALU_CYCLE_1) | instskip(SKIP_2) | instid1(SALU_CYCLE_1)
	s_add_u32 s62, s46, s60
	s_mov_b32 s61, s60
	s_addc_u32 s63, s47, s60
	s_xor_b64 s[62:63], s[62:63], s[60:61]
	s_delay_alu instid0(SALU_CYCLE_1) | instskip(SKIP_3) | instid1(VALU_DEP_1)
	v_cvt_f32_u32_e32 v2, s62
	v_cvt_f32_u32_e32 v7, s63
	s_sub_u32 s0, 0, s62
	s_subb_u32 s61, 0, s63
	v_fmac_f32_e32 v2, 0x4f800000, v7
	s_delay_alu instid0(VALU_DEP_1) | instskip(SKIP_2) | instid1(VALU_DEP_1)
	v_rcp_f32_e32 v2, v2
	s_waitcnt_depctr 0xfff
	v_mul_f32_e32 v2, 0x5f7ffffc, v2
	v_mul_f32_e32 v7, 0x2f800000, v2
	s_delay_alu instid0(VALU_DEP_1) | instskip(NEXT) | instid1(VALU_DEP_1)
	v_trunc_f32_e32 v7, v7
	v_fmac_f32_e32 v2, 0xcf800000, v7
	v_cvt_u32_f32_e32 v7, v7
	s_delay_alu instid0(VALU_DEP_2) | instskip(NEXT) | instid1(VALU_DEP_2)
	v_cvt_u32_f32_e32 v2, v2
	v_mul_lo_u32 v8, s0, v7
	s_delay_alu instid0(VALU_DEP_2) | instskip(SKIP_1) | instid1(VALU_DEP_2)
	v_mul_hi_u32 v11, s0, v2
	v_mul_lo_u32 v12, s61, v2
	v_add_nc_u32_e32 v8, v11, v8
	v_mul_lo_u32 v11, s0, v2
	s_delay_alu instid0(VALU_DEP_2) | instskip(NEXT) | instid1(VALU_DEP_2)
	v_add_nc_u32_e32 v8, v8, v12
	v_mul_hi_u32 v12, v2, v11
	s_delay_alu instid0(VALU_DEP_2)
	v_mul_lo_u32 v14, v2, v8
	v_mul_hi_u32 v19, v2, v8
	v_mul_hi_u32 v20, v7, v11
	v_mul_lo_u32 v11, v7, v11
	v_mul_hi_u32 v21, v7, v8
	v_mul_lo_u32 v8, v7, v8
	v_add_co_u32 v12, vcc_lo, v12, v14
	v_add_co_ci_u32_e32 v14, vcc_lo, 0, v19, vcc_lo
	s_delay_alu instid0(VALU_DEP_2) | instskip(NEXT) | instid1(VALU_DEP_2)
	v_add_co_u32 v11, vcc_lo, v12, v11
	v_add_co_ci_u32_e32 v11, vcc_lo, v14, v20, vcc_lo
	v_add_co_ci_u32_e32 v12, vcc_lo, 0, v21, vcc_lo
	s_delay_alu instid0(VALU_DEP_2) | instskip(NEXT) | instid1(VALU_DEP_2)
	v_add_co_u32 v8, vcc_lo, v11, v8
	v_add_co_ci_u32_e32 v11, vcc_lo, 0, v12, vcc_lo
	s_delay_alu instid0(VALU_DEP_2) | instskip(NEXT) | instid1(VALU_DEP_2)
	v_add_co_u32 v2, vcc_lo, v2, v8
	v_add_co_ci_u32_e32 v7, vcc_lo, v7, v11, vcc_lo
	s_delay_alu instid0(VALU_DEP_2) | instskip(SKIP_1) | instid1(VALU_DEP_3)
	v_mul_hi_u32 v8, s0, v2
	v_mul_lo_u32 v12, s61, v2
	v_mul_lo_u32 v11, s0, v7
	s_delay_alu instid0(VALU_DEP_1) | instskip(SKIP_1) | instid1(VALU_DEP_2)
	v_add_nc_u32_e32 v8, v8, v11
	v_mul_lo_u32 v11, s0, v2
	v_add_nc_u32_e32 v8, v8, v12
	s_delay_alu instid0(VALU_DEP_2) | instskip(NEXT) | instid1(VALU_DEP_2)
	v_mul_hi_u32 v12, v2, v11
	v_mul_lo_u32 v14, v2, v8
	v_mul_hi_u32 v19, v2, v8
	v_mul_hi_u32 v20, v7, v11
	v_mul_lo_u32 v11, v7, v11
	v_mul_hi_u32 v21, v7, v8
	v_mul_lo_u32 v8, v7, v8
	v_add_co_u32 v12, vcc_lo, v12, v14
	v_add_co_ci_u32_e32 v14, vcc_lo, 0, v19, vcc_lo
	s_delay_alu instid0(VALU_DEP_2) | instskip(NEXT) | instid1(VALU_DEP_2)
	v_add_co_u32 v11, vcc_lo, v12, v11
	v_add_co_ci_u32_e32 v11, vcc_lo, v14, v20, vcc_lo
	v_add_co_ci_u32_e32 v12, vcc_lo, 0, v21, vcc_lo
	v_add_co_u32 v14, vcc_lo, v3, v15
	v_add_co_ci_u32_e32 v19, vcc_lo, v4, v15, vcc_lo
	s_delay_alu instid0(VALU_DEP_4) | instskip(NEXT) | instid1(VALU_DEP_4)
	v_add_co_u32 v8, vcc_lo, v11, v8
	v_add_co_ci_u32_e32 v11, vcc_lo, 0, v12, vcc_lo
	s_delay_alu instid0(VALU_DEP_4) | instskip(NEXT) | instid1(VALU_DEP_3)
	v_xor_b32_e32 v14, v14, v15
	v_add_co_u32 v2, vcc_lo, v2, v8
	s_delay_alu instid0(VALU_DEP_3) | instskip(SKIP_1) | instid1(VALU_DEP_3)
	v_add_co_ci_u32_e32 v21, vcc_lo, v7, v11, vcc_lo
	v_xor_b32_e32 v22, v19, v15
	v_mul_hi_u32 v23, v14, v2
	s_delay_alu instid0(VALU_DEP_3) | instskip(NEXT) | instid1(VALU_DEP_3)
	v_mad_u64_u32 v[7:8], null, v14, v21, 0
	v_mad_u64_u32 v[11:12], null, v22, v2, 0
	;; [unrolled: 1-line block ×3, first 2 shown]
	s_delay_alu instid0(VALU_DEP_3) | instskip(NEXT) | instid1(VALU_DEP_4)
	v_add_co_u32 v2, vcc_lo, v23, v7
	v_add_co_ci_u32_e32 v7, vcc_lo, 0, v8, vcc_lo
	s_delay_alu instid0(VALU_DEP_2) | instskip(NEXT) | instid1(VALU_DEP_2)
	v_add_co_u32 v2, vcc_lo, v2, v11
	v_add_co_ci_u32_e32 v2, vcc_lo, v7, v12, vcc_lo
	v_add_co_ci_u32_e32 v7, vcc_lo, 0, v20, vcc_lo
	s_delay_alu instid0(VALU_DEP_2) | instskip(NEXT) | instid1(VALU_DEP_2)
	v_add_co_u32 v2, vcc_lo, v2, v19
	v_add_co_ci_u32_e32 v11, vcc_lo, 0, v7, vcc_lo
	s_delay_alu instid0(VALU_DEP_2) | instskip(SKIP_1) | instid1(VALU_DEP_3)
	v_mul_lo_u32 v12, s63, v2
	v_mad_u64_u32 v[7:8], null, s62, v2, 0
	v_mul_lo_u32 v19, s62, v11
	s_delay_alu instid0(VALU_DEP_2) | instskip(NEXT) | instid1(VALU_DEP_2)
	v_sub_co_u32 v7, vcc_lo, v14, v7
	v_add3_u32 v8, v8, v19, v12
	s_delay_alu instid0(VALU_DEP_1) | instskip(NEXT) | instid1(VALU_DEP_1)
	v_sub_nc_u32_e32 v12, v22, v8
	v_subrev_co_ci_u32_e64 v12, s0, s63, v12, vcc_lo
	v_add_co_u32 v14, s0, v2, 2
	s_delay_alu instid0(VALU_DEP_1) | instskip(SKIP_3) | instid1(VALU_DEP_3)
	v_add_co_ci_u32_e64 v19, s0, 0, v11, s0
	v_sub_co_u32 v20, s0, v7, s62
	v_sub_co_ci_u32_e32 v8, vcc_lo, v22, v8, vcc_lo
	v_subrev_co_ci_u32_e64 v12, s0, 0, v12, s0
	v_cmp_le_u32_e32 vcc_lo, s62, v20
	s_delay_alu instid0(VALU_DEP_3) | instskip(SKIP_1) | instid1(VALU_DEP_4)
	v_cmp_eq_u32_e64 s0, s63, v8
	v_cndmask_b32_e64 v20, 0, -1, vcc_lo
	v_cmp_le_u32_e32 vcc_lo, s63, v12
	v_cndmask_b32_e64 v21, 0, -1, vcc_lo
	v_cmp_le_u32_e32 vcc_lo, s62, v7
	;; [unrolled: 2-line block ×3, first 2 shown]
	v_cndmask_b32_e64 v22, 0, -1, vcc_lo
	v_cmp_eq_u32_e32 vcc_lo, s63, v12
	s_delay_alu instid0(VALU_DEP_2) | instskip(SKIP_3) | instid1(VALU_DEP_3)
	v_cndmask_b32_e64 v7, v22, v7, s0
	v_cndmask_b32_e32 v12, v21, v20, vcc_lo
	v_add_co_u32 v20, vcc_lo, v2, 1
	v_add_co_ci_u32_e32 v21, vcc_lo, 0, v11, vcc_lo
	v_cmp_ne_u32_e32 vcc_lo, 0, v12
	s_delay_alu instid0(VALU_DEP_2) | instskip(NEXT) | instid1(VALU_DEP_4)
	v_cndmask_b32_e32 v8, v21, v19, vcc_lo
	v_cndmask_b32_e32 v12, v20, v14, vcc_lo
	v_cmp_ne_u32_e32 vcc_lo, 0, v7
	v_xor_b32_e32 v14, s60, v15
	s_delay_alu instid0(VALU_DEP_3) | instskip(SKIP_1) | instid1(VALU_DEP_2)
	v_cndmask_b32_e32 v2, v2, v12, vcc_lo
	v_cndmask_b32_e32 v7, v11, v8, vcc_lo
	v_xor_b32_e32 v2, v2, v14
	s_delay_alu instid0(VALU_DEP_2) | instskip(NEXT) | instid1(VALU_DEP_2)
	v_xor_b32_e32 v8, v7, v14
	v_sub_co_u32 v7, vcc_lo, v2, v14
	s_delay_alu instid0(VALU_DEP_2)
	v_sub_co_ci_u32_e32 v8, vcc_lo, v8, v14, vcc_lo
.LBB47_33:                              ;   in Loop: Header=BB47_3 Depth=1
	s_and_not1_saveexec_b32 s0, s72
	s_cbranch_execz .LBB47_35
; %bb.34:                               ;   in Loop: Header=BB47_3 Depth=1
	v_cvt_f32_u32_e32 v2, s46
	s_sub_i32 s60, 0, s46
	s_delay_alu instid0(VALU_DEP_1) | instskip(SKIP_2) | instid1(VALU_DEP_1)
	v_rcp_iflag_f32_e32 v2, v2
	s_waitcnt_depctr 0xfff
	v_mul_f32_e32 v2, 0x4f7ffffe, v2
	v_cvt_u32_f32_e32 v2, v2
	s_delay_alu instid0(VALU_DEP_1) | instskip(NEXT) | instid1(VALU_DEP_1)
	v_mul_lo_u32 v7, s60, v2
	v_mul_hi_u32 v7, v2, v7
	s_delay_alu instid0(VALU_DEP_1) | instskip(NEXT) | instid1(VALU_DEP_1)
	v_add_nc_u32_e32 v2, v2, v7
	v_mul_hi_u32 v2, v3, v2
	s_delay_alu instid0(VALU_DEP_1) | instskip(SKIP_1) | instid1(VALU_DEP_2)
	v_mul_lo_u32 v7, v2, s46
	v_add_nc_u32_e32 v8, 1, v2
	v_sub_nc_u32_e32 v7, v3, v7
	s_delay_alu instid0(VALU_DEP_1) | instskip(SKIP_1) | instid1(VALU_DEP_2)
	v_subrev_nc_u32_e32 v11, s46, v7
	v_cmp_le_u32_e32 vcc_lo, s46, v7
	v_dual_cndmask_b32 v7, v7, v11 :: v_dual_cndmask_b32 v2, v2, v8
	s_delay_alu instid0(VALU_DEP_1) | instskip(NEXT) | instid1(VALU_DEP_2)
	v_cmp_le_u32_e32 vcc_lo, s46, v7
	v_add_nc_u32_e32 v8, 1, v2
	s_delay_alu instid0(VALU_DEP_1)
	v_dual_cndmask_b32 v7, v2, v8 :: v_dual_mov_b32 v8, v1
.LBB47_35:                              ;   in Loop: Header=BB47_3 Depth=1
	s_or_b32 exec_lo, exec_lo, s0
	s_delay_alu instid0(VALU_DEP_1) | instskip(NEXT) | instid1(VALU_DEP_2)
	v_mad_u64_u32 v[11:12], null, s67, v7, v[3:4]
	v_mul_lo_u32 v2, s67, v8
	v_mul_lo_u32 v14, s68, v7
	;; [unrolled: 1-line block ×4, first 2 shown]
	v_mad_u64_u32 v[19:20], null, v7, s16, 0
	v_mad_u64_u32 v[7:8], null, v11, s18, 0
	s_mov_b32 s0, exec_lo
	v_add3_u32 v2, v14, v12, v2
	v_mul_lo_u32 v12, v11, s19
	s_delay_alu instid0(VALU_DEP_4) | instskip(NEXT) | instid1(VALU_DEP_3)
	v_add3_u32 v20, v20, v22, v21
	v_mul_lo_u32 v2, v2, s18
	s_delay_alu instid0(VALU_DEP_1) | instskip(NEXT) | instid1(VALU_DEP_3)
	v_add3_u32 v8, v8, v12, v2
	v_lshlrev_b64 v[11:12], 1, v[19:20]
	s_delay_alu instid0(VALU_DEP_2) | instskip(NEXT) | instid1(VALU_DEP_2)
	v_lshlrev_b64 v[7:8], 1, v[7:8]
	v_add_co_u32 v2, vcc_lo, s44, v11
	s_delay_alu instid0(VALU_DEP_3) | instskip(NEXT) | instid1(VALU_DEP_2)
	v_add_co_ci_u32_e32 v11, vcc_lo, s45, v12, vcc_lo
	v_add_co_u32 v7, vcc_lo, v2, v7
	s_delay_alu instid0(VALU_DEP_2)
	v_add_co_ci_u32_e32 v8, vcc_lo, v11, v8, vcc_lo
	v_or_b32_e32 v2, s51, v4
	global_load_u16 v11, v[7:8], off
                                        ; implicit-def: $vgpr7_vgpr8
	v_cmpx_ne_u64_e32 0, v[1:2]
	s_xor_b32 s72, exec_lo, s0
	s_cbranch_execnz .LBB47_39
; %bb.36:                               ;   in Loop: Header=BB47_3 Depth=1
	s_and_not1_saveexec_b32 s0, s72
	s_cbranch_execnz .LBB47_40
.LBB47_37:                              ;   in Loop: Header=BB47_3 Depth=1
	s_or_b32 exec_lo, exec_lo, s0
	v_mov_b32_e32 v2, 0
	s_and_not1_b32 vcc_lo, exec_lo, s1
	s_cbranch_vccnz .LBB47_41
.LBB47_38:                              ;   in Loop: Header=BB47_3 Depth=1
	v_sub_co_u32 v2, vcc_lo, 2, v5
	v_sub_co_ci_u32_e32 v12, vcc_lo, 0, v6, vcc_lo
	v_mul_lo_u32 v21, s66, v5
	s_delay_alu instid0(VALU_DEP_3) | instskip(SKIP_1) | instid1(VALU_DEP_4)
	v_mul_lo_u32 v19, s5, v2
	v_mad_u64_u32 v[14:15], null, s4, v2, v[3:4]
	v_mul_lo_u32 v12, s4, v12
	s_delay_alu instid0(VALU_DEP_1) | instskip(NEXT) | instid1(VALU_DEP_3)
	v_add3_u32 v2, v19, v15, v12
	v_mul_lo_u32 v12, v14, s39
	v_mad_u64_u32 v[19:20], null, v14, s38, 0
	s_delay_alu instid0(VALU_DEP_3) | instskip(SKIP_1) | instid1(VALU_DEP_2)
	v_mul_lo_u32 v15, v2, s38
	v_mul_lo_u32 v2, v2, s42
	v_add3_u32 v20, v20, v12, v15
	v_mul_lo_u32 v15, s65, v6
	s_delay_alu instid0(VALU_DEP_2) | instskip(NEXT) | instid1(VALU_DEP_1)
	v_lshlrev_b64 v[19:20], 1, v[19:20]
	v_add_co_u32 v19, vcc_lo, s34, v19
	s_delay_alu instid0(VALU_DEP_2)
	v_add_co_ci_u32_e32 v20, vcc_lo, s35, v20, vcc_lo
	v_sub_co_u32 v24, vcc_lo, 1, v5
	v_sub_co_ci_u32_e32 v22, vcc_lo, 0, v6, vcc_lo
	global_load_u16 v12, v[19:20], off
	v_mad_u64_u32 v[19:20], null, s65, v5, v[3:4]
	v_mul_lo_u32 v27, s4, v22
	v_mul_lo_u32 v28, s5, v24
	v_mad_u64_u32 v[22:23], null, s4, v24, v[3:4]
	s_delay_alu instid0(VALU_DEP_4) | instskip(SKIP_2) | instid1(VALU_DEP_4)
	v_add3_u32 v15, v21, v20, v15
	v_mul_lo_u32 v25, v19, s39
	v_mad_u64_u32 v[20:21], null, v19, s38, 0
	v_add3_u32 v27, v28, v23, v27
	s_delay_alu instid0(VALU_DEP_4) | instskip(SKIP_2) | instid1(VALU_DEP_4)
	v_mul_lo_u32 v26, v15, s38
	v_mul_lo_u32 v29, v22, s39
	v_mad_u64_u32 v[23:24], null, v22, s38, 0
	v_mul_lo_u32 v28, v27, s38
	v_mul_lo_u32 v30, v19, s43
	;; [unrolled: 1-line block ×4, first 2 shown]
	v_add3_u32 v21, v21, v25, v26
	v_mad_u64_u32 v[25:26], null, v19, s42, 0
	v_add3_u32 v24, v24, v29, v28
	s_delay_alu instid0(VALU_DEP_3)
	v_lshlrev_b64 v[20:21], 1, v[20:21]
	v_mul_lo_u32 v29, v27, s42
	v_mad_u64_u32 v[27:28], null, v22, s42, 0
	v_add3_u32 v26, v26, v30, v15
	v_mul_lo_u32 v30, v14, s43
	v_add_co_u32 v19, vcc_lo, s34, v20
	v_add_co_ci_u32_e32 v20, vcc_lo, s35, v21, vcc_lo
	v_lshlrev_b64 v[21:22], 1, v[23:24]
	v_mad_u64_u32 v[23:24], null, v14, s42, 0
	v_lshlrev_b64 v[14:15], 1, v[25:26]
	v_add3_u32 v28, v28, v31, v29
	s_delay_alu instid0(VALU_DEP_4) | instskip(SKIP_2) | instid1(VALU_DEP_4)
	v_add_co_u32 v21, vcc_lo, s34, v21
	v_add_co_ci_u32_e32 v22, vcc_lo, s35, v22, vcc_lo
	v_add3_u32 v24, v24, v30, v2
	v_lshlrev_b64 v[25:26], 1, v[27:28]
	v_add_co_u32 v27, vcc_lo, s40, v14
	v_add_co_ci_u32_e32 v28, vcc_lo, s41, v15, vcc_lo
	s_delay_alu instid0(VALU_DEP_4) | instskip(NEXT) | instid1(VALU_DEP_4)
	v_lshlrev_b64 v[14:15], 1, v[23:24]
	v_add_co_u32 v23, vcc_lo, s40, v25
	v_add_co_ci_u32_e32 v24, vcc_lo, s41, v26, vcc_lo
	s_delay_alu instid0(VALU_DEP_3) | instskip(NEXT) | instid1(VALU_DEP_4)
	v_add_co_u32 v25, vcc_lo, s40, v14
	v_add_co_ci_u32_e32 v26, vcc_lo, s41, v15, vcc_lo
	s_clause 0x1
	global_load_u16 v19, v[19:20], off
	global_load_u16 v14, v[21:22], off
	s_clause 0x2
	global_load_u16 v15, v[27:28], off
	global_load_u16 v2, v[23:24], off
	global_load_d16_hi_b16 v12, v[25:26], off
	s_branch .LBB47_42
.LBB47_39:                              ;   in Loop: Header=BB47_3 Depth=1
	s_ashr_i32 s60, s51, 31
	s_delay_alu instid0(SALU_CYCLE_1) | instskip(SKIP_2) | instid1(SALU_CYCLE_1)
	s_add_u32 s62, s50, s60
	s_mov_b32 s61, s60
	s_addc_u32 s63, s51, s60
	s_xor_b64 s[62:63], s[62:63], s[60:61]
	s_delay_alu instid0(SALU_CYCLE_1) | instskip(SKIP_3) | instid1(VALU_DEP_1)
	v_cvt_f32_u32_e32 v2, s62
	v_cvt_f32_u32_e32 v7, s63
	s_sub_u32 s0, 0, s62
	s_subb_u32 s61, 0, s63
	v_fmac_f32_e32 v2, 0x4f800000, v7
	s_delay_alu instid0(VALU_DEP_1) | instskip(SKIP_2) | instid1(VALU_DEP_1)
	v_rcp_f32_e32 v2, v2
	s_waitcnt_depctr 0xfff
	v_mul_f32_e32 v2, 0x5f7ffffc, v2
	v_mul_f32_e32 v7, 0x2f800000, v2
	s_delay_alu instid0(VALU_DEP_1) | instskip(NEXT) | instid1(VALU_DEP_1)
	v_trunc_f32_e32 v7, v7
	v_fmac_f32_e32 v2, 0xcf800000, v7
	v_cvt_u32_f32_e32 v7, v7
	s_delay_alu instid0(VALU_DEP_2) | instskip(NEXT) | instid1(VALU_DEP_2)
	v_cvt_u32_f32_e32 v2, v2
	v_mul_lo_u32 v8, s0, v7
	s_delay_alu instid0(VALU_DEP_2) | instskip(SKIP_1) | instid1(VALU_DEP_2)
	v_mul_hi_u32 v12, s0, v2
	v_mul_lo_u32 v14, s61, v2
	v_add_nc_u32_e32 v8, v12, v8
	v_mul_lo_u32 v12, s0, v2
	s_delay_alu instid0(VALU_DEP_2) | instskip(NEXT) | instid1(VALU_DEP_2)
	v_add_nc_u32_e32 v8, v8, v14
	v_mul_hi_u32 v14, v2, v12
	s_delay_alu instid0(VALU_DEP_2)
	v_mul_lo_u32 v19, v2, v8
	v_mul_hi_u32 v20, v2, v8
	v_mul_hi_u32 v21, v7, v12
	v_mul_lo_u32 v12, v7, v12
	v_mul_hi_u32 v22, v7, v8
	v_mul_lo_u32 v8, v7, v8
	v_add_co_u32 v14, vcc_lo, v14, v19
	v_add_co_ci_u32_e32 v19, vcc_lo, 0, v20, vcc_lo
	s_delay_alu instid0(VALU_DEP_2) | instskip(NEXT) | instid1(VALU_DEP_2)
	v_add_co_u32 v12, vcc_lo, v14, v12
	v_add_co_ci_u32_e32 v12, vcc_lo, v19, v21, vcc_lo
	v_add_co_ci_u32_e32 v14, vcc_lo, 0, v22, vcc_lo
	s_delay_alu instid0(VALU_DEP_2) | instskip(NEXT) | instid1(VALU_DEP_2)
	v_add_co_u32 v8, vcc_lo, v12, v8
	v_add_co_ci_u32_e32 v12, vcc_lo, 0, v14, vcc_lo
	s_delay_alu instid0(VALU_DEP_2) | instskip(NEXT) | instid1(VALU_DEP_2)
	v_add_co_u32 v2, vcc_lo, v2, v8
	v_add_co_ci_u32_e32 v7, vcc_lo, v7, v12, vcc_lo
	s_delay_alu instid0(VALU_DEP_2) | instskip(SKIP_1) | instid1(VALU_DEP_3)
	v_mul_hi_u32 v8, s0, v2
	v_mul_lo_u32 v14, s61, v2
	v_mul_lo_u32 v12, s0, v7
	s_delay_alu instid0(VALU_DEP_1) | instskip(SKIP_1) | instid1(VALU_DEP_2)
	v_add_nc_u32_e32 v8, v8, v12
	v_mul_lo_u32 v12, s0, v2
	v_add_nc_u32_e32 v8, v8, v14
	s_delay_alu instid0(VALU_DEP_2) | instskip(NEXT) | instid1(VALU_DEP_2)
	v_mul_hi_u32 v14, v2, v12
	v_mul_lo_u32 v19, v2, v8
	v_mul_hi_u32 v20, v2, v8
	v_mul_hi_u32 v21, v7, v12
	v_mul_lo_u32 v12, v7, v12
	v_mul_hi_u32 v22, v7, v8
	v_mul_lo_u32 v8, v7, v8
	v_add_co_u32 v14, vcc_lo, v14, v19
	v_add_co_ci_u32_e32 v19, vcc_lo, 0, v20, vcc_lo
	s_delay_alu instid0(VALU_DEP_2) | instskip(NEXT) | instid1(VALU_DEP_2)
	v_add_co_u32 v12, vcc_lo, v14, v12
	v_add_co_ci_u32_e32 v12, vcc_lo, v19, v21, vcc_lo
	v_add_co_ci_u32_e32 v14, vcc_lo, 0, v22, vcc_lo
	v_add_co_u32 v19, vcc_lo, v3, v15
	v_add_co_ci_u32_e32 v20, vcc_lo, v4, v15, vcc_lo
	s_delay_alu instid0(VALU_DEP_4) | instskip(NEXT) | instid1(VALU_DEP_4)
	v_add_co_u32 v8, vcc_lo, v12, v8
	v_add_co_ci_u32_e32 v12, vcc_lo, 0, v14, vcc_lo
	s_delay_alu instid0(VALU_DEP_4) | instskip(NEXT) | instid1(VALU_DEP_3)
	v_xor_b32_e32 v14, v19, v15
	v_add_co_u32 v2, vcc_lo, v2, v8
	s_delay_alu instid0(VALU_DEP_3) | instskip(SKIP_1) | instid1(VALU_DEP_3)
	v_add_co_ci_u32_e32 v12, vcc_lo, v7, v12, vcc_lo
	v_xor_b32_e32 v23, v20, v15
	v_mul_hi_u32 v24, v14, v2
	v_xor_b32_e32 v15, s60, v15
	s_delay_alu instid0(VALU_DEP_4) | instskip(NEXT) | instid1(VALU_DEP_4)
	v_mad_u64_u32 v[7:8], null, v14, v12, 0
	v_mad_u64_u32 v[19:20], null, v23, v2, 0
	;; [unrolled: 1-line block ×3, first 2 shown]
	s_delay_alu instid0(VALU_DEP_3) | instskip(NEXT) | instid1(VALU_DEP_4)
	v_add_co_u32 v2, vcc_lo, v24, v7
	v_add_co_ci_u32_e32 v7, vcc_lo, 0, v8, vcc_lo
	s_delay_alu instid0(VALU_DEP_2) | instskip(NEXT) | instid1(VALU_DEP_2)
	v_add_co_u32 v2, vcc_lo, v2, v19
	v_add_co_ci_u32_e32 v2, vcc_lo, v7, v20, vcc_lo
	v_add_co_ci_u32_e32 v7, vcc_lo, 0, v22, vcc_lo
	s_delay_alu instid0(VALU_DEP_2) | instskip(NEXT) | instid1(VALU_DEP_2)
	v_add_co_u32 v2, vcc_lo, v2, v21
	v_add_co_ci_u32_e32 v12, vcc_lo, 0, v7, vcc_lo
	s_delay_alu instid0(VALU_DEP_2) | instskip(SKIP_1) | instid1(VALU_DEP_3)
	v_mul_lo_u32 v19, s63, v2
	v_mad_u64_u32 v[7:8], null, s62, v2, 0
	v_mul_lo_u32 v20, s62, v12
	s_delay_alu instid0(VALU_DEP_2) | instskip(NEXT) | instid1(VALU_DEP_2)
	v_sub_co_u32 v7, vcc_lo, v14, v7
	v_add3_u32 v8, v8, v20, v19
	s_delay_alu instid0(VALU_DEP_1) | instskip(NEXT) | instid1(VALU_DEP_1)
	v_sub_nc_u32_e32 v19, v23, v8
	v_subrev_co_ci_u32_e64 v14, s0, s63, v19, vcc_lo
	v_add_co_u32 v19, s0, v2, 2
	s_delay_alu instid0(VALU_DEP_1) | instskip(SKIP_3) | instid1(VALU_DEP_3)
	v_add_co_ci_u32_e64 v20, s0, 0, v12, s0
	v_sub_co_u32 v21, s0, v7, s62
	v_sub_co_ci_u32_e32 v8, vcc_lo, v23, v8, vcc_lo
	v_subrev_co_ci_u32_e64 v14, s0, 0, v14, s0
	v_cmp_le_u32_e32 vcc_lo, s62, v21
	s_delay_alu instid0(VALU_DEP_3) | instskip(SKIP_1) | instid1(VALU_DEP_4)
	v_cmp_eq_u32_e64 s0, s63, v8
	v_cndmask_b32_e64 v21, 0, -1, vcc_lo
	v_cmp_le_u32_e32 vcc_lo, s63, v14
	v_cndmask_b32_e64 v22, 0, -1, vcc_lo
	v_cmp_le_u32_e32 vcc_lo, s62, v7
	;; [unrolled: 2-line block ×3, first 2 shown]
	v_cndmask_b32_e64 v23, 0, -1, vcc_lo
	v_cmp_eq_u32_e32 vcc_lo, s63, v14
	s_delay_alu instid0(VALU_DEP_2) | instskip(SKIP_3) | instid1(VALU_DEP_3)
	v_cndmask_b32_e64 v7, v23, v7, s0
	v_cndmask_b32_e32 v14, v22, v21, vcc_lo
	v_add_co_u32 v21, vcc_lo, v2, 1
	v_add_co_ci_u32_e32 v22, vcc_lo, 0, v12, vcc_lo
	v_cmp_ne_u32_e32 vcc_lo, 0, v14
	s_delay_alu instid0(VALU_DEP_2) | instskip(NEXT) | instid1(VALU_DEP_4)
	v_cndmask_b32_e32 v8, v22, v20, vcc_lo
	v_cndmask_b32_e32 v14, v21, v19, vcc_lo
	v_cmp_ne_u32_e32 vcc_lo, 0, v7
	s_delay_alu instid0(VALU_DEP_2) | instskip(NEXT) | instid1(VALU_DEP_1)
	v_dual_cndmask_b32 v2, v2, v14 :: v_dual_cndmask_b32 v7, v12, v8
	v_xor_b32_e32 v2, v2, v15
	s_delay_alu instid0(VALU_DEP_2) | instskip(NEXT) | instid1(VALU_DEP_2)
	v_xor_b32_e32 v8, v7, v15
	v_sub_co_u32 v7, vcc_lo, v2, v15
	s_delay_alu instid0(VALU_DEP_2)
	v_sub_co_ci_u32_e32 v8, vcc_lo, v8, v15, vcc_lo
	s_and_not1_saveexec_b32 s0, s72
	s_cbranch_execz .LBB47_37
.LBB47_40:                              ;   in Loop: Header=BB47_3 Depth=1
	v_cvt_f32_u32_e32 v2, s50
	s_sub_i32 s60, 0, s50
	s_delay_alu instid0(VALU_DEP_1) | instskip(SKIP_2) | instid1(VALU_DEP_1)
	v_rcp_iflag_f32_e32 v2, v2
	s_waitcnt_depctr 0xfff
	v_mul_f32_e32 v2, 0x4f7ffffe, v2
	v_cvt_u32_f32_e32 v2, v2
	s_delay_alu instid0(VALU_DEP_1) | instskip(NEXT) | instid1(VALU_DEP_1)
	v_mul_lo_u32 v7, s60, v2
	v_mul_hi_u32 v7, v2, v7
	s_delay_alu instid0(VALU_DEP_1) | instskip(NEXT) | instid1(VALU_DEP_1)
	v_add_nc_u32_e32 v2, v2, v7
	v_mul_hi_u32 v2, v3, v2
	s_delay_alu instid0(VALU_DEP_1) | instskip(SKIP_1) | instid1(VALU_DEP_2)
	v_mul_lo_u32 v7, v2, s50
	v_add_nc_u32_e32 v8, 1, v2
	v_sub_nc_u32_e32 v7, v3, v7
	s_delay_alu instid0(VALU_DEP_1) | instskip(SKIP_1) | instid1(VALU_DEP_2)
	v_subrev_nc_u32_e32 v12, s50, v7
	v_cmp_le_u32_e32 vcc_lo, s50, v7
	v_cndmask_b32_e32 v7, v7, v12, vcc_lo
	v_cndmask_b32_e32 v2, v2, v8, vcc_lo
	s_delay_alu instid0(VALU_DEP_2) | instskip(NEXT) | instid1(VALU_DEP_2)
	v_cmp_le_u32_e32 vcc_lo, s50, v7
	v_add_nc_u32_e32 v8, 1, v2
	s_delay_alu instid0(VALU_DEP_1)
	v_dual_cndmask_b32 v7, v2, v8 :: v_dual_mov_b32 v8, v1
	s_or_b32 exec_lo, exec_lo, s0
	v_mov_b32_e32 v2, 0
	s_and_not1_b32 vcc_lo, exec_lo, s1
	s_cbranch_vccz .LBB47_38
.LBB47_41:                              ;   in Loop: Header=BB47_3 Depth=1
	v_dual_mov_b32 v12, 0 :: v_dual_mov_b32 v15, 0
	v_dual_mov_b32 v14, 0 :: v_dual_mov_b32 v19, 0
.LBB47_42:                              ;   in Loop: Header=BB47_3 Depth=1
	s_waitcnt vmcnt(3)
	v_lshlrev_b32_e32 v13, 16, v13
	s_delay_alu instid0(VALU_DEP_2)
	v_lshlrev_b32_e32 v19, 16, v19
	v_lshlrev_b32_e32 v16, 16, v16
	;; [unrolled: 1-line block ×3, first 2 shown]
	s_waitcnt vmcnt(1)
	v_lshlrev_b32_e32 v10, 16, v10
	v_lshlrev_b32_e32 v15, 16, v15
	v_add_f32_e32 v13, v16, v13
	s_delay_alu instid0(VALU_DEP_1) | instskip(NEXT) | instid1(VALU_DEP_1)
	v_add_f32_e32 v13, v13, v19
	v_add_f32_e32 v13, v13, v15
	s_delay_alu instid0(VALU_DEP_1) | instskip(SKIP_1) | instid1(VALU_DEP_2)
	v_mul_f32_e32 v15, 0xbfb8aa3b, v13
	v_cmp_nlt_f32_e32 vcc_lo, 0x42ce8ed0, v13
	v_fma_f32 v16, 0xbfb8aa3b, v13, -v15
	v_rndne_f32_e32 v19, v15
	s_delay_alu instid0(VALU_DEP_1) | instskip(NEXT) | instid1(VALU_DEP_1)
	v_dual_fmac_f32 v16, 0xb2a5705f, v13 :: v_dual_sub_f32 v15, v15, v19
	v_add_f32_e32 v15, v15, v16
	v_cvt_i32_f32_e32 v16, v19
	s_delay_alu instid0(VALU_DEP_2) | instskip(SKIP_2) | instid1(VALU_DEP_1)
	v_exp_f32_e32 v15, v15
	s_waitcnt_depctr 0xfff
	v_ldexp_f32 v15, v15, v16
	v_cndmask_b32_e32 v15, 0, v15, vcc_lo
	v_cmp_ngt_f32_e32 vcc_lo, 0xc2b17218, v13
	s_delay_alu instid0(VALU_DEP_2) | instskip(NEXT) | instid1(VALU_DEP_1)
	v_cndmask_b32_e32 v13, 0x7f800000, v15, vcc_lo
	v_add_f32_e32 v13, 1.0, v13
	s_delay_alu instid0(VALU_DEP_1) | instskip(SKIP_1) | instid1(VALU_DEP_2)
	v_div_scale_f32 v15, null, v13, v13, 1.0
	v_div_scale_f32 v20, vcc_lo, 1.0, v13, 1.0
	v_rcp_f32_e32 v16, v15
	s_waitcnt_depctr 0xfff
	v_fma_f32 v19, -v15, v16, 1.0
	s_delay_alu instid0(VALU_DEP_1) | instskip(NEXT) | instid1(VALU_DEP_1)
	v_fmac_f32_e32 v16, v19, v16
	v_mul_f32_e32 v19, v20, v16
	s_delay_alu instid0(VALU_DEP_1) | instskip(NEXT) | instid1(VALU_DEP_1)
	v_fma_f32 v21, -v15, v19, v20
	v_fmac_f32_e32 v19, v21, v16
	s_delay_alu instid0(VALU_DEP_1) | instskip(SKIP_2) | instid1(VALU_DEP_2)
	v_fma_f32 v15, -v15, v19, v20
	s_waitcnt vmcnt(0)
	v_and_b32_e32 v20, 0xffff0000, v12
	v_div_fmas_f32 v15, v15, v16, v19
	v_lshlrev_b32_e32 v19, 16, v12
	s_delay_alu instid0(VALU_DEP_2) | instskip(NEXT) | instid1(VALU_DEP_2)
	v_div_fixup_f32 v16, v15, v13, 1.0
	v_add_f32_e32 v13, v18, v19
	v_add_f32_e32 v12, v10, v20
                                        ; implicit-def: $vgpr15
	s_delay_alu instid0(VALU_DEP_1) | instskip(NEXT) | instid1(VALU_DEP_1)
	v_fmac_f32_e32 v13, v12, v16
	v_cmp_ngt_f32_e64 s0, 0x3f200000, |v13|
	s_delay_alu instid0(VALU_DEP_1) | instskip(NEXT) | instid1(SALU_CYCLE_1)
	s_and_saveexec_b32 s60, s0
	s_xor_b32 s0, exec_lo, s60
	s_cbranch_execz .LBB47_44
; %bb.43:                               ;   in Loop: Header=BB47_3 Depth=1
	v_add_f32_e64 v10, |v13|, |v13|
	s_delay_alu instid0(VALU_DEP_1) | instskip(SKIP_1) | instid1(VALU_DEP_2)
	v_mul_f32_e32 v15, 0x3fb8aa3b, v10
	v_cmp_ngt_f32_e32 vcc_lo, 0xc2ce8ed0, v10
	v_rndne_f32_e32 v18, v15
	v_fma_f32 v19, 0x3fb8aa3b, v10, -v15
	s_delay_alu instid0(VALU_DEP_2) | instskip(NEXT) | instid1(VALU_DEP_2)
	v_sub_f32_e32 v15, v15, v18
	v_fmac_f32_e32 v19, 0x32a5705f, v10
	v_cvt_i32_f32_e32 v18, v18
	s_delay_alu instid0(VALU_DEP_2) | instskip(NEXT) | instid1(VALU_DEP_1)
	v_add_f32_e32 v15, v15, v19
	v_exp_f32_e32 v15, v15
	s_waitcnt_depctr 0xfff
	v_ldexp_f32 v15, v15, v18
	s_delay_alu instid0(VALU_DEP_1) | instskip(SKIP_1) | instid1(VALU_DEP_2)
	v_cndmask_b32_e32 v15, 0, v15, vcc_lo
	v_cmp_nlt_f32_e32 vcc_lo, 0x42b17218, v10
	v_cndmask_b32_e32 v10, 0x7f800000, v15, vcc_lo
	s_delay_alu instid0(VALU_DEP_1) | instskip(NEXT) | instid1(VALU_DEP_1)
	v_add_f32_e32 v10, 1.0, v10
	v_rcp_f32_e32 v10, v10
	s_waitcnt_depctr 0xfff
	v_fma_f32 v15, v10, -2.0, 1.0
.LBB47_44:                              ;   in Loop: Header=BB47_3 Depth=1
	s_and_not1_saveexec_b32 s0, s0
; %bb.45:                               ;   in Loop: Header=BB47_3 Depth=1
	v_mul_f32_e32 v10, v13, v13
	s_delay_alu instid0(VALU_DEP_1) | instskip(NEXT) | instid1(VALU_DEP_1)
	v_fmaak_f32 v15, s71, v10, 0x3ca908c9
	v_fmaak_f32 v15, v10, v15, 0xbd5c1c4e
	s_delay_alu instid0(VALU_DEP_1) | instskip(NEXT) | instid1(VALU_DEP_1)
	v_fmaak_f32 v15, v10, v15, 0x3e088382
	v_fmaak_f32 v15, v10, v15, 0xbeaaaa99
	s_delay_alu instid0(VALU_DEP_1) | instskip(NEXT) | instid1(VALU_DEP_1)
	v_mul_f32_e64 v15, |v13|, v15
	v_fma_f32 v15, v10, v15, |v13|
; %bb.46:                               ;   in Loop: Header=BB47_3 Depth=1
	s_or_b32 exec_lo, exec_lo, s0
	v_lshlrev_b32_e32 v9, 16, v9
	v_lshlrev_b32_e32 v14, 16, v14
	;; [unrolled: 1-line block ×4, first 2 shown]
	v_mad_u64_u32 v[17:18], null, s69, v7, v[3:4]
	v_mul_lo_u32 v25, s70, v7
	s_delay_alu instid0(VALU_DEP_4)
	v_add_f32_e32 v9, v10, v9
	v_mul_lo_u32 v26, v8, s20
	v_mul_lo_u32 v27, v7, s21
	;; [unrolled: 1-line block ×4, first 2 shown]
	v_add_f32_e32 v9, v9, v14
	s_mov_b32 s0, exec_lo
	s_delay_alu instid0(VALU_DEP_1) | instskip(NEXT) | instid1(VALU_DEP_1)
	v_add_f32_e32 v2, v9, v2
	v_mul_f32_e32 v9, 0xbfb8aa3b, v2
	v_cmp_nlt_f32_e32 vcc_lo, 0x42ce8ed0, v2
	s_delay_alu instid0(VALU_DEP_2) | instskip(SKIP_1) | instid1(VALU_DEP_2)
	v_fma_f32 v10, 0xbfb8aa3b, v2, -v9
	v_rndne_f32_e32 v14, v9
	v_fmac_f32_e32 v10, 0xb2a5705f, v2
	s_delay_alu instid0(VALU_DEP_2) | instskip(NEXT) | instid1(VALU_DEP_1)
	v_sub_f32_e32 v9, v9, v14
	v_add_f32_e32 v9, v9, v10
	v_cvt_i32_f32_e32 v10, v14
	s_delay_alu instid0(VALU_DEP_2) | instskip(SKIP_2) | instid1(VALU_DEP_1)
	v_exp_f32_e32 v9, v9
	s_waitcnt_depctr 0xfff
	v_ldexp_f32 v9, v9, v10
	v_cndmask_b32_e32 v9, 0, v9, vcc_lo
	v_cmp_ngt_f32_e32 vcc_lo, 0xc2b17218, v2
	s_delay_alu instid0(VALU_DEP_2) | instskip(NEXT) | instid1(VALU_DEP_1)
	v_cndmask_b32_e32 v2, 0x7f800000, v9, vcc_lo
	v_add_f32_e32 v2, 1.0, v2
	s_delay_alu instid0(VALU_DEP_1) | instskip(SKIP_1) | instid1(VALU_DEP_2)
	v_div_scale_f32 v14, null, v2, v2, 1.0
	v_div_scale_f32 v20, vcc_lo, 1.0, v2, 1.0
	v_rcp_f32_e32 v19, v14
	s_waitcnt_depctr 0xfff
	v_fma_f32 v9, -v14, v19, 1.0
	s_delay_alu instid0(VALU_DEP_1) | instskip(SKIP_1) | instid1(VALU_DEP_2)
	v_fmac_f32_e32 v19, v9, v19
	v_mad_u64_u32 v[9:10], null, s58, v5, 0
	v_mul_f32_e32 v21, v20, v19
	s_delay_alu instid0(VALU_DEP_2) | instskip(NEXT) | instid1(VALU_DEP_2)
	v_add3_u32 v10, v10, v23, v22
	v_fma_f32 v24, -v14, v21, v20
	s_delay_alu instid0(VALU_DEP_1) | instskip(SKIP_1) | instid1(VALU_DEP_2)
	v_fmac_f32_e32 v21, v24, v19
	v_mul_lo_u32 v24, s69, v8
	v_fma_f32 v8, -v14, v21, v20
	v_bfi_b32 v14, 0x7fffffff, v15, v13
	v_lshlrev_b32_e32 v13, 16, v11
	s_delay_alu instid0(VALU_DEP_4) | instskip(NEXT) | instid1(VALU_DEP_4)
	v_add3_u32 v18, v25, v18, v24
	v_div_fmas_f32 v8, v8, v19, v21
	v_mad_u64_u32 v[19:20], null, v7, s20, 0
	v_mul_lo_u32 v21, v17, s23
	v_sub_f32_e32 v13, v13, v14
	s_delay_alu instid0(VALU_DEP_4) | instskip(SKIP_3) | instid1(VALU_DEP_4)
	v_div_fixup_f32 v15, v8, v2, 1.0
	v_mad_u64_u32 v[7:8], null, v17, s22, 0
	v_mul_lo_u32 v2, v18, s22
	v_add3_u32 v20, v20, v27, v26
	v_fma_f32 v22, v15, v13, v14
	v_add_co_u32 v17, vcc_lo, v3, v9
	v_add_co_ci_u32_e32 v13, vcc_lo, v4, v10, vcc_lo
	s_delay_alu instid0(VALU_DEP_4) | instskip(SKIP_2) | instid1(VALU_DEP_4)
	v_lshlrev_b64 v[18:19], 1, v[19:20]
	v_add3_u32 v8, v8, v21, v2
	v_bfe_u32 v21, v22, 16, 1
	v_or_b32_e32 v2, s55, v13
	s_delay_alu instid0(VALU_DEP_3) | instskip(SKIP_3) | instid1(VALU_DEP_3)
	v_lshlrev_b64 v[7:8], 1, v[7:8]
	v_add_co_u32 v18, vcc_lo, s48, v18
	v_add_co_ci_u32_e32 v19, vcc_lo, s49, v19, vcc_lo
	v_add3_u32 v20, v22, v21, 0x7fff
	v_add_co_u32 v7, vcc_lo, v18, v7
	s_delay_alu instid0(VALU_DEP_3) | instskip(NEXT) | instid1(VALU_DEP_3)
	v_add_co_ci_u32_e32 v8, vcc_lo, v19, v8, vcc_lo
	v_lshrrev_b32_e32 v20, 16, v20
	v_cmp_o_f32_e32 vcc_lo, v22, v22
	s_delay_alu instid0(VALU_DEP_2)
	v_cndmask_b32_e32 v18, 0x7fc0, v20, vcc_lo
	global_store_b16 v[7:8], v18, off
                                        ; implicit-def: $vgpr7_vgpr8
	v_cmpx_ne_u64_e32 0, v[1:2]
	s_xor_b32 s72, exec_lo, s0
	s_cbranch_execz .LBB47_48
; %bb.47:                               ;   in Loop: Header=BB47_3 Depth=1
	s_ashr_i32 s60, s55, 31
	s_delay_alu instid0(SALU_CYCLE_1) | instskip(SKIP_2) | instid1(SALU_CYCLE_1)
	s_add_u32 s62, s54, s60
	s_mov_b32 s61, s60
	s_addc_u32 s63, s55, s60
	s_xor_b64 s[62:63], s[62:63], s[60:61]
	s_delay_alu instid0(SALU_CYCLE_1) | instskip(SKIP_3) | instid1(VALU_DEP_1)
	v_cvt_f32_u32_e32 v2, s62
	v_cvt_f32_u32_e32 v7, s63
	s_sub_u32 s0, 0, s62
	s_subb_u32 s61, 0, s63
	v_fmac_f32_e32 v2, 0x4f800000, v7
	s_delay_alu instid0(VALU_DEP_1) | instskip(SKIP_2) | instid1(VALU_DEP_1)
	v_rcp_f32_e32 v2, v2
	s_waitcnt_depctr 0xfff
	v_mul_f32_e32 v2, 0x5f7ffffc, v2
	v_mul_f32_e32 v7, 0x2f800000, v2
	s_delay_alu instid0(VALU_DEP_1) | instskip(NEXT) | instid1(VALU_DEP_1)
	v_trunc_f32_e32 v7, v7
	v_fmac_f32_e32 v2, 0xcf800000, v7
	v_cvt_u32_f32_e32 v7, v7
	s_delay_alu instid0(VALU_DEP_2) | instskip(NEXT) | instid1(VALU_DEP_2)
	v_cvt_u32_f32_e32 v2, v2
	v_mul_lo_u32 v8, s0, v7
	s_delay_alu instid0(VALU_DEP_2) | instskip(SKIP_1) | instid1(VALU_DEP_2)
	v_mul_hi_u32 v18, s0, v2
	v_mul_lo_u32 v19, s61, v2
	v_add_nc_u32_e32 v8, v18, v8
	v_mul_lo_u32 v18, s0, v2
	s_delay_alu instid0(VALU_DEP_2) | instskip(NEXT) | instid1(VALU_DEP_2)
	v_add_nc_u32_e32 v8, v8, v19
	v_mul_hi_u32 v19, v2, v18
	s_delay_alu instid0(VALU_DEP_2)
	v_mul_lo_u32 v20, v2, v8
	v_mul_hi_u32 v21, v2, v8
	v_mul_hi_u32 v22, v7, v18
	v_mul_lo_u32 v18, v7, v18
	v_mul_hi_u32 v23, v7, v8
	v_mul_lo_u32 v8, v7, v8
	v_add_co_u32 v19, vcc_lo, v19, v20
	v_add_co_ci_u32_e32 v20, vcc_lo, 0, v21, vcc_lo
	s_delay_alu instid0(VALU_DEP_2) | instskip(NEXT) | instid1(VALU_DEP_2)
	v_add_co_u32 v18, vcc_lo, v19, v18
	v_add_co_ci_u32_e32 v18, vcc_lo, v20, v22, vcc_lo
	v_add_co_ci_u32_e32 v19, vcc_lo, 0, v23, vcc_lo
	v_ashrrev_i32_e32 v22, 31, v13
	s_delay_alu instid0(VALU_DEP_3) | instskip(NEXT) | instid1(VALU_DEP_3)
	v_add_co_u32 v8, vcc_lo, v18, v8
	v_add_co_ci_u32_e32 v18, vcc_lo, 0, v19, vcc_lo
	s_delay_alu instid0(VALU_DEP_2) | instskip(NEXT) | instid1(VALU_DEP_2)
	v_add_co_u32 v2, vcc_lo, v2, v8
	v_add_co_ci_u32_e32 v7, vcc_lo, v7, v18, vcc_lo
	s_delay_alu instid0(VALU_DEP_2) | instskip(SKIP_1) | instid1(VALU_DEP_3)
	v_mul_hi_u32 v8, s0, v2
	v_mul_lo_u32 v19, s61, v2
	v_mul_lo_u32 v18, s0, v7
	s_delay_alu instid0(VALU_DEP_1) | instskip(SKIP_1) | instid1(VALU_DEP_2)
	v_add_nc_u32_e32 v8, v8, v18
	v_mul_lo_u32 v18, s0, v2
	v_add_nc_u32_e32 v8, v8, v19
	s_delay_alu instid0(VALU_DEP_2) | instskip(NEXT) | instid1(VALU_DEP_2)
	v_mul_hi_u32 v19, v2, v18
	v_mul_lo_u32 v20, v2, v8
	v_mul_hi_u32 v21, v2, v8
	v_mul_hi_u32 v23, v7, v18
	v_mul_lo_u32 v18, v7, v18
	v_mul_hi_u32 v24, v7, v8
	v_mul_lo_u32 v8, v7, v8
	v_add_co_u32 v19, vcc_lo, v19, v20
	v_add_co_ci_u32_e32 v20, vcc_lo, 0, v21, vcc_lo
	s_delay_alu instid0(VALU_DEP_2) | instskip(NEXT) | instid1(VALU_DEP_2)
	v_add_co_u32 v18, vcc_lo, v19, v18
	v_add_co_ci_u32_e32 v18, vcc_lo, v20, v23, vcc_lo
	v_add_co_ci_u32_e32 v19, vcc_lo, 0, v24, vcc_lo
	v_add_co_u32 v17, vcc_lo, v17, v22
	v_add_co_ci_u32_e32 v13, vcc_lo, v13, v22, vcc_lo
	s_delay_alu instid0(VALU_DEP_4) | instskip(NEXT) | instid1(VALU_DEP_4)
	v_add_co_u32 v8, vcc_lo, v18, v8
	v_add_co_ci_u32_e32 v18, vcc_lo, 0, v19, vcc_lo
	s_delay_alu instid0(VALU_DEP_4) | instskip(NEXT) | instid1(VALU_DEP_3)
	v_xor_b32_e32 v21, v17, v22
	v_add_co_u32 v2, vcc_lo, v2, v8
	s_delay_alu instid0(VALU_DEP_3) | instskip(SKIP_1) | instid1(VALU_DEP_3)
	v_add_co_ci_u32_e32 v23, vcc_lo, v7, v18, vcc_lo
	v_xor_b32_e32 v13, v13, v22
	v_mul_hi_u32 v24, v21, v2
	s_delay_alu instid0(VALU_DEP_3) | instskip(NEXT) | instid1(VALU_DEP_3)
	v_mad_u64_u32 v[7:8], null, v21, v23, 0
	v_mad_u64_u32 v[17:18], null, v13, v2, 0
	;; [unrolled: 1-line block ×3, first 2 shown]
	s_delay_alu instid0(VALU_DEP_3) | instskip(NEXT) | instid1(VALU_DEP_4)
	v_add_co_u32 v2, vcc_lo, v24, v7
	v_add_co_ci_u32_e32 v7, vcc_lo, 0, v8, vcc_lo
	s_delay_alu instid0(VALU_DEP_2) | instskip(NEXT) | instid1(VALU_DEP_2)
	v_add_co_u32 v2, vcc_lo, v2, v17
	v_add_co_ci_u32_e32 v2, vcc_lo, v7, v18, vcc_lo
	v_add_co_ci_u32_e32 v7, vcc_lo, 0, v20, vcc_lo
	s_delay_alu instid0(VALU_DEP_2) | instskip(NEXT) | instid1(VALU_DEP_2)
	v_add_co_u32 v2, vcc_lo, v2, v19
	v_add_co_ci_u32_e32 v17, vcc_lo, 0, v7, vcc_lo
	s_delay_alu instid0(VALU_DEP_2) | instskip(SKIP_1) | instid1(VALU_DEP_3)
	v_mul_lo_u32 v18, s63, v2
	v_mad_u64_u32 v[7:8], null, s62, v2, 0
	v_mul_lo_u32 v19, s62, v17
	s_delay_alu instid0(VALU_DEP_2) | instskip(NEXT) | instid1(VALU_DEP_2)
	v_sub_co_u32 v7, vcc_lo, v21, v7
	v_add3_u32 v8, v8, v19, v18
	s_delay_alu instid0(VALU_DEP_1) | instskip(NEXT) | instid1(VALU_DEP_1)
	v_sub_nc_u32_e32 v18, v13, v8
	v_subrev_co_ci_u32_e64 v18, s0, s63, v18, vcc_lo
	v_add_co_u32 v19, s0, v2, 2
	s_delay_alu instid0(VALU_DEP_1) | instskip(SKIP_3) | instid1(VALU_DEP_3)
	v_add_co_ci_u32_e64 v20, s0, 0, v17, s0
	v_sub_co_u32 v21, s0, v7, s62
	v_sub_co_ci_u32_e32 v8, vcc_lo, v13, v8, vcc_lo
	v_subrev_co_ci_u32_e64 v18, s0, 0, v18, s0
	v_cmp_le_u32_e32 vcc_lo, s62, v21
	s_delay_alu instid0(VALU_DEP_3) | instskip(SKIP_1) | instid1(VALU_DEP_4)
	v_cmp_eq_u32_e64 s0, s63, v8
	v_cndmask_b32_e64 v13, 0, -1, vcc_lo
	v_cmp_le_u32_e32 vcc_lo, s63, v18
	v_cndmask_b32_e64 v21, 0, -1, vcc_lo
	v_cmp_le_u32_e32 vcc_lo, s62, v7
	;; [unrolled: 2-line block ×3, first 2 shown]
	v_cndmask_b32_e64 v23, 0, -1, vcc_lo
	v_cmp_eq_u32_e32 vcc_lo, s63, v18
	s_delay_alu instid0(VALU_DEP_2) | instskip(SKIP_3) | instid1(VALU_DEP_3)
	v_cndmask_b32_e64 v7, v23, v7, s0
	v_cndmask_b32_e32 v13, v21, v13, vcc_lo
	v_add_co_u32 v18, vcc_lo, v2, 1
	v_add_co_ci_u32_e32 v21, vcc_lo, 0, v17, vcc_lo
	v_cmp_ne_u32_e32 vcc_lo, 0, v13
	s_delay_alu instid0(VALU_DEP_2) | instskip(SKIP_2) | instid1(VALU_DEP_3)
	v_dual_cndmask_b32 v8, v21, v20 :: v_dual_cndmask_b32 v13, v18, v19
	v_cmp_ne_u32_e32 vcc_lo, 0, v7
	v_xor_b32_e32 v18, s60, v22
	v_dual_cndmask_b32 v7, v17, v8 :: v_dual_cndmask_b32 v2, v2, v13
                                        ; implicit-def: $vgpr17
	s_delay_alu instid0(VALU_DEP_1) | instskip(NEXT) | instid1(VALU_DEP_2)
	v_xor_b32_e32 v8, v7, v18
	v_xor_b32_e32 v2, v2, v18
	s_delay_alu instid0(VALU_DEP_1) | instskip(NEXT) | instid1(VALU_DEP_3)
	v_sub_co_u32 v7, vcc_lo, v2, v18
	v_sub_co_ci_u32_e32 v8, vcc_lo, v8, v18, vcc_lo
.LBB47_48:                              ;   in Loop: Header=BB47_3 Depth=1
	s_or_saveexec_b32 s0, s72
	v_cvt_f32_u32_e32 v13, s54
	s_xor_b32 exec_lo, exec_lo, s0
	s_cbranch_execz .LBB47_50
; %bb.49:                               ;   in Loop: Header=BB47_3 Depth=1
	s_delay_alu instid0(VALU_DEP_1) | instskip(SKIP_3) | instid1(VALU_DEP_1)
	v_rcp_iflag_f32_e32 v2, v13
	s_sub_i32 s60, 0, s54
	s_waitcnt_depctr 0xfff
	v_mul_f32_e32 v2, 0x4f7ffffe, v2
	v_cvt_u32_f32_e32 v2, v2
	s_delay_alu instid0(VALU_DEP_1) | instskip(NEXT) | instid1(VALU_DEP_1)
	v_mul_lo_u32 v7, s60, v2
	v_mul_hi_u32 v7, v2, v7
	s_delay_alu instid0(VALU_DEP_1) | instskip(NEXT) | instid1(VALU_DEP_1)
	v_add_nc_u32_e32 v2, v2, v7
	v_mul_hi_u32 v2, v17, v2
	s_delay_alu instid0(VALU_DEP_1) | instskip(SKIP_1) | instid1(VALU_DEP_2)
	v_mul_lo_u32 v7, v2, s54
	v_add_nc_u32_e32 v8, 1, v2
	v_sub_nc_u32_e32 v7, v17, v7
	s_delay_alu instid0(VALU_DEP_1) | instskip(SKIP_1) | instid1(VALU_DEP_2)
	v_subrev_nc_u32_e32 v17, s54, v7
	v_cmp_le_u32_e32 vcc_lo, s54, v7
	v_dual_cndmask_b32 v7, v7, v17 :: v_dual_cndmask_b32 v2, v2, v8
	s_delay_alu instid0(VALU_DEP_1) | instskip(NEXT) | instid1(VALU_DEP_2)
	v_cmp_le_u32_e32 vcc_lo, s54, v7
	v_add_nc_u32_e32 v8, 1, v2
	s_delay_alu instid0(VALU_DEP_1)
	v_dual_cndmask_b32 v7, v2, v8 :: v_dual_mov_b32 v8, v1
.LBB47_50:                              ;   in Loop: Header=BB47_3 Depth=1
	s_or_b32 exec_lo, exec_lo, s0
	s_delay_alu instid0(VALU_DEP_1) | instskip(NEXT) | instid1(VALU_DEP_2)
	v_mul_lo_u32 v2, v8, s54
	v_mul_lo_u32 v19, v7, s55
	v_mad_u64_u32 v[17:18], null, v7, s54, 0
	v_mul_lo_u32 v21, v8, s24
	v_bfe_u32 v20, v16, 16, 1
	s_mov_b32 s0, exec_lo
	s_delay_alu instid0(VALU_DEP_1) | instskip(NEXT) | instid1(VALU_DEP_4)
	v_add3_u32 v20, v16, v20, 0x7fff
	v_add3_u32 v2, v18, v19, v2
	v_sub_co_u32 v8, vcc_lo, v9, v17
	v_mul_lo_u32 v19, v7, s25
	s_delay_alu instid0(VALU_DEP_3) | instskip(NEXT) | instid1(VALU_DEP_3)
	v_sub_co_ci_u32_e32 v2, vcc_lo, v10, v2, vcc_lo
	v_add_co_u32 v22, vcc_lo, v3, v8
	v_mad_u64_u32 v[9:10], null, v7, s24, 0
	v_lshlrev_b64 v[7:8], 2, v[5:6]
	s_delay_alu instid0(VALU_DEP_4) | instskip(SKIP_3) | instid1(VALU_DEP_4)
	v_add_co_ci_u32_e32 v2, vcc_lo, v4, v2, vcc_lo
	v_alignbit_b32 v5, v6, v5, 30
	v_mul_lo_u32 v23, v22, s27
	v_mad_u64_u32 v[17:18], null, v22, s26, 0
	v_mul_lo_u32 v2, v2, s26
	s_delay_alu instid0(VALU_DEP_4)
	v_mul_lo_u32 v22, s4, v5
	v_mul_lo_u32 v24, s5, v7
	v_mad_u64_u32 v[5:6], null, s4, v7, s[4:5]
	v_add3_u32 v10, v10, v19, v21
	v_lshrrev_b32_e32 v19, 16, v20
	v_cmp_o_f32_e32 vcc_lo, v16, v16
	v_add3_u32 v18, v18, v23, v2
	s_delay_alu instid0(VALU_DEP_4) | instskip(SKIP_4) | instid1(VALU_DEP_4)
	v_lshlrev_b64 v[9:10], 1, v[9:10]
	v_add3_u32 v6, v24, v6, v22
	v_cndmask_b32_e32 v20, 0x7fc0, v19, vcc_lo
	v_add_co_u32 v16, vcc_lo, v3, v5
	v_lshlrev_b64 v[18:19], 1, v[17:18]
	v_add_co_ci_u32_e32 v17, vcc_lo, v4, v6, vcc_lo
	v_add_co_u32 v9, vcc_lo, s52, v9
	v_add_co_ci_u32_e32 v10, vcc_lo, s53, v10, vcc_lo
	s_delay_alu instid0(VALU_DEP_3) | instskip(NEXT) | instid1(VALU_DEP_3)
	v_or_b32_e32 v2, s55, v17
	v_add_co_u32 v9, vcc_lo, v9, v18
	s_delay_alu instid0(VALU_DEP_3)
	v_add_co_ci_u32_e32 v10, vcc_lo, v10, v19, vcc_lo
	global_store_b16 v[9:10], v20, off
                                        ; implicit-def: $vgpr9_vgpr10
	v_cmpx_ne_u64_e32 0, v[1:2]
	s_xor_b32 s72, exec_lo, s0
	s_cbranch_execz .LBB47_52
; %bb.51:                               ;   in Loop: Header=BB47_3 Depth=1
	s_ashr_i32 s60, s55, 31
	s_delay_alu instid0(SALU_CYCLE_1) | instskip(SKIP_2) | instid1(SALU_CYCLE_1)
	s_add_u32 s62, s54, s60
	s_mov_b32 s61, s60
	s_addc_u32 s63, s55, s60
	s_xor_b64 s[62:63], s[62:63], s[60:61]
	s_delay_alu instid0(SALU_CYCLE_1) | instskip(SKIP_3) | instid1(VALU_DEP_1)
	v_cvt_f32_u32_e32 v2, s62
	v_cvt_f32_u32_e32 v9, s63
	s_sub_u32 s0, 0, s62
	s_subb_u32 s61, 0, s63
	v_fmac_f32_e32 v2, 0x4f800000, v9
	s_delay_alu instid0(VALU_DEP_1) | instskip(SKIP_2) | instid1(VALU_DEP_1)
	v_rcp_f32_e32 v2, v2
	s_waitcnt_depctr 0xfff
	v_mul_f32_e32 v2, 0x5f7ffffc, v2
	v_mul_f32_e32 v9, 0x2f800000, v2
	s_delay_alu instid0(VALU_DEP_1) | instskip(NEXT) | instid1(VALU_DEP_1)
	v_trunc_f32_e32 v9, v9
	v_fmac_f32_e32 v2, 0xcf800000, v9
	v_cvt_u32_f32_e32 v9, v9
	s_delay_alu instid0(VALU_DEP_2) | instskip(NEXT) | instid1(VALU_DEP_2)
	v_cvt_u32_f32_e32 v2, v2
	v_mul_lo_u32 v10, s0, v9
	s_delay_alu instid0(VALU_DEP_2) | instskip(SKIP_1) | instid1(VALU_DEP_2)
	v_mul_hi_u32 v18, s0, v2
	v_mul_lo_u32 v19, s61, v2
	v_add_nc_u32_e32 v10, v18, v10
	v_mul_lo_u32 v18, s0, v2
	s_delay_alu instid0(VALU_DEP_2) | instskip(NEXT) | instid1(VALU_DEP_2)
	v_add_nc_u32_e32 v10, v10, v19
	v_mul_hi_u32 v19, v2, v18
	s_delay_alu instid0(VALU_DEP_2)
	v_mul_lo_u32 v20, v2, v10
	v_mul_hi_u32 v21, v2, v10
	v_mul_hi_u32 v22, v9, v18
	v_mul_lo_u32 v18, v9, v18
	v_mul_hi_u32 v23, v9, v10
	v_mul_lo_u32 v10, v9, v10
	v_add_co_u32 v19, vcc_lo, v19, v20
	v_add_co_ci_u32_e32 v20, vcc_lo, 0, v21, vcc_lo
	s_delay_alu instid0(VALU_DEP_2) | instskip(NEXT) | instid1(VALU_DEP_2)
	v_add_co_u32 v18, vcc_lo, v19, v18
	v_add_co_ci_u32_e32 v18, vcc_lo, v20, v22, vcc_lo
	v_add_co_ci_u32_e32 v19, vcc_lo, 0, v23, vcc_lo
	v_ashrrev_i32_e32 v22, 31, v17
	s_delay_alu instid0(VALU_DEP_3) | instskip(NEXT) | instid1(VALU_DEP_3)
	v_add_co_u32 v10, vcc_lo, v18, v10
	v_add_co_ci_u32_e32 v18, vcc_lo, 0, v19, vcc_lo
	s_delay_alu instid0(VALU_DEP_2) | instskip(NEXT) | instid1(VALU_DEP_2)
	v_add_co_u32 v2, vcc_lo, v2, v10
	v_add_co_ci_u32_e32 v9, vcc_lo, v9, v18, vcc_lo
	s_delay_alu instid0(VALU_DEP_2) | instskip(SKIP_1) | instid1(VALU_DEP_3)
	v_mul_hi_u32 v10, s0, v2
	v_mul_lo_u32 v19, s61, v2
	v_mul_lo_u32 v18, s0, v9
	s_delay_alu instid0(VALU_DEP_1) | instskip(SKIP_1) | instid1(VALU_DEP_2)
	v_add_nc_u32_e32 v10, v10, v18
	v_mul_lo_u32 v18, s0, v2
	v_add_nc_u32_e32 v10, v10, v19
	s_delay_alu instid0(VALU_DEP_2) | instskip(NEXT) | instid1(VALU_DEP_2)
	v_mul_hi_u32 v19, v2, v18
	v_mul_lo_u32 v20, v2, v10
	v_mul_hi_u32 v21, v2, v10
	v_mul_hi_u32 v23, v9, v18
	v_mul_lo_u32 v18, v9, v18
	v_mul_hi_u32 v24, v9, v10
	v_mul_lo_u32 v10, v9, v10
	v_add_co_u32 v19, vcc_lo, v19, v20
	v_add_co_ci_u32_e32 v20, vcc_lo, 0, v21, vcc_lo
	s_delay_alu instid0(VALU_DEP_2) | instskip(NEXT) | instid1(VALU_DEP_2)
	v_add_co_u32 v18, vcc_lo, v19, v18
	v_add_co_ci_u32_e32 v18, vcc_lo, v20, v23, vcc_lo
	v_add_co_ci_u32_e32 v19, vcc_lo, 0, v24, vcc_lo
	v_add_co_u32 v16, vcc_lo, v16, v22
	v_add_co_ci_u32_e32 v17, vcc_lo, v17, v22, vcc_lo
	s_delay_alu instid0(VALU_DEP_4) | instskip(NEXT) | instid1(VALU_DEP_4)
	v_add_co_u32 v10, vcc_lo, v18, v10
	v_add_co_ci_u32_e32 v18, vcc_lo, 0, v19, vcc_lo
	s_delay_alu instid0(VALU_DEP_4) | instskip(NEXT) | instid1(VALU_DEP_3)
	v_xor_b32_e32 v20, v16, v22
	v_add_co_u32 v2, vcc_lo, v2, v10
	s_delay_alu instid0(VALU_DEP_3) | instskip(SKIP_1) | instid1(VALU_DEP_3)
	v_add_co_ci_u32_e32 v21, vcc_lo, v9, v18, vcc_lo
	v_xor_b32_e32 v23, v17, v22
	v_mul_hi_u32 v24, v20, v2
	s_delay_alu instid0(VALU_DEP_3) | instskip(NEXT) | instid1(VALU_DEP_3)
	v_mad_u64_u32 v[9:10], null, v20, v21, 0
	v_mad_u64_u32 v[16:17], null, v23, v2, 0
	;; [unrolled: 1-line block ×3, first 2 shown]
	s_delay_alu instid0(VALU_DEP_3) | instskip(NEXT) | instid1(VALU_DEP_4)
	v_add_co_u32 v2, vcc_lo, v24, v9
	v_add_co_ci_u32_e32 v9, vcc_lo, 0, v10, vcc_lo
	s_delay_alu instid0(VALU_DEP_2) | instskip(NEXT) | instid1(VALU_DEP_2)
	v_add_co_u32 v2, vcc_lo, v2, v16
	v_add_co_ci_u32_e32 v2, vcc_lo, v9, v17, vcc_lo
	v_add_co_ci_u32_e32 v9, vcc_lo, 0, v19, vcc_lo
	s_delay_alu instid0(VALU_DEP_2) | instskip(NEXT) | instid1(VALU_DEP_2)
	v_add_co_u32 v2, vcc_lo, v2, v18
	v_add_co_ci_u32_e32 v16, vcc_lo, 0, v9, vcc_lo
	s_delay_alu instid0(VALU_DEP_2) | instskip(SKIP_1) | instid1(VALU_DEP_3)
	v_mul_lo_u32 v17, s63, v2
	v_mad_u64_u32 v[9:10], null, s62, v2, 0
	v_mul_lo_u32 v18, s62, v16
	s_delay_alu instid0(VALU_DEP_2) | instskip(NEXT) | instid1(VALU_DEP_2)
	v_sub_co_u32 v9, vcc_lo, v20, v9
	v_add3_u32 v10, v10, v18, v17
	s_delay_alu instid0(VALU_DEP_1) | instskip(NEXT) | instid1(VALU_DEP_1)
	v_sub_nc_u32_e32 v17, v23, v10
	v_subrev_co_ci_u32_e64 v17, s0, s63, v17, vcc_lo
	v_add_co_u32 v18, s0, v2, 2
	s_delay_alu instid0(VALU_DEP_1) | instskip(SKIP_3) | instid1(VALU_DEP_3)
	v_add_co_ci_u32_e64 v19, s0, 0, v16, s0
	v_sub_co_u32 v20, s0, v9, s62
	v_sub_co_ci_u32_e32 v10, vcc_lo, v23, v10, vcc_lo
	v_subrev_co_ci_u32_e64 v17, s0, 0, v17, s0
	v_cmp_le_u32_e32 vcc_lo, s62, v20
	s_delay_alu instid0(VALU_DEP_3) | instskip(SKIP_1) | instid1(VALU_DEP_4)
	v_cmp_eq_u32_e64 s0, s63, v10
	v_cndmask_b32_e64 v20, 0, -1, vcc_lo
	v_cmp_le_u32_e32 vcc_lo, s63, v17
	v_cndmask_b32_e64 v21, 0, -1, vcc_lo
	v_cmp_le_u32_e32 vcc_lo, s62, v9
	;; [unrolled: 2-line block ×3, first 2 shown]
	v_cndmask_b32_e64 v23, 0, -1, vcc_lo
	v_cmp_eq_u32_e32 vcc_lo, s63, v17
	s_delay_alu instid0(VALU_DEP_2) | instskip(SKIP_3) | instid1(VALU_DEP_3)
	v_cndmask_b32_e64 v9, v23, v9, s0
	v_cndmask_b32_e32 v17, v21, v20, vcc_lo
	v_add_co_u32 v20, vcc_lo, v2, 1
	v_add_co_ci_u32_e32 v21, vcc_lo, 0, v16, vcc_lo
	v_cmp_ne_u32_e32 vcc_lo, 0, v17
	s_delay_alu instid0(VALU_DEP_2) | instskip(SKIP_2) | instid1(VALU_DEP_3)
	v_dual_cndmask_b32 v17, v20, v18 :: v_dual_cndmask_b32 v10, v21, v19
	v_cmp_ne_u32_e32 vcc_lo, 0, v9
	v_xor_b32_e32 v18, s60, v22
	v_dual_cndmask_b32 v9, v16, v10 :: v_dual_cndmask_b32 v2, v2, v17
                                        ; implicit-def: $vgpr16
	s_delay_alu instid0(VALU_DEP_1) | instskip(NEXT) | instid1(VALU_DEP_2)
	v_xor_b32_e32 v10, v9, v18
	v_xor_b32_e32 v2, v2, v18
	s_delay_alu instid0(VALU_DEP_1) | instskip(NEXT) | instid1(VALU_DEP_3)
	v_sub_co_u32 v9, vcc_lo, v2, v18
	v_sub_co_ci_u32_e32 v10, vcc_lo, v10, v18, vcc_lo
.LBB47_52:                              ;   in Loop: Header=BB47_3 Depth=1
	s_and_not1_saveexec_b32 s0, s72
	s_cbranch_execz .LBB47_54
; %bb.53:                               ;   in Loop: Header=BB47_3 Depth=1
	v_rcp_iflag_f32_e32 v2, v13
	s_sub_i32 s60, 0, s54
	s_waitcnt_depctr 0xfff
	v_mul_f32_e32 v2, 0x4f7ffffe, v2
	s_delay_alu instid0(VALU_DEP_1) | instskip(NEXT) | instid1(VALU_DEP_1)
	v_cvt_u32_f32_e32 v2, v2
	v_mul_lo_u32 v9, s60, v2
	s_delay_alu instid0(VALU_DEP_1) | instskip(NEXT) | instid1(VALU_DEP_1)
	v_mul_hi_u32 v9, v2, v9
	v_add_nc_u32_e32 v2, v2, v9
	s_delay_alu instid0(VALU_DEP_1) | instskip(NEXT) | instid1(VALU_DEP_1)
	v_mul_hi_u32 v2, v16, v2
	v_mul_lo_u32 v9, v2, s54
	v_add_nc_u32_e32 v10, 1, v2
	s_delay_alu instid0(VALU_DEP_2) | instskip(NEXT) | instid1(VALU_DEP_1)
	v_sub_nc_u32_e32 v9, v16, v9
	v_subrev_nc_u32_e32 v16, s54, v9
	v_cmp_le_u32_e32 vcc_lo, s54, v9
	s_delay_alu instid0(VALU_DEP_2) | instskip(NEXT) | instid1(VALU_DEP_1)
	v_dual_cndmask_b32 v9, v9, v16 :: v_dual_cndmask_b32 v2, v2, v10
	v_cmp_le_u32_e32 vcc_lo, s54, v9
	s_delay_alu instid0(VALU_DEP_2) | instskip(NEXT) | instid1(VALU_DEP_1)
	v_add_nc_u32_e32 v10, 1, v2
	v_dual_cndmask_b32 v9, v2, v10 :: v_dual_mov_b32 v10, v1
.LBB47_54:                              ;   in Loop: Header=BB47_3 Depth=1
	s_or_b32 exec_lo, exec_lo, s0
	s_delay_alu instid0(VALU_DEP_1) | instskip(NEXT) | instid1(VALU_DEP_2)
	v_mul_lo_u32 v2, v10, s54
	v_mul_lo_u32 v18, v9, s55
	v_mad_u64_u32 v[16:17], null, v9, s54, 0
	v_mul_lo_u32 v20, v9, s25
	v_bfe_u32 v19, v15, 16, 1
	s_mov_b32 s0, exec_lo
	s_delay_alu instid0(VALU_DEP_1) | instskip(NEXT) | instid1(VALU_DEP_4)
	v_add3_u32 v19, v15, v19, 0x7fff
	v_add3_u32 v2, v17, v18, v2
	v_sub_co_u32 v5, vcc_lo, v5, v16
	v_mul_lo_u32 v18, v10, s24
	v_mad_u64_u32 v[16:17], null, v9, s24, 0
	s_delay_alu instid0(VALU_DEP_4) | instskip(NEXT) | instid1(VALU_DEP_4)
	v_sub_co_ci_u32_e32 v2, vcc_lo, v6, v2, vcc_lo
	v_add_co_u32 v5, vcc_lo, v3, v5
	v_lshrrev_b32_e32 v19, 16, v19
	s_delay_alu instid0(VALU_DEP_3) | instskip(SKIP_3) | instid1(VALU_DEP_4)
	v_add_co_ci_u32_e32 v2, vcc_lo, v4, v2, vcc_lo
	v_add_co_u32 v21, vcc_lo, v7, 2
	v_add_co_ci_u32_e32 v6, vcc_lo, 0, v8, vcc_lo
	v_mul_lo_u32 v22, v5, s27
	v_mul_lo_u32 v2, v2, s26
	v_mad_u64_u32 v[9:10], null, v5, s26, 0
	v_mul_lo_u32 v23, s5, v21
	v_mul_lo_u32 v24, s4, v6
	v_mad_u64_u32 v[5:6], null, s4, v21, 0
	v_add3_u32 v17, v17, v20, v18
	v_cmp_o_f32_e32 vcc_lo, v15, v15
	v_add3_u32 v10, v10, v22, v2
	s_delay_alu instid0(VALU_DEP_3) | instskip(SKIP_4) | instid1(VALU_DEP_4)
	v_lshlrev_b64 v[17:18], 1, v[16:17]
	v_add3_u32 v6, v6, v24, v23
	v_cndmask_b32_e32 v19, 0x7fc0, v19, vcc_lo
	v_add_co_u32 v15, vcc_lo, v3, v5
	v_lshlrev_b64 v[9:10], 1, v[9:10]
	v_add_co_ci_u32_e32 v16, vcc_lo, v4, v6, vcc_lo
	v_add_co_u32 v17, vcc_lo, s52, v17
	v_add_co_ci_u32_e32 v18, vcc_lo, s53, v18, vcc_lo
	s_delay_alu instid0(VALU_DEP_3) | instskip(NEXT) | instid1(VALU_DEP_3)
	v_or_b32_e32 v2, s55, v16
	v_add_co_u32 v9, vcc_lo, v17, v9
	s_delay_alu instid0(VALU_DEP_3)
	v_add_co_ci_u32_e32 v10, vcc_lo, v18, v10, vcc_lo
	global_store_b16 v[9:10], v19, off
                                        ; implicit-def: $vgpr9_vgpr10
	v_cmpx_ne_u64_e32 0, v[1:2]
	s_xor_b32 s72, exec_lo, s0
	s_cbranch_execz .LBB47_56
; %bb.55:                               ;   in Loop: Header=BB47_3 Depth=1
	s_ashr_i32 s60, s55, 31
	s_delay_alu instid0(SALU_CYCLE_1) | instskip(SKIP_2) | instid1(SALU_CYCLE_1)
	s_add_u32 s62, s54, s60
	s_mov_b32 s61, s60
	s_addc_u32 s63, s55, s60
	s_xor_b64 s[62:63], s[62:63], s[60:61]
	s_delay_alu instid0(SALU_CYCLE_1) | instskip(SKIP_3) | instid1(VALU_DEP_1)
	v_cvt_f32_u32_e32 v2, s62
	v_cvt_f32_u32_e32 v9, s63
	s_sub_u32 s0, 0, s62
	s_subb_u32 s61, 0, s63
	v_fmac_f32_e32 v2, 0x4f800000, v9
	s_delay_alu instid0(VALU_DEP_1) | instskip(SKIP_2) | instid1(VALU_DEP_1)
	v_rcp_f32_e32 v2, v2
	s_waitcnt_depctr 0xfff
	v_mul_f32_e32 v2, 0x5f7ffffc, v2
	v_mul_f32_e32 v9, 0x2f800000, v2
	s_delay_alu instid0(VALU_DEP_1) | instskip(NEXT) | instid1(VALU_DEP_1)
	v_trunc_f32_e32 v9, v9
	v_fmac_f32_e32 v2, 0xcf800000, v9
	v_cvt_u32_f32_e32 v9, v9
	s_delay_alu instid0(VALU_DEP_2) | instskip(NEXT) | instid1(VALU_DEP_2)
	v_cvt_u32_f32_e32 v2, v2
	v_mul_lo_u32 v10, s0, v9
	s_delay_alu instid0(VALU_DEP_2) | instskip(SKIP_1) | instid1(VALU_DEP_2)
	v_mul_hi_u32 v17, s0, v2
	v_mul_lo_u32 v18, s61, v2
	v_add_nc_u32_e32 v10, v17, v10
	v_mul_lo_u32 v17, s0, v2
	s_delay_alu instid0(VALU_DEP_2) | instskip(NEXT) | instid1(VALU_DEP_2)
	v_add_nc_u32_e32 v10, v10, v18
	v_mul_hi_u32 v18, v2, v17
	s_delay_alu instid0(VALU_DEP_2)
	v_mul_lo_u32 v19, v2, v10
	v_mul_hi_u32 v20, v2, v10
	v_mul_hi_u32 v21, v9, v17
	v_mul_lo_u32 v17, v9, v17
	v_mul_hi_u32 v22, v9, v10
	v_mul_lo_u32 v10, v9, v10
	v_add_co_u32 v18, vcc_lo, v18, v19
	v_add_co_ci_u32_e32 v19, vcc_lo, 0, v20, vcc_lo
	s_delay_alu instid0(VALU_DEP_2) | instskip(NEXT) | instid1(VALU_DEP_2)
	v_add_co_u32 v17, vcc_lo, v18, v17
	v_add_co_ci_u32_e32 v17, vcc_lo, v19, v21, vcc_lo
	v_add_co_ci_u32_e32 v18, vcc_lo, 0, v22, vcc_lo
	v_ashrrev_i32_e32 v21, 31, v16
	s_delay_alu instid0(VALU_DEP_3) | instskip(NEXT) | instid1(VALU_DEP_3)
	v_add_co_u32 v10, vcc_lo, v17, v10
	v_add_co_ci_u32_e32 v17, vcc_lo, 0, v18, vcc_lo
	s_delay_alu instid0(VALU_DEP_2) | instskip(NEXT) | instid1(VALU_DEP_2)
	v_add_co_u32 v2, vcc_lo, v2, v10
	v_add_co_ci_u32_e32 v9, vcc_lo, v9, v17, vcc_lo
	s_delay_alu instid0(VALU_DEP_2) | instskip(SKIP_1) | instid1(VALU_DEP_3)
	v_mul_hi_u32 v10, s0, v2
	v_mul_lo_u32 v18, s61, v2
	v_mul_lo_u32 v17, s0, v9
	s_delay_alu instid0(VALU_DEP_1) | instskip(SKIP_1) | instid1(VALU_DEP_2)
	v_add_nc_u32_e32 v10, v10, v17
	v_mul_lo_u32 v17, s0, v2
	v_add_nc_u32_e32 v10, v10, v18
	s_delay_alu instid0(VALU_DEP_2) | instskip(NEXT) | instid1(VALU_DEP_2)
	v_mul_hi_u32 v18, v2, v17
	v_mul_lo_u32 v19, v2, v10
	v_mul_hi_u32 v20, v2, v10
	v_mul_hi_u32 v22, v9, v17
	v_mul_lo_u32 v17, v9, v17
	v_mul_hi_u32 v23, v9, v10
	v_mul_lo_u32 v10, v9, v10
	v_add_co_u32 v18, vcc_lo, v18, v19
	v_add_co_ci_u32_e32 v19, vcc_lo, 0, v20, vcc_lo
	s_delay_alu instid0(VALU_DEP_2) | instskip(NEXT) | instid1(VALU_DEP_2)
	v_add_co_u32 v17, vcc_lo, v18, v17
	v_add_co_ci_u32_e32 v17, vcc_lo, v19, v22, vcc_lo
	v_add_co_ci_u32_e32 v18, vcc_lo, 0, v23, vcc_lo
	v_add_co_u32 v15, vcc_lo, v15, v21
	v_add_co_ci_u32_e32 v16, vcc_lo, v16, v21, vcc_lo
	s_delay_alu instid0(VALU_DEP_4) | instskip(NEXT) | instid1(VALU_DEP_4)
	v_add_co_u32 v10, vcc_lo, v17, v10
	v_add_co_ci_u32_e32 v17, vcc_lo, 0, v18, vcc_lo
	s_delay_alu instid0(VALU_DEP_4) | instskip(NEXT) | instid1(VALU_DEP_3)
	v_xor_b32_e32 v19, v15, v21
	v_add_co_u32 v2, vcc_lo, v2, v10
	s_delay_alu instid0(VALU_DEP_3) | instskip(SKIP_1) | instid1(VALU_DEP_3)
	v_add_co_ci_u32_e32 v20, vcc_lo, v9, v17, vcc_lo
	v_xor_b32_e32 v22, v16, v21
	v_mul_hi_u32 v23, v19, v2
	s_delay_alu instid0(VALU_DEP_3) | instskip(NEXT) | instid1(VALU_DEP_3)
	v_mad_u64_u32 v[9:10], null, v19, v20, 0
	v_mad_u64_u32 v[15:16], null, v22, v2, 0
	;; [unrolled: 1-line block ×3, first 2 shown]
	s_delay_alu instid0(VALU_DEP_3) | instskip(NEXT) | instid1(VALU_DEP_4)
	v_add_co_u32 v2, vcc_lo, v23, v9
	v_add_co_ci_u32_e32 v9, vcc_lo, 0, v10, vcc_lo
	s_delay_alu instid0(VALU_DEP_2) | instskip(NEXT) | instid1(VALU_DEP_2)
	v_add_co_u32 v2, vcc_lo, v2, v15
	v_add_co_ci_u32_e32 v2, vcc_lo, v9, v16, vcc_lo
	v_add_co_ci_u32_e32 v9, vcc_lo, 0, v18, vcc_lo
	s_delay_alu instid0(VALU_DEP_2) | instskip(NEXT) | instid1(VALU_DEP_2)
	v_add_co_u32 v2, vcc_lo, v2, v17
	v_add_co_ci_u32_e32 v15, vcc_lo, 0, v9, vcc_lo
	s_delay_alu instid0(VALU_DEP_2) | instskip(SKIP_1) | instid1(VALU_DEP_3)
	v_mul_lo_u32 v16, s63, v2
	v_mad_u64_u32 v[9:10], null, s62, v2, 0
	v_mul_lo_u32 v17, s62, v15
	s_delay_alu instid0(VALU_DEP_2) | instskip(NEXT) | instid1(VALU_DEP_2)
	v_sub_co_u32 v9, vcc_lo, v19, v9
	v_add3_u32 v10, v10, v17, v16
	s_delay_alu instid0(VALU_DEP_1) | instskip(NEXT) | instid1(VALU_DEP_1)
	v_sub_nc_u32_e32 v16, v22, v10
	v_subrev_co_ci_u32_e64 v16, s0, s63, v16, vcc_lo
	v_add_co_u32 v17, s0, v2, 2
	s_delay_alu instid0(VALU_DEP_1) | instskip(SKIP_3) | instid1(VALU_DEP_3)
	v_add_co_ci_u32_e64 v18, s0, 0, v15, s0
	v_sub_co_u32 v19, s0, v9, s62
	v_sub_co_ci_u32_e32 v10, vcc_lo, v22, v10, vcc_lo
	v_subrev_co_ci_u32_e64 v16, s0, 0, v16, s0
	v_cmp_le_u32_e32 vcc_lo, s62, v19
	s_delay_alu instid0(VALU_DEP_3) | instskip(SKIP_1) | instid1(VALU_DEP_4)
	v_cmp_eq_u32_e64 s0, s63, v10
	v_cndmask_b32_e64 v19, 0, -1, vcc_lo
	v_cmp_le_u32_e32 vcc_lo, s63, v16
	v_cndmask_b32_e64 v20, 0, -1, vcc_lo
	v_cmp_le_u32_e32 vcc_lo, s62, v9
	;; [unrolled: 2-line block ×3, first 2 shown]
	v_cndmask_b32_e64 v22, 0, -1, vcc_lo
	v_cmp_eq_u32_e32 vcc_lo, s63, v16
	s_delay_alu instid0(VALU_DEP_2) | instskip(SKIP_3) | instid1(VALU_DEP_3)
	v_cndmask_b32_e64 v9, v22, v9, s0
	v_cndmask_b32_e32 v16, v20, v19, vcc_lo
	v_add_co_u32 v19, vcc_lo, v2, 1
	v_add_co_ci_u32_e32 v20, vcc_lo, 0, v15, vcc_lo
	v_cmp_ne_u32_e32 vcc_lo, 0, v16
	s_delay_alu instid0(VALU_DEP_2) | instskip(NEXT) | instid1(VALU_DEP_4)
	v_cndmask_b32_e32 v10, v20, v18, vcc_lo
	v_cndmask_b32_e32 v16, v19, v17, vcc_lo
	v_cmp_ne_u32_e32 vcc_lo, 0, v9
	v_xor_b32_e32 v17, s60, v21
	s_delay_alu instid0(VALU_DEP_3) | instskip(NEXT) | instid1(VALU_DEP_1)
	v_dual_cndmask_b32 v2, v2, v16 :: v_dual_cndmask_b32 v9, v15, v10
                                        ; implicit-def: $vgpr15
	v_xor_b32_e32 v2, v2, v17
	s_delay_alu instid0(VALU_DEP_2) | instskip(NEXT) | instid1(VALU_DEP_2)
	v_xor_b32_e32 v10, v9, v17
	v_sub_co_u32 v9, vcc_lo, v2, v17
	s_delay_alu instid0(VALU_DEP_2)
	v_sub_co_ci_u32_e32 v10, vcc_lo, v10, v17, vcc_lo
.LBB47_56:                              ;   in Loop: Header=BB47_3 Depth=1
	s_and_not1_saveexec_b32 s0, s72
	s_cbranch_execz .LBB47_58
; %bb.57:                               ;   in Loop: Header=BB47_3 Depth=1
	v_rcp_iflag_f32_e32 v2, v13
	s_sub_i32 s60, 0, s54
	s_waitcnt_depctr 0xfff
	v_mul_f32_e32 v2, 0x4f7ffffe, v2
	s_delay_alu instid0(VALU_DEP_1) | instskip(NEXT) | instid1(VALU_DEP_1)
	v_cvt_u32_f32_e32 v2, v2
	v_mul_lo_u32 v9, s60, v2
	s_delay_alu instid0(VALU_DEP_1) | instskip(NEXT) | instid1(VALU_DEP_1)
	v_mul_hi_u32 v9, v2, v9
	v_add_nc_u32_e32 v2, v2, v9
	s_delay_alu instid0(VALU_DEP_1) | instskip(NEXT) | instid1(VALU_DEP_1)
	v_mul_hi_u32 v2, v15, v2
	v_mul_lo_u32 v9, v2, s54
	v_add_nc_u32_e32 v10, 1, v2
	s_delay_alu instid0(VALU_DEP_2) | instskip(NEXT) | instid1(VALU_DEP_1)
	v_sub_nc_u32_e32 v9, v15, v9
	v_subrev_nc_u32_e32 v15, s54, v9
	v_cmp_le_u32_e32 vcc_lo, s54, v9
	s_delay_alu instid0(VALU_DEP_2) | instskip(NEXT) | instid1(VALU_DEP_1)
	v_dual_cndmask_b32 v9, v9, v15 :: v_dual_cndmask_b32 v2, v2, v10
	v_cmp_le_u32_e32 vcc_lo, s54, v9
	s_delay_alu instid0(VALU_DEP_2) | instskip(NEXT) | instid1(VALU_DEP_1)
	v_add_nc_u32_e32 v10, 1, v2
	v_dual_cndmask_b32 v9, v2, v10 :: v_dual_mov_b32 v10, v1
.LBB47_58:                              ;   in Loop: Header=BB47_3 Depth=1
	s_or_b32 exec_lo, exec_lo, s0
	s_delay_alu instid0(VALU_DEP_1) | instskip(NEXT) | instid1(VALU_DEP_2)
	v_mul_lo_u32 v2, v10, s54
	v_mul_lo_u32 v17, v9, s55
	v_mad_u64_u32 v[15:16], null, v9, s54, 0
	v_mul_lo_u32 v19, v9, s25
	v_bfe_u32 v18, v14, 16, 1
	s_mov_b32 s0, exec_lo
	s_delay_alu instid0(VALU_DEP_1) | instskip(NEXT) | instid1(VALU_DEP_4)
	v_add3_u32 v18, v14, v18, 0x7fff
	v_add3_u32 v2, v16, v17, v2
	v_sub_co_u32 v5, vcc_lo, v5, v15
	v_mul_lo_u32 v17, v10, s24
	v_mad_u64_u32 v[15:16], null, v9, s24, 0
	s_delay_alu instid0(VALU_DEP_4) | instskip(NEXT) | instid1(VALU_DEP_4)
	v_sub_co_ci_u32_e32 v2, vcc_lo, v6, v2, vcc_lo
	v_add_co_u32 v5, vcc_lo, v3, v5
	v_lshrrev_b32_e32 v18, 16, v18
	s_delay_alu instid0(VALU_DEP_3) | instskip(SKIP_3) | instid1(VALU_DEP_4)
	v_add_co_ci_u32_e32 v2, vcc_lo, v4, v2, vcc_lo
	v_add_co_u32 v20, vcc_lo, v7, 3
	v_add_co_ci_u32_e32 v6, vcc_lo, 0, v8, vcc_lo
	v_mul_lo_u32 v21, v5, s27
	v_mul_lo_u32 v2, v2, s26
	v_mad_u64_u32 v[9:10], null, v5, s26, 0
	v_mul_lo_u32 v22, s5, v20
	v_mul_lo_u32 v23, s4, v6
	v_mad_u64_u32 v[5:6], null, s4, v20, 0
	v_add3_u32 v16, v16, v19, v17
	v_cmp_o_f32_e32 vcc_lo, v14, v14
	v_add3_u32 v10, v10, v21, v2
	s_delay_alu instid0(VALU_DEP_3) | instskip(SKIP_4) | instid1(VALU_DEP_4)
	v_lshlrev_b64 v[16:17], 1, v[15:16]
	v_add3_u32 v6, v6, v23, v22
	v_cndmask_b32_e32 v18, 0x7fc0, v18, vcc_lo
	v_add_co_u32 v14, vcc_lo, v3, v5
	v_lshlrev_b64 v[9:10], 1, v[9:10]
	v_add_co_ci_u32_e32 v15, vcc_lo, v4, v6, vcc_lo
	v_add_co_u32 v16, vcc_lo, s52, v16
	v_add_co_ci_u32_e32 v17, vcc_lo, s53, v17, vcc_lo
	s_delay_alu instid0(VALU_DEP_3) | instskip(NEXT) | instid1(VALU_DEP_3)
	v_or_b32_e32 v2, s55, v15
	v_add_co_u32 v9, vcc_lo, v16, v9
	s_delay_alu instid0(VALU_DEP_3)
	v_add_co_ci_u32_e32 v10, vcc_lo, v17, v10, vcc_lo
	global_store_b16 v[9:10], v18, off
                                        ; implicit-def: $vgpr9_vgpr10
	v_cmpx_ne_u64_e32 0, v[1:2]
	s_xor_b32 s72, exec_lo, s0
	s_cbranch_execz .LBB47_60
; %bb.59:                               ;   in Loop: Header=BB47_3 Depth=1
	s_ashr_i32 s60, s55, 31
	s_delay_alu instid0(SALU_CYCLE_1) | instskip(SKIP_2) | instid1(SALU_CYCLE_1)
	s_add_u32 s62, s54, s60
	s_mov_b32 s61, s60
	s_addc_u32 s63, s55, s60
	s_xor_b64 s[62:63], s[62:63], s[60:61]
	s_delay_alu instid0(SALU_CYCLE_1) | instskip(SKIP_3) | instid1(VALU_DEP_1)
	v_cvt_f32_u32_e32 v2, s62
	v_cvt_f32_u32_e32 v9, s63
	s_sub_u32 s0, 0, s62
	s_subb_u32 s61, 0, s63
	v_fmac_f32_e32 v2, 0x4f800000, v9
	s_delay_alu instid0(VALU_DEP_1) | instskip(SKIP_2) | instid1(VALU_DEP_1)
	v_rcp_f32_e32 v2, v2
	s_waitcnt_depctr 0xfff
	v_mul_f32_e32 v2, 0x5f7ffffc, v2
	v_mul_f32_e32 v9, 0x2f800000, v2
	s_delay_alu instid0(VALU_DEP_1) | instskip(NEXT) | instid1(VALU_DEP_1)
	v_trunc_f32_e32 v9, v9
	v_fmac_f32_e32 v2, 0xcf800000, v9
	v_cvt_u32_f32_e32 v9, v9
	s_delay_alu instid0(VALU_DEP_2) | instskip(NEXT) | instid1(VALU_DEP_2)
	v_cvt_u32_f32_e32 v2, v2
	v_mul_lo_u32 v10, s0, v9
	s_delay_alu instid0(VALU_DEP_2) | instskip(SKIP_1) | instid1(VALU_DEP_2)
	v_mul_hi_u32 v16, s0, v2
	v_mul_lo_u32 v17, s61, v2
	v_add_nc_u32_e32 v10, v16, v10
	v_mul_lo_u32 v16, s0, v2
	s_delay_alu instid0(VALU_DEP_2) | instskip(NEXT) | instid1(VALU_DEP_2)
	v_add_nc_u32_e32 v10, v10, v17
	v_mul_hi_u32 v17, v2, v16
	s_delay_alu instid0(VALU_DEP_2)
	v_mul_lo_u32 v18, v2, v10
	v_mul_hi_u32 v19, v2, v10
	v_mul_hi_u32 v20, v9, v16
	v_mul_lo_u32 v16, v9, v16
	v_mul_hi_u32 v21, v9, v10
	v_mul_lo_u32 v10, v9, v10
	v_add_co_u32 v17, vcc_lo, v17, v18
	v_add_co_ci_u32_e32 v18, vcc_lo, 0, v19, vcc_lo
	s_delay_alu instid0(VALU_DEP_2) | instskip(NEXT) | instid1(VALU_DEP_2)
	v_add_co_u32 v16, vcc_lo, v17, v16
	v_add_co_ci_u32_e32 v16, vcc_lo, v18, v20, vcc_lo
	v_add_co_ci_u32_e32 v17, vcc_lo, 0, v21, vcc_lo
	v_ashrrev_i32_e32 v20, 31, v15
	s_delay_alu instid0(VALU_DEP_3) | instskip(NEXT) | instid1(VALU_DEP_3)
	v_add_co_u32 v10, vcc_lo, v16, v10
	v_add_co_ci_u32_e32 v16, vcc_lo, 0, v17, vcc_lo
	s_delay_alu instid0(VALU_DEP_2) | instskip(NEXT) | instid1(VALU_DEP_2)
	v_add_co_u32 v2, vcc_lo, v2, v10
	v_add_co_ci_u32_e32 v9, vcc_lo, v9, v16, vcc_lo
	s_delay_alu instid0(VALU_DEP_2) | instskip(SKIP_1) | instid1(VALU_DEP_3)
	v_mul_hi_u32 v10, s0, v2
	v_mul_lo_u32 v17, s61, v2
	v_mul_lo_u32 v16, s0, v9
	s_delay_alu instid0(VALU_DEP_1) | instskip(SKIP_1) | instid1(VALU_DEP_2)
	v_add_nc_u32_e32 v10, v10, v16
	v_mul_lo_u32 v16, s0, v2
	v_add_nc_u32_e32 v10, v10, v17
	s_delay_alu instid0(VALU_DEP_2) | instskip(NEXT) | instid1(VALU_DEP_2)
	v_mul_hi_u32 v17, v2, v16
	v_mul_lo_u32 v18, v2, v10
	v_mul_hi_u32 v19, v2, v10
	v_mul_hi_u32 v21, v9, v16
	v_mul_lo_u32 v16, v9, v16
	v_mul_hi_u32 v22, v9, v10
	v_mul_lo_u32 v10, v9, v10
	v_add_co_u32 v17, vcc_lo, v17, v18
	v_add_co_ci_u32_e32 v18, vcc_lo, 0, v19, vcc_lo
	s_delay_alu instid0(VALU_DEP_2) | instskip(NEXT) | instid1(VALU_DEP_2)
	v_add_co_u32 v16, vcc_lo, v17, v16
	v_add_co_ci_u32_e32 v16, vcc_lo, v18, v21, vcc_lo
	v_add_co_ci_u32_e32 v17, vcc_lo, 0, v22, vcc_lo
	v_add_co_u32 v14, vcc_lo, v14, v20
	v_add_co_ci_u32_e32 v15, vcc_lo, v15, v20, vcc_lo
	s_delay_alu instid0(VALU_DEP_4) | instskip(NEXT) | instid1(VALU_DEP_4)
	v_add_co_u32 v10, vcc_lo, v16, v10
	v_add_co_ci_u32_e32 v16, vcc_lo, 0, v17, vcc_lo
	s_delay_alu instid0(VALU_DEP_4) | instskip(NEXT) | instid1(VALU_DEP_3)
	v_xor_b32_e32 v18, v14, v20
	v_add_co_u32 v2, vcc_lo, v2, v10
	s_delay_alu instid0(VALU_DEP_3) | instskip(SKIP_1) | instid1(VALU_DEP_3)
	v_add_co_ci_u32_e32 v19, vcc_lo, v9, v16, vcc_lo
	v_xor_b32_e32 v21, v15, v20
	v_mul_hi_u32 v22, v18, v2
	s_delay_alu instid0(VALU_DEP_3) | instskip(NEXT) | instid1(VALU_DEP_3)
	v_mad_u64_u32 v[9:10], null, v18, v19, 0
	v_mad_u64_u32 v[14:15], null, v21, v2, 0
	;; [unrolled: 1-line block ×3, first 2 shown]
	s_delay_alu instid0(VALU_DEP_3) | instskip(NEXT) | instid1(VALU_DEP_4)
	v_add_co_u32 v2, vcc_lo, v22, v9
	v_add_co_ci_u32_e32 v9, vcc_lo, 0, v10, vcc_lo
	s_delay_alu instid0(VALU_DEP_2) | instskip(NEXT) | instid1(VALU_DEP_2)
	v_add_co_u32 v2, vcc_lo, v2, v14
	v_add_co_ci_u32_e32 v2, vcc_lo, v9, v15, vcc_lo
	v_add_co_ci_u32_e32 v9, vcc_lo, 0, v17, vcc_lo
	s_delay_alu instid0(VALU_DEP_2) | instskip(NEXT) | instid1(VALU_DEP_2)
	v_add_co_u32 v2, vcc_lo, v2, v16
	v_add_co_ci_u32_e32 v14, vcc_lo, 0, v9, vcc_lo
	s_delay_alu instid0(VALU_DEP_2) | instskip(SKIP_1) | instid1(VALU_DEP_3)
	v_mul_lo_u32 v15, s63, v2
	v_mad_u64_u32 v[9:10], null, s62, v2, 0
	v_mul_lo_u32 v16, s62, v14
	s_delay_alu instid0(VALU_DEP_2) | instskip(NEXT) | instid1(VALU_DEP_2)
	v_sub_co_u32 v9, vcc_lo, v18, v9
	v_add3_u32 v10, v10, v16, v15
	s_delay_alu instid0(VALU_DEP_1) | instskip(NEXT) | instid1(VALU_DEP_1)
	v_sub_nc_u32_e32 v15, v21, v10
	v_subrev_co_ci_u32_e64 v15, s0, s63, v15, vcc_lo
	v_add_co_u32 v16, s0, v2, 2
	s_delay_alu instid0(VALU_DEP_1) | instskip(SKIP_3) | instid1(VALU_DEP_3)
	v_add_co_ci_u32_e64 v17, s0, 0, v14, s0
	v_sub_co_u32 v18, s0, v9, s62
	v_sub_co_ci_u32_e32 v10, vcc_lo, v21, v10, vcc_lo
	v_subrev_co_ci_u32_e64 v15, s0, 0, v15, s0
	v_cmp_le_u32_e32 vcc_lo, s62, v18
	s_delay_alu instid0(VALU_DEP_3) | instskip(SKIP_1) | instid1(VALU_DEP_4)
	v_cmp_eq_u32_e64 s0, s63, v10
	v_cndmask_b32_e64 v18, 0, -1, vcc_lo
	v_cmp_le_u32_e32 vcc_lo, s63, v15
	v_cndmask_b32_e64 v19, 0, -1, vcc_lo
	v_cmp_le_u32_e32 vcc_lo, s62, v9
	;; [unrolled: 2-line block ×3, first 2 shown]
	v_cndmask_b32_e64 v21, 0, -1, vcc_lo
	v_cmp_eq_u32_e32 vcc_lo, s63, v15
	s_delay_alu instid0(VALU_DEP_2) | instskip(SKIP_3) | instid1(VALU_DEP_3)
	v_cndmask_b32_e64 v9, v21, v9, s0
	v_cndmask_b32_e32 v15, v19, v18, vcc_lo
	v_add_co_u32 v18, vcc_lo, v2, 1
	v_add_co_ci_u32_e32 v19, vcc_lo, 0, v14, vcc_lo
	v_cmp_ne_u32_e32 vcc_lo, 0, v15
	s_delay_alu instid0(VALU_DEP_2) | instskip(SKIP_2) | instid1(VALU_DEP_3)
	v_dual_cndmask_b32 v10, v19, v17 :: v_dual_cndmask_b32 v15, v18, v16
	v_cmp_ne_u32_e32 vcc_lo, 0, v9
	v_xor_b32_e32 v16, s60, v20
	v_cndmask_b32_e32 v9, v14, v10, vcc_lo
	s_delay_alu instid0(VALU_DEP_4) | instskip(NEXT) | instid1(VALU_DEP_2)
	v_cndmask_b32_e32 v2, v2, v15, vcc_lo
                                        ; implicit-def: $vgpr14
	v_xor_b32_e32 v10, v9, v16
	s_delay_alu instid0(VALU_DEP_2) | instskip(NEXT) | instid1(VALU_DEP_1)
	v_xor_b32_e32 v2, v2, v16
	v_sub_co_u32 v9, vcc_lo, v2, v16
	s_delay_alu instid0(VALU_DEP_3)
	v_sub_co_ci_u32_e32 v10, vcc_lo, v10, v16, vcc_lo
.LBB47_60:                              ;   in Loop: Header=BB47_3 Depth=1
	s_and_not1_saveexec_b32 s0, s72
	s_cbranch_execz .LBB47_62
; %bb.61:                               ;   in Loop: Header=BB47_3 Depth=1
	v_rcp_iflag_f32_e32 v2, v13
	s_sub_i32 s60, 0, s54
	s_waitcnt_depctr 0xfff
	v_mul_f32_e32 v2, 0x4f7ffffe, v2
	s_delay_alu instid0(VALU_DEP_1) | instskip(NEXT) | instid1(VALU_DEP_1)
	v_cvt_u32_f32_e32 v2, v2
	v_mul_lo_u32 v9, s60, v2
	s_delay_alu instid0(VALU_DEP_1) | instskip(NEXT) | instid1(VALU_DEP_1)
	v_mul_hi_u32 v9, v2, v9
	v_add_nc_u32_e32 v2, v2, v9
	s_delay_alu instid0(VALU_DEP_1) | instskip(NEXT) | instid1(VALU_DEP_1)
	v_mul_hi_u32 v2, v14, v2
	v_mul_lo_u32 v9, v2, s54
	v_add_nc_u32_e32 v10, 1, v2
	s_delay_alu instid0(VALU_DEP_2) | instskip(NEXT) | instid1(VALU_DEP_1)
	v_sub_nc_u32_e32 v9, v14, v9
	v_subrev_nc_u32_e32 v14, s54, v9
	v_cmp_le_u32_e32 vcc_lo, s54, v9
	s_delay_alu instid0(VALU_DEP_2) | instskip(SKIP_1) | instid1(VALU_DEP_2)
	v_cndmask_b32_e32 v9, v9, v14, vcc_lo
	v_cndmask_b32_e32 v2, v2, v10, vcc_lo
	v_cmp_le_u32_e32 vcc_lo, s54, v9
	s_delay_alu instid0(VALU_DEP_2) | instskip(NEXT) | instid1(VALU_DEP_1)
	v_add_nc_u32_e32 v10, 1, v2
	v_dual_cndmask_b32 v9, v2, v10 :: v_dual_mov_b32 v10, v1
.LBB47_62:                              ;   in Loop: Header=BB47_3 Depth=1
	s_or_b32 exec_lo, exec_lo, s0
	s_delay_alu instid0(VALU_DEP_1) | instskip(NEXT) | instid1(VALU_DEP_2)
	v_mul_lo_u32 v2, v10, s54
	v_mul_lo_u32 v16, v9, s55
	v_mad_u64_u32 v[14:15], null, v9, s54, 0
	v_mul_lo_u32 v10, v10, s24
	s_mov_b32 s0, exec_lo
	s_delay_alu instid0(VALU_DEP_2) | instskip(NEXT) | instid1(VALU_DEP_3)
	v_add3_u32 v2, v15, v16, v2
	v_sub_co_u32 v5, vcc_lo, v5, v14
	v_mul_lo_u32 v16, v9, s25
	v_mad_u64_u32 v[14:15], null, v9, s24, 0
	s_delay_alu instid0(VALU_DEP_4) | instskip(NEXT) | instid1(VALU_DEP_4)
	v_sub_co_ci_u32_e32 v2, vcc_lo, v6, v2, vcc_lo
	v_add_co_u32 v5, vcc_lo, v3, v5
	s_delay_alu instid0(VALU_DEP_2) | instskip(SKIP_2) | instid1(VALU_DEP_4)
	v_add_co_ci_u32_e32 v2, vcc_lo, v4, v2, vcc_lo
	v_add_co_u32 v9, vcc_lo, v7, 4
	v_add_co_ci_u32_e32 v6, vcc_lo, 0, v8, vcc_lo
	v_mul_lo_u32 v17, v5, s27
	s_delay_alu instid0(VALU_DEP_4)
	v_mul_lo_u32 v2, v2, s26
	v_mad_u64_u32 v[7:8], null, v5, s26, 0
	v_mul_lo_u32 v18, s5, v9
	v_mul_lo_u32 v19, s4, v6
	v_mad_u64_u32 v[5:6], null, s4, v9, 0
	v_add3_u32 v15, v15, v16, v10
	v_add3_u32 v8, v8, v17, v2
	s_delay_alu instid0(VALU_DEP_2) | instskip(NEXT) | instid1(VALU_DEP_4)
	v_lshlrev_b64 v[14:15], 1, v[14:15]
	v_add3_u32 v6, v6, v19, v18
	v_add_co_u32 v9, vcc_lo, v3, v5
	s_delay_alu instid0(VALU_DEP_4) | instskip(NEXT) | instid1(VALU_DEP_3)
	v_lshlrev_b64 v[7:8], 1, v[7:8]
	v_add_co_ci_u32_e32 v10, vcc_lo, v4, v6, vcc_lo
	v_add_co_u32 v14, vcc_lo, s52, v14
	v_add_co_ci_u32_e32 v15, vcc_lo, s53, v15, vcc_lo
	s_delay_alu instid0(VALU_DEP_3) | instskip(NEXT) | instid1(VALU_DEP_3)
	v_or_b32_e32 v2, s55, v10
	v_add_co_u32 v7, vcc_lo, v14, v7
	s_delay_alu instid0(VALU_DEP_3)
	v_add_co_ci_u32_e32 v8, vcc_lo, v15, v8, vcc_lo
	global_store_b16 v[7:8], v11, off
                                        ; implicit-def: $vgpr7_vgpr8
	v_cmpx_ne_u64_e32 0, v[1:2]
	s_xor_b32 s72, exec_lo, s0
	s_cbranch_execz .LBB47_64
; %bb.63:                               ;   in Loop: Header=BB47_3 Depth=1
	s_ashr_i32 s60, s55, 31
	s_delay_alu instid0(SALU_CYCLE_1) | instskip(SKIP_2) | instid1(SALU_CYCLE_1)
	s_add_u32 s62, s54, s60
	s_mov_b32 s61, s60
	s_addc_u32 s63, s55, s60
	s_xor_b64 s[62:63], s[62:63], s[60:61]
	s_delay_alu instid0(SALU_CYCLE_1) | instskip(SKIP_3) | instid1(VALU_DEP_1)
	v_cvt_f32_u32_e32 v2, s62
	v_cvt_f32_u32_e32 v7, s63
	s_sub_u32 s0, 0, s62
	s_subb_u32 s61, 0, s63
	v_fmac_f32_e32 v2, 0x4f800000, v7
	s_delay_alu instid0(VALU_DEP_1) | instskip(SKIP_2) | instid1(VALU_DEP_1)
	v_rcp_f32_e32 v2, v2
	s_waitcnt_depctr 0xfff
	v_mul_f32_e32 v2, 0x5f7ffffc, v2
	v_mul_f32_e32 v7, 0x2f800000, v2
	s_delay_alu instid0(VALU_DEP_1) | instskip(NEXT) | instid1(VALU_DEP_1)
	v_trunc_f32_e32 v7, v7
	v_fmac_f32_e32 v2, 0xcf800000, v7
	v_cvt_u32_f32_e32 v7, v7
	s_delay_alu instid0(VALU_DEP_2) | instskip(NEXT) | instid1(VALU_DEP_2)
	v_cvt_u32_f32_e32 v2, v2
	v_mul_lo_u32 v8, s0, v7
	s_delay_alu instid0(VALU_DEP_2) | instskip(SKIP_1) | instid1(VALU_DEP_2)
	v_mul_hi_u32 v11, s0, v2
	v_mul_lo_u32 v13, s61, v2
	v_add_nc_u32_e32 v8, v11, v8
	v_mul_lo_u32 v11, s0, v2
	s_delay_alu instid0(VALU_DEP_2) | instskip(NEXT) | instid1(VALU_DEP_2)
	v_add_nc_u32_e32 v8, v8, v13
	v_mul_hi_u32 v13, v2, v11
	s_delay_alu instid0(VALU_DEP_2)
	v_mul_lo_u32 v14, v2, v8
	v_mul_hi_u32 v15, v2, v8
	v_mul_hi_u32 v16, v7, v11
	v_mul_lo_u32 v11, v7, v11
	v_mul_hi_u32 v17, v7, v8
	v_mul_lo_u32 v8, v7, v8
	v_add_co_u32 v13, vcc_lo, v13, v14
	v_add_co_ci_u32_e32 v14, vcc_lo, 0, v15, vcc_lo
	s_delay_alu instid0(VALU_DEP_2) | instskip(NEXT) | instid1(VALU_DEP_2)
	v_add_co_u32 v11, vcc_lo, v13, v11
	v_add_co_ci_u32_e32 v11, vcc_lo, v14, v16, vcc_lo
	v_add_co_ci_u32_e32 v13, vcc_lo, 0, v17, vcc_lo
	v_ashrrev_i32_e32 v16, 31, v10
	s_delay_alu instid0(VALU_DEP_3) | instskip(NEXT) | instid1(VALU_DEP_3)
	v_add_co_u32 v8, vcc_lo, v11, v8
	v_add_co_ci_u32_e32 v11, vcc_lo, 0, v13, vcc_lo
	s_delay_alu instid0(VALU_DEP_2) | instskip(NEXT) | instid1(VALU_DEP_2)
	v_add_co_u32 v2, vcc_lo, v2, v8
	v_add_co_ci_u32_e32 v7, vcc_lo, v7, v11, vcc_lo
	s_delay_alu instid0(VALU_DEP_2) | instskip(SKIP_1) | instid1(VALU_DEP_3)
	v_mul_hi_u32 v8, s0, v2
	v_mul_lo_u32 v13, s61, v2
	v_mul_lo_u32 v11, s0, v7
	s_delay_alu instid0(VALU_DEP_1) | instskip(SKIP_1) | instid1(VALU_DEP_2)
	v_add_nc_u32_e32 v8, v8, v11
	v_mul_lo_u32 v11, s0, v2
	v_add_nc_u32_e32 v8, v8, v13
	s_delay_alu instid0(VALU_DEP_2) | instskip(NEXT) | instid1(VALU_DEP_2)
	v_mul_hi_u32 v13, v2, v11
	v_mul_lo_u32 v14, v2, v8
	v_mul_hi_u32 v15, v2, v8
	v_mul_hi_u32 v17, v7, v11
	v_mul_lo_u32 v11, v7, v11
	v_mul_hi_u32 v18, v7, v8
	v_mul_lo_u32 v8, v7, v8
	v_add_co_u32 v13, vcc_lo, v13, v14
	v_add_co_ci_u32_e32 v14, vcc_lo, 0, v15, vcc_lo
	s_delay_alu instid0(VALU_DEP_2) | instskip(NEXT) | instid1(VALU_DEP_2)
	v_add_co_u32 v11, vcc_lo, v13, v11
	v_add_co_ci_u32_e32 v11, vcc_lo, v14, v17, vcc_lo
	v_add_co_ci_u32_e32 v13, vcc_lo, 0, v18, vcc_lo
	v_add_co_u32 v9, vcc_lo, v9, v16
	v_add_co_ci_u32_e32 v10, vcc_lo, v10, v16, vcc_lo
	s_delay_alu instid0(VALU_DEP_4) | instskip(NEXT) | instid1(VALU_DEP_4)
	v_add_co_u32 v8, vcc_lo, v11, v8
	v_add_co_ci_u32_e32 v11, vcc_lo, 0, v13, vcc_lo
	s_delay_alu instid0(VALU_DEP_4) | instskip(NEXT) | instid1(VALU_DEP_3)
	v_xor_b32_e32 v15, v9, v16
	v_add_co_u32 v2, vcc_lo, v2, v8
	s_delay_alu instid0(VALU_DEP_3) | instskip(SKIP_1) | instid1(VALU_DEP_3)
	v_add_co_ci_u32_e32 v11, vcc_lo, v7, v11, vcc_lo
	v_xor_b32_e32 v17, v10, v16
	v_mul_hi_u32 v18, v15, v2
	s_delay_alu instid0(VALU_DEP_3) | instskip(NEXT) | instid1(VALU_DEP_3)
	v_mad_u64_u32 v[7:8], null, v15, v11, 0
	v_mad_u64_u32 v[9:10], null, v17, v2, 0
	;; [unrolled: 1-line block ×3, first 2 shown]
	s_delay_alu instid0(VALU_DEP_3) | instskip(NEXT) | instid1(VALU_DEP_4)
	v_add_co_u32 v2, vcc_lo, v18, v7
	v_add_co_ci_u32_e32 v7, vcc_lo, 0, v8, vcc_lo
	s_delay_alu instid0(VALU_DEP_2) | instskip(NEXT) | instid1(VALU_DEP_2)
	v_add_co_u32 v2, vcc_lo, v2, v9
	v_add_co_ci_u32_e32 v2, vcc_lo, v7, v10, vcc_lo
	v_add_co_ci_u32_e32 v7, vcc_lo, 0, v14, vcc_lo
	s_delay_alu instid0(VALU_DEP_2) | instskip(NEXT) | instid1(VALU_DEP_2)
	v_add_co_u32 v2, vcc_lo, v2, v13
	v_add_co_ci_u32_e32 v9, vcc_lo, 0, v7, vcc_lo
	s_delay_alu instid0(VALU_DEP_2) | instskip(SKIP_1) | instid1(VALU_DEP_3)
	v_mul_lo_u32 v10, s63, v2
	v_mad_u64_u32 v[7:8], null, s62, v2, 0
	v_mul_lo_u32 v11, s62, v9
	s_delay_alu instid0(VALU_DEP_2) | instskip(NEXT) | instid1(VALU_DEP_2)
	v_sub_co_u32 v7, vcc_lo, v15, v7
	v_add3_u32 v8, v8, v11, v10
	s_delay_alu instid0(VALU_DEP_1) | instskip(NEXT) | instid1(VALU_DEP_1)
	v_sub_nc_u32_e32 v10, v17, v8
	v_subrev_co_ci_u32_e64 v10, s0, s63, v10, vcc_lo
	v_add_co_u32 v11, s0, v2, 2
	s_delay_alu instid0(VALU_DEP_1) | instskip(SKIP_3) | instid1(VALU_DEP_3)
	v_add_co_ci_u32_e64 v13, s0, 0, v9, s0
	v_sub_co_u32 v14, s0, v7, s62
	v_sub_co_ci_u32_e32 v8, vcc_lo, v17, v8, vcc_lo
	v_subrev_co_ci_u32_e64 v10, s0, 0, v10, s0
	v_cmp_le_u32_e32 vcc_lo, s62, v14
	s_delay_alu instid0(VALU_DEP_3) | instskip(SKIP_1) | instid1(VALU_DEP_4)
	v_cmp_eq_u32_e64 s0, s63, v8
	v_cndmask_b32_e64 v14, 0, -1, vcc_lo
	v_cmp_le_u32_e32 vcc_lo, s63, v10
	v_cndmask_b32_e64 v15, 0, -1, vcc_lo
	v_cmp_le_u32_e32 vcc_lo, s62, v7
	;; [unrolled: 2-line block ×3, first 2 shown]
	v_cndmask_b32_e64 v17, 0, -1, vcc_lo
	v_cmp_eq_u32_e32 vcc_lo, s63, v10
	s_delay_alu instid0(VALU_DEP_2) | instskip(SKIP_3) | instid1(VALU_DEP_3)
	v_cndmask_b32_e64 v7, v17, v7, s0
	v_cndmask_b32_e32 v10, v15, v14, vcc_lo
	v_add_co_u32 v14, vcc_lo, v2, 1
	v_add_co_ci_u32_e32 v15, vcc_lo, 0, v9, vcc_lo
	v_cmp_ne_u32_e32 vcc_lo, 0, v10
	s_delay_alu instid0(VALU_DEP_2) | instskip(NEXT) | instid1(VALU_DEP_4)
	v_cndmask_b32_e32 v8, v15, v13, vcc_lo
	v_cndmask_b32_e32 v10, v14, v11, vcc_lo
	v_cmp_ne_u32_e32 vcc_lo, 0, v7
	v_xor_b32_e32 v11, s60, v16
                                        ; implicit-def: $vgpr13
	s_delay_alu instid0(VALU_DEP_3) | instskip(NEXT) | instid1(VALU_DEP_1)
	v_dual_cndmask_b32 v2, v2, v10 :: v_dual_cndmask_b32 v7, v9, v8
                                        ; implicit-def: $vgpr9
	v_xor_b32_e32 v2, v2, v11
	s_delay_alu instid0(VALU_DEP_2) | instskip(NEXT) | instid1(VALU_DEP_2)
	v_xor_b32_e32 v8, v7, v11
	v_sub_co_u32 v7, vcc_lo, v2, v11
	s_delay_alu instid0(VALU_DEP_2)
	v_sub_co_ci_u32_e32 v8, vcc_lo, v8, v11, vcc_lo
.LBB47_64:                              ;   in Loop: Header=BB47_3 Depth=1
	s_and_not1_saveexec_b32 s0, s72
	s_cbranch_execz .LBB47_2
; %bb.65:                               ;   in Loop: Header=BB47_3 Depth=1
	v_rcp_iflag_f32_e32 v2, v13
	s_sub_i32 s60, 0, s54
	s_waitcnt_depctr 0xfff
	v_mul_f32_e32 v2, 0x4f7ffffe, v2
	s_delay_alu instid0(VALU_DEP_1) | instskip(NEXT) | instid1(VALU_DEP_1)
	v_cvt_u32_f32_e32 v2, v2
	v_mul_lo_u32 v7, s60, v2
	s_delay_alu instid0(VALU_DEP_1) | instskip(NEXT) | instid1(VALU_DEP_1)
	v_mul_hi_u32 v7, v2, v7
	v_add_nc_u32_e32 v2, v2, v7
	s_delay_alu instid0(VALU_DEP_1) | instskip(NEXT) | instid1(VALU_DEP_1)
	v_mul_hi_u32 v2, v9, v2
	v_mul_lo_u32 v7, v2, s54
	v_add_nc_u32_e32 v8, 1, v2
	s_delay_alu instid0(VALU_DEP_2) | instskip(NEXT) | instid1(VALU_DEP_1)
	v_sub_nc_u32_e32 v7, v9, v7
	v_subrev_nc_u32_e32 v9, s54, v7
	v_cmp_le_u32_e32 vcc_lo, s54, v7
	s_delay_alu instid0(VALU_DEP_2) | instskip(NEXT) | instid1(VALU_DEP_1)
	v_dual_cndmask_b32 v7, v7, v9 :: v_dual_cndmask_b32 v2, v2, v8
	v_cmp_le_u32_e32 vcc_lo, s54, v7
	s_delay_alu instid0(VALU_DEP_2) | instskip(NEXT) | instid1(VALU_DEP_1)
	v_add_nc_u32_e32 v8, 1, v2
	v_dual_cndmask_b32 v7, v2, v8 :: v_dual_mov_b32 v8, v1
	s_branch .LBB47_2
.LBB47_66:
	s_nop 0
	s_sendmsg sendmsg(MSG_DEALLOC_VGPRS)
	s_endpgm
	.section	.rodata,"a",@progbits
	.p2align	6, 0x0
	.amdhsa_kernel _ZN2at6native12_GLOBAL__N_16kernel16gru_cell_forwardIN3c108BFloat16EflLi2EEEvNS_4cuda6detail10TensorInfoIT_T1_EESB_SB_SB_SB_SB_SB_SA_SA_
		.amdhsa_group_segment_fixed_size 0
		.amdhsa_private_segment_fixed_size 0
		.amdhsa_kernarg_size 3184
		.amdhsa_user_sgpr_count 15
		.amdhsa_user_sgpr_dispatch_ptr 0
		.amdhsa_user_sgpr_queue_ptr 0
		.amdhsa_user_sgpr_kernarg_segment_ptr 1
		.amdhsa_user_sgpr_dispatch_id 0
		.amdhsa_user_sgpr_private_segment_size 0
		.amdhsa_wavefront_size32 1
		.amdhsa_uses_dynamic_stack 0
		.amdhsa_enable_private_segment 0
		.amdhsa_system_sgpr_workgroup_id_x 1
		.amdhsa_system_sgpr_workgroup_id_y 0
		.amdhsa_system_sgpr_workgroup_id_z 0
		.amdhsa_system_sgpr_workgroup_info 0
		.amdhsa_system_vgpr_workitem_id 0
		.amdhsa_next_free_vgpr 35
		.amdhsa_next_free_sgpr 73
		.amdhsa_reserve_vcc 1
		.amdhsa_float_round_mode_32 0
		.amdhsa_float_round_mode_16_64 0
		.amdhsa_float_denorm_mode_32 3
		.amdhsa_float_denorm_mode_16_64 3
		.amdhsa_dx10_clamp 1
		.amdhsa_ieee_mode 1
		.amdhsa_fp16_overflow 0
		.amdhsa_workgroup_processor_mode 1
		.amdhsa_memory_ordered 1
		.amdhsa_forward_progress 0
		.amdhsa_shared_vgpr_count 0
		.amdhsa_exception_fp_ieee_invalid_op 0
		.amdhsa_exception_fp_denorm_src 0
		.amdhsa_exception_fp_ieee_div_zero 0
		.amdhsa_exception_fp_ieee_overflow 0
		.amdhsa_exception_fp_ieee_underflow 0
		.amdhsa_exception_fp_ieee_inexact 0
		.amdhsa_exception_int_div_zero 0
	.end_amdhsa_kernel
	.section	.text._ZN2at6native12_GLOBAL__N_16kernel16gru_cell_forwardIN3c108BFloat16EflLi2EEEvNS_4cuda6detail10TensorInfoIT_T1_EESB_SB_SB_SB_SB_SB_SA_SA_,"axG",@progbits,_ZN2at6native12_GLOBAL__N_16kernel16gru_cell_forwardIN3c108BFloat16EflLi2EEEvNS_4cuda6detail10TensorInfoIT_T1_EESB_SB_SB_SB_SB_SB_SA_SA_,comdat
.Lfunc_end47:
	.size	_ZN2at6native12_GLOBAL__N_16kernel16gru_cell_forwardIN3c108BFloat16EflLi2EEEvNS_4cuda6detail10TensorInfoIT_T1_EESB_SB_SB_SB_SB_SB_SA_SA_, .Lfunc_end47-_ZN2at6native12_GLOBAL__N_16kernel16gru_cell_forwardIN3c108BFloat16EflLi2EEEvNS_4cuda6detail10TensorInfoIT_T1_EESB_SB_SB_SB_SB_SB_SA_SA_
                                        ; -- End function
	.section	.AMDGPU.csdata,"",@progbits
; Kernel info:
; codeLenInByte = 18724
; NumSgprs: 75
; NumVgprs: 35
; ScratchSize: 0
; MemoryBound: 0
; FloatMode: 240
; IeeeMode: 1
; LDSByteSize: 0 bytes/workgroup (compile time only)
; SGPRBlocks: 9
; VGPRBlocks: 4
; NumSGPRsForWavesPerEU: 75
; NumVGPRsForWavesPerEU: 35
; Occupancy: 16
; WaveLimiterHint : 1
; COMPUTE_PGM_RSRC2:SCRATCH_EN: 0
; COMPUTE_PGM_RSRC2:USER_SGPR: 15
; COMPUTE_PGM_RSRC2:TRAP_HANDLER: 0
; COMPUTE_PGM_RSRC2:TGID_X_EN: 1
; COMPUTE_PGM_RSRC2:TGID_Y_EN: 0
; COMPUTE_PGM_RSRC2:TGID_Z_EN: 0
; COMPUTE_PGM_RSRC2:TIDIG_COMP_CNT: 0
	.section	.text._ZN2at6native12_GLOBAL__N_16kernel17gru_cell_backwardIddiLi1EEEvNS_4cuda6detail10TensorInfoIT_T1_EES9_S9_S9_S9_S8_S8_,"axG",@progbits,_ZN2at6native12_GLOBAL__N_16kernel17gru_cell_backwardIddiLi1EEEvNS_4cuda6detail10TensorInfoIT_T1_EES9_S9_S9_S9_S8_S8_,comdat
	.globl	_ZN2at6native12_GLOBAL__N_16kernel17gru_cell_backwardIddiLi1EEEvNS_4cuda6detail10TensorInfoIT_T1_EES9_S9_S9_S9_S8_S8_ ; -- Begin function _ZN2at6native12_GLOBAL__N_16kernel17gru_cell_backwardIddiLi1EEEvNS_4cuda6detail10TensorInfoIT_T1_EES9_S9_S9_S9_S8_S8_
	.p2align	8
	.type	_ZN2at6native12_GLOBAL__N_16kernel17gru_cell_backwardIddiLi1EEEvNS_4cuda6detail10TensorInfoIT_T1_EES9_S9_S9_S9_S8_S8_,@function
_ZN2at6native12_GLOBAL__N_16kernel17gru_cell_backwardIddiLi1EEEvNS_4cuda6detail10TensorInfoIT_T1_EES9_S9_S9_S9_S8_S8_: ; @_ZN2at6native12_GLOBAL__N_16kernel17gru_cell_backwardIddiLi1EEEvNS_4cuda6detail10TensorInfoIT_T1_EES9_S9_S9_S9_S8_S8_
; %bb.0:
	s_clause 0x1
	s_load_b32 s4, s[0:1], 0x44c
	s_load_b64 s[2:3], s[0:1], 0x438
	s_add_u32 s8, s0, 0x440
	s_addc_u32 s9, s1, 0
	s_waitcnt lgkmcnt(0)
	s_and_b32 s18, s4, 0xffff
	s_mov_b32 s4, exec_lo
	v_mad_u64_u32 v[1:2], null, s15, s18, v[0:1]
	s_delay_alu instid0(VALU_DEP_1)
	v_cmpx_gt_i32_e64 s3, v1
	s_cbranch_execz .LBB48_3
; %bb.1:
	s_abs_i32 s14, s2
	s_clause 0x3
	s_load_b64 s[4:5], s[0:1], 0x1b0
	s_load_b32 s21, s[0:1], 0x21c
	s_load_b64 s[6:7], s[0:1], 0x288
	s_load_b32 s22, s[0:1], 0x2f4
	s_load_b32 s19, s[8:9], 0x0
	v_cvt_f32_u32_e32 v0, s14
	s_sub_i32 s12, 0, s14
	s_clause 0x3
	s_load_b64 s[8:9], s[0:1], 0x0
	s_load_b32 s15, s[0:1], 0x6c
	s_load_b64 s[10:11], s[0:1], 0xd8
	s_load_b32 s16, s[0:1], 0x144
	s_mov_b32 s17, 0
	s_lshl_b32 s20, s2, 1
	v_rcp_iflag_f32_e32 v0, v0
	s_waitcnt_depctr 0xfff
	v_mul_f32_e32 v0, 0x4f7ffffe, v0
	s_waitcnt lgkmcnt(0)
	v_mul_lo_u32 v4, v1, s22
	s_mul_i32 s18, s19, s18
	s_delay_alu instid0(VALU_DEP_2) | instskip(SKIP_2) | instid1(VALU_DEP_1)
	v_cvt_u32_f32_e32 v0, v0
	s_lshl_b32 s19, s2, 2
	s_mul_i32 s22, s18, s22
	v_mul_lo_u32 v2, s12, v0
	s_clause 0x1
	s_load_b64 s[12:13], s[0:1], 0x360
	s_load_b32 s0, s[0:1], 0x3cc
	s_ashr_i32 s1, s2, 31
	s_delay_alu instid0(VALU_DEP_1) | instskip(SKIP_2) | instid1(VALU_DEP_2)
	v_mul_hi_u32 v3, v0, v2
	v_mul_lo_u32 v2, v1, s21
	s_mul_i32 s21, s18, s21
	v_add_nc_u32_e32 v0, v0, v3
.LBB48_2:                               ; =>This Inner Loop Header: Depth=1
	v_sub_nc_u32_e32 v5, 0, v1
	v_ashrrev_i32_e32 v6, 31, v1
	s_delay_alu instid0(VALU_DEP_4) | instskip(NEXT) | instid1(VALU_DEP_3)
	v_ashrrev_i32_e32 v3, 31, v2
	v_max_i32_e32 v8, v1, v5
	s_delay_alu instid0(VALU_DEP_3) | instskip(NEXT) | instid1(VALU_DEP_3)
	v_xor_b32_e32 v24, s1, v6
	v_lshlrev_b64 v[5:6], 3, v[2:3]
	s_delay_alu instid0(VALU_DEP_3) | instskip(NEXT) | instid1(VALU_DEP_3)
	v_mul_hi_u32 v3, v8, v0
	v_lshlrev_b32_e32 v9, 2, v24
	s_delay_alu instid0(VALU_DEP_3) | instskip(NEXT) | instid1(VALU_DEP_4)
	v_add_co_u32 v5, vcc_lo, s4, v5
	v_add_co_ci_u32_e32 v6, vcc_lo, s5, v6, vcc_lo
	global_load_b64 v[6:7], v[5:6], off
	v_mul_lo_u32 v5, v3, s14
	s_delay_alu instid0(VALU_DEP_1) | instskip(NEXT) | instid1(VALU_DEP_1)
	v_sub_nc_u32_e32 v5, v8, v5
	v_subrev_nc_u32_e32 v8, s14, v5
	v_cmp_le_u32_e32 vcc_lo, s14, v5
	s_delay_alu instid0(VALU_DEP_2) | instskip(NEXT) | instid1(VALU_DEP_1)
	v_dual_cndmask_b32 v5, v5, v8 :: v_dual_add_nc_u32 v10, 1, v3
	v_cndmask_b32_e32 v3, v3, v10, vcc_lo
	s_delay_alu instid0(VALU_DEP_2) | instskip(NEXT) | instid1(VALU_DEP_2)
	v_cmp_le_u32_e32 vcc_lo, s14, v5
	v_add_nc_u32_e32 v8, 1, v3
	s_delay_alu instid0(VALU_DEP_1) | instskip(NEXT) | instid1(VALU_DEP_1)
	v_cndmask_b32_e32 v3, v3, v8, vcc_lo
	v_xor_b32_e32 v3, v3, v24
	s_delay_alu instid0(VALU_DEP_1) | instskip(SKIP_2) | instid1(VALU_DEP_3)
	v_lshlrev_b32_e32 v5, 2, v3
	v_sub_nc_u32_e32 v26, v3, v24
	v_lshlrev_b32_e32 v3, 1, v3
	v_sub_nc_u32_e32 v5, v5, v9
	s_delay_alu instid0(VALU_DEP_3) | instskip(NEXT) | instid1(VALU_DEP_2)
	v_mad_u64_u32 v[8:9], null, s19, v26, v[1:2]
	v_or_b32_e32 v9, 1, v5
	v_or_b32_e32 v14, 2, v5
	;; [unrolled: 1-line block ×3, first 2 shown]
	v_add_nc_u32_e32 v5, 4, v5
	s_waitcnt lgkmcnt(0)
	v_mul_lo_u32 v8, v8, s0
	v_mad_u64_u32 v[10:11], null, s2, v9, v[1:2]
	v_mad_u64_u32 v[12:13], null, s2, v14, v[1:2]
	;; [unrolled: 1-line block ×4, first 2 shown]
	v_add_nc_u32_e32 v2, s21, v2
	v_mul_lo_u32 v10, v10, s0
	v_ashrrev_i32_e32 v9, 31, v8
	v_mul_lo_u32 v12, v12, s0
	v_mul_lo_u32 v14, v14, s0
	v_ashrrev_i32_e32 v5, 31, v4
	v_mul_lo_u32 v16, v16, s0
	v_lshlrev_b64 v[8:9], 3, v[8:9]
	v_ashrrev_i32_e32 v11, 31, v10
	v_ashrrev_i32_e32 v13, 31, v12
	;; [unrolled: 1-line block ×3, first 2 shown]
	s_delay_alu instid0(VALU_DEP_4) | instskip(NEXT) | instid1(VALU_DEP_4)
	v_add_co_u32 v8, vcc_lo, s12, v8
	v_lshlrev_b64 v[10:11], 3, v[10:11]
	v_add_co_ci_u32_e32 v9, vcc_lo, s13, v9, vcc_lo
	v_lshlrev_b64 v[12:13], 3, v[12:13]
	v_lshlrev_b64 v[14:15], 3, v[14:15]
	v_ashrrev_i32_e32 v17, 31, v16
	v_add_co_u32 v10, vcc_lo, s12, v10
	v_add_co_ci_u32_e32 v11, vcc_lo, s13, v11, vcc_lo
	global_load_b64 v[8:9], v[8:9], off
	v_add_co_u32 v12, vcc_lo, s12, v12
	global_load_b64 v[10:11], v[10:11], off
	v_add_co_ci_u32_e32 v13, vcc_lo, s13, v13, vcc_lo
	v_add_co_u32 v14, vcc_lo, s12, v14
	v_add_co_ci_u32_e32 v15, vcc_lo, s13, v15, vcc_lo
	global_load_b64 v[12:13], v[12:13], off
	v_lshlrev_b64 v[16:17], 3, v[16:17]
	global_load_b64 v[14:15], v[14:15], off
	v_add_co_u32 v16, vcc_lo, s12, v16
	v_add_co_ci_u32_e32 v17, vcc_lo, s13, v17, vcc_lo
	global_load_b64 v[16:17], v[16:17], off
	s_waitcnt vmcnt(3)
	v_add_f64 v[18:19], -v[10:11], 1.0
	v_mul_f64 v[30:31], v[10:11], v[6:7]
	s_waitcnt vmcnt(2)
	v_fma_f64 v[20:21], -v[12:13], v[12:13], 1.0
	s_waitcnt vmcnt(1)
	v_add_f64 v[12:13], v[14:15], -v[12:13]
	s_delay_alu instid0(VALU_DEP_4) | instskip(NEXT) | instid1(VALU_DEP_2)
	v_mul_f64 v[22:23], v[18:19], v[6:7]
	v_mul_f64 v[12:13], v[12:13], v[6:7]
	s_delay_alu instid0(VALU_DEP_2)
	v_mul_f64 v[14:15], v[20:21], v[22:23]
	v_add_f64 v[20:21], -v[8:9], 1.0
	v_lshlrev_b64 v[22:23], 3, v[4:5]
	v_lshlrev_b32_e32 v5, 1, v24
	v_mad_u64_u32 v[24:25], null, s20, v26, v[1:2]
	v_add_nc_u32_e32 v4, s22, v4
	s_delay_alu instid0(VALU_DEP_3) | instskip(SKIP_3) | instid1(VALU_DEP_4)
	v_sub_nc_u32_e32 v3, v3, v5
	v_add_co_u32 v22, vcc_lo, s6, v22
	v_mul_f64 v[12:13], v[18:19], v[12:13]
	v_mul_lo_u32 v18, v24, s15
	v_or_b32_e32 v5, 1, v3
	v_add_nc_u32_e32 v3, 2, v3
	v_add_co_ci_u32_e32 v23, vcc_lo, s7, v23, vcc_lo
	s_delay_alu instid0(VALU_DEP_4) | instskip(NEXT) | instid1(VALU_DEP_1)
	v_ashrrev_i32_e32 v19, 31, v18
	v_lshlrev_b64 v[18:19], 3, v[18:19]
	s_waitcnt vmcnt(0)
	v_mul_f64 v[16:17], v[16:17], v[14:15]
	v_mul_f64 v[10:11], v[10:11], v[12:13]
	;; [unrolled: 1-line block ×3, first 2 shown]
	s_delay_alu instid0(VALU_DEP_3) | instskip(SKIP_4) | instid1(VALU_DEP_4)
	v_mul_f64 v[16:17], v[20:21], v[16:17]
	v_mul_lo_u32 v20, v24, s16
	v_mad_u64_u32 v[24:25], null, s2, v5, v[1:2]
	v_mad_u64_u32 v[25:26], null, s2, v3, v[1:2]
	v_add_nc_u32_e32 v1, s18, v1
	v_ashrrev_i32_e32 v21, 31, v20
	s_delay_alu instid0(VALU_DEP_4) | instskip(NEXT) | instid1(VALU_DEP_3)
	v_mul_lo_u32 v26, v24, s15
	v_cmp_le_i32_e32 vcc_lo, s3, v1
	v_mul_lo_u32 v28, v25, s15
	v_mul_lo_u32 v5, v24, s16
	v_lshlrev_b64 v[20:21], 3, v[20:21]
	v_mul_lo_u32 v24, v25, s16
	s_or_b32 s17, vcc_lo, s17
	v_ashrrev_i32_e32 v27, 31, v26
	v_ashrrev_i32_e32 v29, 31, v28
	;; [unrolled: 1-line block ×3, first 2 shown]
	s_delay_alu instid0(VALU_DEP_4) | instskip(NEXT) | instid1(VALU_DEP_2)
	v_ashrrev_i32_e32 v25, 31, v24
	v_lshlrev_b64 v[5:6], 3, v[5:6]
	s_delay_alu instid0(VALU_DEP_2)
	v_lshlrev_b64 v[24:25], 3, v[24:25]
	v_mul_f64 v[7:8], v[8:9], v[16:17]
	v_add_co_u32 v16, vcc_lo, s8, v18
	v_add_co_ci_u32_e32 v17, vcc_lo, s9, v19, vcc_lo
	v_add_co_u32 v18, vcc_lo, s10, v20
	v_add_co_ci_u32_e32 v19, vcc_lo, s11, v21, vcc_lo
	v_lshlrev_b64 v[20:21], 3, v[26:27]
	v_lshlrev_b64 v[26:27], 3, v[28:29]
	s_delay_alu instid0(VALU_DEP_2) | instskip(NEXT) | instid1(VALU_DEP_3)
	v_add_co_u32 v20, vcc_lo, s8, v20
	v_add_co_ci_u32_e32 v21, vcc_lo, s9, v21, vcc_lo
	s_delay_alu instid0(VALU_DEP_3) | instskip(NEXT) | instid1(VALU_DEP_4)
	v_add_co_u32 v26, vcc_lo, s8, v26
	v_add_co_ci_u32_e32 v27, vcc_lo, s9, v27, vcc_lo
	v_add_co_u32 v5, vcc_lo, s10, v5
	v_add_co_ci_u32_e32 v6, vcc_lo, s11, v6, vcc_lo
	;; [unrolled: 2-line block ×3, first 2 shown]
	s_clause 0x2
	global_store_b64 v[16:17], v[7:8], off
	global_store_b64 v[20:21], v[10:11], off
	;; [unrolled: 1-line block ×3, first 2 shown]
	s_clause 0x2
	global_store_b64 v[18:19], v[7:8], off
	global_store_b64 v[5:6], v[10:11], off
	;; [unrolled: 1-line block ×4, first 2 shown]
	s_and_not1_b32 exec_lo, exec_lo, s17
	s_cbranch_execnz .LBB48_2
.LBB48_3:
	s_nop 0
	s_sendmsg sendmsg(MSG_DEALLOC_VGPRS)
	s_endpgm
	.section	.rodata,"a",@progbits
	.p2align	6, 0x0
	.amdhsa_kernel _ZN2at6native12_GLOBAL__N_16kernel17gru_cell_backwardIddiLi1EEEvNS_4cuda6detail10TensorInfoIT_T1_EES9_S9_S9_S9_S8_S8_
		.amdhsa_group_segment_fixed_size 0
		.amdhsa_private_segment_fixed_size 0
		.amdhsa_kernarg_size 1344
		.amdhsa_user_sgpr_count 15
		.amdhsa_user_sgpr_dispatch_ptr 0
		.amdhsa_user_sgpr_queue_ptr 0
		.amdhsa_user_sgpr_kernarg_segment_ptr 1
		.amdhsa_user_sgpr_dispatch_id 0
		.amdhsa_user_sgpr_private_segment_size 0
		.amdhsa_wavefront_size32 1
		.amdhsa_uses_dynamic_stack 0
		.amdhsa_enable_private_segment 0
		.amdhsa_system_sgpr_workgroup_id_x 1
		.amdhsa_system_sgpr_workgroup_id_y 0
		.amdhsa_system_sgpr_workgroup_id_z 0
		.amdhsa_system_sgpr_workgroup_info 0
		.amdhsa_system_vgpr_workitem_id 0
		.amdhsa_next_free_vgpr 32
		.amdhsa_next_free_sgpr 23
		.amdhsa_reserve_vcc 1
		.amdhsa_float_round_mode_32 0
		.amdhsa_float_round_mode_16_64 0
		.amdhsa_float_denorm_mode_32 3
		.amdhsa_float_denorm_mode_16_64 3
		.amdhsa_dx10_clamp 1
		.amdhsa_ieee_mode 1
		.amdhsa_fp16_overflow 0
		.amdhsa_workgroup_processor_mode 1
		.amdhsa_memory_ordered 1
		.amdhsa_forward_progress 0
		.amdhsa_shared_vgpr_count 0
		.amdhsa_exception_fp_ieee_invalid_op 0
		.amdhsa_exception_fp_denorm_src 0
		.amdhsa_exception_fp_ieee_div_zero 0
		.amdhsa_exception_fp_ieee_overflow 0
		.amdhsa_exception_fp_ieee_underflow 0
		.amdhsa_exception_fp_ieee_inexact 0
		.amdhsa_exception_int_div_zero 0
	.end_amdhsa_kernel
	.section	.text._ZN2at6native12_GLOBAL__N_16kernel17gru_cell_backwardIddiLi1EEEvNS_4cuda6detail10TensorInfoIT_T1_EES9_S9_S9_S9_S8_S8_,"axG",@progbits,_ZN2at6native12_GLOBAL__N_16kernel17gru_cell_backwardIddiLi1EEEvNS_4cuda6detail10TensorInfoIT_T1_EES9_S9_S9_S9_S8_S8_,comdat
.Lfunc_end48:
	.size	_ZN2at6native12_GLOBAL__N_16kernel17gru_cell_backwardIddiLi1EEEvNS_4cuda6detail10TensorInfoIT_T1_EES9_S9_S9_S9_S8_S8_, .Lfunc_end48-_ZN2at6native12_GLOBAL__N_16kernel17gru_cell_backwardIddiLi1EEEvNS_4cuda6detail10TensorInfoIT_T1_EES9_S9_S9_S9_S8_S8_
                                        ; -- End function
	.section	.AMDGPU.csdata,"",@progbits
; Kernel info:
; codeLenInByte = 1236
; NumSgprs: 25
; NumVgprs: 32
; ScratchSize: 0
; MemoryBound: 0
; FloatMode: 240
; IeeeMode: 1
; LDSByteSize: 0 bytes/workgroup (compile time only)
; SGPRBlocks: 3
; VGPRBlocks: 3
; NumSGPRsForWavesPerEU: 25
; NumVGPRsForWavesPerEU: 32
; Occupancy: 16
; WaveLimiterHint : 1
; COMPUTE_PGM_RSRC2:SCRATCH_EN: 0
; COMPUTE_PGM_RSRC2:USER_SGPR: 15
; COMPUTE_PGM_RSRC2:TRAP_HANDLER: 0
; COMPUTE_PGM_RSRC2:TGID_X_EN: 1
; COMPUTE_PGM_RSRC2:TGID_Y_EN: 0
; COMPUTE_PGM_RSRC2:TGID_Z_EN: 0
; COMPUTE_PGM_RSRC2:TIDIG_COMP_CNT: 0
	.section	.text._ZN2at6native12_GLOBAL__N_16kernel17gru_cell_backwardIddiLi2EEEvNS_4cuda6detail10TensorInfoIT_T1_EES9_S9_S9_S9_S8_S8_,"axG",@progbits,_ZN2at6native12_GLOBAL__N_16kernel17gru_cell_backwardIddiLi2EEEvNS_4cuda6detail10TensorInfoIT_T1_EES9_S9_S9_S9_S8_S8_,comdat
	.globl	_ZN2at6native12_GLOBAL__N_16kernel17gru_cell_backwardIddiLi2EEEvNS_4cuda6detail10TensorInfoIT_T1_EES9_S9_S9_S9_S8_S8_ ; -- Begin function _ZN2at6native12_GLOBAL__N_16kernel17gru_cell_backwardIddiLi2EEEvNS_4cuda6detail10TensorInfoIT_T1_EES9_S9_S9_S9_S8_S8_
	.p2align	8
	.type	_ZN2at6native12_GLOBAL__N_16kernel17gru_cell_backwardIddiLi2EEEvNS_4cuda6detail10TensorInfoIT_T1_EES9_S9_S9_S9_S8_S8_,@function
_ZN2at6native12_GLOBAL__N_16kernel17gru_cell_backwardIddiLi2EEEvNS_4cuda6detail10TensorInfoIT_T1_EES9_S9_S9_S9_S8_S8_: ; @_ZN2at6native12_GLOBAL__N_16kernel17gru_cell_backwardIddiLi2EEEvNS_4cuda6detail10TensorInfoIT_T1_EES9_S9_S9_S9_S8_S8_
; %bb.0:
	s_clause 0x1
	s_load_b32 s6, s[0:1], 0x44c
	s_load_b64 s[4:5], s[0:1], 0x438
	s_add_u32 s2, s0, 0x440
	s_addc_u32 s3, s1, 0
	s_waitcnt lgkmcnt(0)
	s_and_b32 s31, s6, 0xffff
	s_mov_b32 s6, exec_lo
	v_mad_u64_u32 v[1:2], null, s15, s31, v[0:1]
	s_delay_alu instid0(VALU_DEP_1)
	v_cmpx_gt_i32_e64 s5, v1
	s_cbranch_execz .LBB49_3
; %bb.1:
	s_clause 0x1
	s_load_b32 s26, s[0:1], 0x36c
	s_load_b32 s45, s[0:1], 0x1bc
	;; [unrolled: 1-line block ×3, first 2 shown]
	s_clause 0x5
	s_load_b64 s[6:7], s[0:1], 0x0
	s_load_b32 s27, s[0:1], 0xc
	s_load_b32 s28, s[0:1], 0xe4
	s_load_b64 s[8:9], s[0:1], 0x144
	s_load_b64 s[10:11], s[0:1], 0x1b0
	s_load_b32 s46, s[0:1], 0x294
	s_abs_i32 s3, s4
	s_clause 0x6
	s_load_b64 s[12:13], s[0:1], 0x21c
	s_load_b64 s[14:15], s[0:1], 0x288
	;; [unrolled: 1-line block ×7, first 2 shown]
	v_cvt_f32_u32_e32 v0, s3
	s_sub_i32 s0, 0, s3
	s_ashr_i32 s36, s4, 31
	s_mov_b32 s37, 0
	s_lshl_b32 s43, s4, 2
	v_rcp_iflag_f32_e32 v0, v0
	s_lshl_b32 s44, s4, 1
	s_waitcnt lgkmcnt(0)
	s_abs_i32 s29, s26
	s_abs_i32 s30, s45
	v_cvt_f32_u32_e32 v2, s29
	v_cvt_f32_u32_e32 v3, s30
	s_abs_i32 s34, s28
	s_abs_i32 s33, s27
	v_cvt_f32_u32_e32 v5, s34
	v_rcp_iflag_f32_e32 v2, v2
	v_cvt_f32_u32_e32 v4, s33
	s_abs_i32 s35, s46
	v_rcp_iflag_f32_e32 v3, v3
	v_cvt_f32_u32_e32 v7, s35
	v_rcp_iflag_f32_e32 v5, v5
	v_rcp_iflag_f32_e32 v4, v4
	v_mul_f32_e32 v0, 0x4f7ffffe, v0
	s_sub_i32 s1, 0, s30
	v_rcp_iflag_f32_e32 v7, v7
	v_mul_f32_e32 v2, 0x4f7ffffe, v2
	s_mul_i32 s31, s2, s31
	s_ashr_i32 s38, s26, 31
	v_mul_f32_e32 v3, 0x4f7ffffe, v3
	v_cvt_u32_f32_e32 v0, v0
	v_mul_f32_e32 v5, 0x4f7ffffe, v5
	v_cvt_u32_f32_e32 v2, v2
	;; [unrolled: 2-line block ×3, first 2 shown]
	v_mul_f32_e32 v7, 0x4f7ffffe, v7
	v_mul_lo_u32 v6, s0, v0
	s_sub_i32 s0, 0, s29
	v_cvt_u32_f32_e32 v4, v4
	v_mul_lo_u32 v8, s0, v2
	v_cvt_u32_f32_e32 v5, v5
	v_cvt_u32_f32_e32 v7, v7
	s_sub_i32 s0, 0, s33
	v_mul_lo_u32 v9, s1, v3
	s_sub_i32 s1, 0, s34
	v_mul_lo_u32 v10, s0, v4
	s_sub_i32 s0, 0, s35
	v_mul_hi_u32 v6, v0, v6
	v_mul_lo_u32 v11, s1, v5
	v_mul_hi_u32 v8, v2, v8
	v_mul_lo_u32 v12, s0, v7
	v_mul_hi_u32 v9, v3, v9
	s_ashr_i32 s39, s45, 31
	s_ashr_i32 s40, s27, 31
	;; [unrolled: 1-line block ×3, first 2 shown]
	v_add_nc_u32_e32 v0, v0, v6
	v_mul_hi_u32 v6, v4, v10
	v_mul_hi_u32 v10, v5, v11
	v_add_nc_u32_e32 v2, v2, v8
	v_mul_hi_u32 v8, v7, v12
	v_add_nc_u32_e32 v3, v3, v9
	s_ashr_i32 s42, s46, 31
	s_sub_i32 s45, 0, s45
	s_sub_i32 s46, 0, s46
	v_add_nc_u32_e32 v4, v4, v6
	v_add_nc_u32_e32 v5, v5, v10
	s_delay_alu instid0(VALU_DEP_4)
	v_add_nc_u32_e32 v6, v7, v8
.LBB49_2:                               ; =>This Inner Loop Header: Depth=1
	v_sub_nc_u32_e32 v7, 0, v1
	v_ashrrev_i32_e32 v8, 31, v1
	s_delay_alu instid0(VALU_DEP_2) | instskip(NEXT) | instid1(VALU_DEP_2)
	v_max_i32_e32 v7, v1, v7
	v_xor_b32_e32 v9, s36, v8
	v_xor_b32_e32 v10, s39, v8
	v_xor_b32_e32 v8, s42, v8
	s_delay_alu instid0(VALU_DEP_4) | instskip(SKIP_1) | instid1(VALU_DEP_2)
	v_mul_hi_u32 v11, v7, v0
	v_mul_hi_u32 v12, v7, v3
	v_mul_lo_u32 v14, v11, s3
	s_delay_alu instid0(VALU_DEP_2) | instskip(SKIP_2) | instid1(VALU_DEP_4)
	v_mul_lo_u32 v15, v12, s30
	v_add_nc_u32_e32 v16, 1, v11
	v_add_nc_u32_e32 v17, 1, v12
	v_sub_nc_u32_e32 v14, v7, v14
	s_delay_alu instid0(VALU_DEP_4) | instskip(NEXT) | instid1(VALU_DEP_2)
	v_sub_nc_u32_e32 v15, v7, v15
	v_subrev_nc_u32_e32 v18, s3, v14
	v_cmp_le_u32_e32 vcc_lo, s3, v14
	s_delay_alu instid0(VALU_DEP_3) | instskip(NEXT) | instid1(VALU_DEP_3)
	v_cmp_le_u32_e64 s0, s30, v15
	v_dual_cndmask_b32 v14, v14, v18 :: v_dual_lshlrev_b32 v13, 2, v9
	v_cndmask_b32_e32 v11, v11, v16, vcc_lo
	v_subrev_nc_u32_e32 v16, s30, v15
	s_delay_alu instid0(VALU_DEP_4) | instskip(NEXT) | instid1(VALU_DEP_4)
	v_cndmask_b32_e64 v12, v12, v17, s0
	v_cmp_le_u32_e32 vcc_lo, s3, v14
	s_delay_alu instid0(VALU_DEP_3) | instskip(NEXT) | instid1(VALU_DEP_3)
	v_cndmask_b32_e64 v15, v15, v16, s0
	v_add_nc_u32_e32 v16, 1, v12
	v_add_nc_u32_e32 v17, 1, v11
	s_delay_alu instid0(VALU_DEP_1) | instskip(NEXT) | instid1(VALU_DEP_4)
	v_cndmask_b32_e32 v11, v11, v17, vcc_lo
	v_cmp_le_u32_e32 vcc_lo, s30, v15
	s_delay_alu instid0(VALU_DEP_2) | instskip(SKIP_1) | instid1(VALU_DEP_2)
	v_xor_b32_e32 v23, v11, v9
	v_cndmask_b32_e32 v12, v12, v16, vcc_lo
	v_sub_nc_u32_e32 v24, v23, v9
	s_delay_alu instid0(VALU_DEP_2) | instskip(SKIP_2) | instid1(VALU_DEP_4)
	v_xor_b32_e32 v11, v12, v10
	v_lshlrev_b32_e32 v12, 2, v23
	v_lshlrev_b32_e32 v9, 1, v9
	v_mul_lo_u32 v15, s43, v24
	s_delay_alu instid0(VALU_DEP_4) | instskip(NEXT) | instid1(VALU_DEP_4)
	v_sub_nc_u32_e32 v14, v11, v10
	v_sub_nc_u32_e32 v12, v12, v13
	s_delay_alu instid0(VALU_DEP_2) | instskip(NEXT) | instid1(VALU_DEP_2)
	v_mad_u64_u32 v[10:11], null, s45, v14, v[1:2]
	v_or_b32_e32 v11, 1, v12
	v_add_nc_u32_e32 v17, v1, v15
	v_or_b32_e32 v13, 2, v12
	v_or_b32_e32 v16, 3, v12
	v_add_nc_u32_e32 v12, 4, v12
	v_mul_lo_u32 v18, s4, v11
	v_mul_lo_u32 v10, v10, s13
	v_ashrrev_i32_e32 v17, 31, v17
	v_mul_lo_u32 v13, s4, v13
	v_mul_lo_u32 v19, s4, v12
	v_mul_lo_u32 v16, s4, v16
	v_mad_u64_u32 v[11:12], null, v14, s12, v[10:11]
	v_add3_u32 v10, v17, v15, v1
	v_add_nc_u32_e32 v12, v1, v18
	v_xor_b32_e32 v14, s38, v17
	v_add_nc_u32_e32 v20, v1, v13
	v_add_nc_u32_e32 v21, v1, v16
	v_xor_b32_e32 v17, v10, v17
	v_ashrrev_i32_e32 v25, 31, v12
	v_ashrrev_i32_e32 v12, 31, v11
	v_add_nc_u32_e32 v22, v1, v19
	v_ashrrev_i32_e32 v20, 31, v20
	v_mul_hi_u32 v26, v17, v2
	v_add3_u32 v28, v25, v18, v1
	v_ashrrev_i32_e32 v21, 31, v21
	v_xor_b32_e32 v27, s38, v25
	v_lshlrev_b64 v[10:11], 3, v[11:12]
	v_ashrrev_i32_e32 v22, 31, v22
	v_xor_b32_e32 v12, v28, v25
	v_add3_u32 v30, v20, v13, v1
	v_mul_lo_u32 v25, v26, s29
	v_add3_u32 v32, v21, v16, v1
	v_xor_b32_e32 v29, s38, v20
	v_xor_b32_e32 v31, s38, v21
	v_add3_u32 v34, v22, v19, v1
	v_xor_b32_e32 v20, v30, v20
	v_xor_b32_e32 v21, v32, v21
	v_mul_hi_u32 v30, v12, v2
	v_sub_nc_u32_e32 v17, v17, v25
	v_add_co_u32 v10, vcc_lo, s10, v10
	v_xor_b32_e32 v33, s38, v22
	v_xor_b32_e32 v22, v34, v22
	v_add_co_ci_u32_e32 v11, vcc_lo, s11, v11, vcc_lo
	v_mul_hi_u32 v32, v20, v2
	v_mul_hi_u32 v34, v21, v2
	v_add_nc_u32_e32 v28, 1, v26
	v_subrev_nc_u32_e32 v43, s29, v17
	v_cmp_le_u32_e32 vcc_lo, s29, v17
	v_mul_lo_u32 v25, v30, s29
	v_mul_hi_u32 v35, v22, v2
	v_add_nc_u32_e32 v36, 1, v30
	v_mul_lo_u32 v37, v32, s29
	v_dual_cndmask_b32 v26, v26, v28 :: v_dual_cndmask_b32 v17, v17, v43
	v_mul_lo_u32 v39, v34, s29
	v_add_nc_u32_e32 v38, 1, v32
	v_sub_nc_u32_e32 v12, v12, v25
	s_delay_alu instid0(VALU_DEP_4)
	v_add_nc_u32_e32 v28, 1, v26
	v_cmp_le_u32_e32 vcc_lo, s29, v17
	v_sub_nc_u32_e32 v20, v20, v37
	v_mul_lo_u32 v41, v35, s29
	v_add_nc_u32_e32 v40, 1, v34
	v_sub_nc_u32_e32 v21, v21, v39
	v_cndmask_b32_e32 v17, v26, v28, vcc_lo
	v_cmp_le_u32_e32 vcc_lo, s29, v12
	v_subrev_nc_u32_e32 v26, s29, v12
	v_cmp_le_u32_e64 s0, s29, v20
	v_cmp_le_u32_e64 s1, s29, v21
	v_sub_nc_u32_e32 v22, v22, v41
	v_cndmask_b32_e32 v25, v30, v36, vcc_lo
	v_subrev_nc_u32_e32 v30, s29, v20
	v_cndmask_b32_e32 v12, v12, v26, vcc_lo
	v_cndmask_b32_e64 v28, v32, v38, s0
	v_cndmask_b32_e64 v32, v34, v40, s1
	v_subrev_nc_u32_e32 v34, s29, v21
	v_add_nc_u32_e32 v26, 1, v25
	v_cndmask_b32_e64 v20, v20, v30, s0
	v_cmp_le_u32_e32 vcc_lo, s29, v12
	v_add_nc_u32_e32 v42, 1, v35
	v_cmp_le_u32_e64 s2, s29, v22
	v_subrev_nc_u32_e32 v36, s29, v22
	v_xor_b32_e32 v17, v17, v14
	v_add_nc_u32_e32 v30, 1, v28
	v_cndmask_b32_e64 v21, v21, v34, s1
	v_cndmask_b32_e32 v12, v25, v26, vcc_lo
	v_cmp_le_u32_e32 vcc_lo, s29, v20
	v_cndmask_b32_e64 v35, v35, v42, s2
	v_add_nc_u32_e32 v34, 1, v32
	v_cndmask_b32_e64 v22, v22, v36, s2
	v_sub_nc_u32_e32 v17, v17, v14
	v_cndmask_b32_e32 v14, v28, v30, vcc_lo
	v_cmp_le_u32_e32 vcc_lo, s29, v21
	v_add_nc_u32_e32 v36, 1, v35
	v_xor_b32_e32 v12, v12, v27
	global_load_b64 v[10:11], v[10:11], off
	v_xor_b32_e32 v14, v14, v29
	v_cndmask_b32_e32 v20, v32, v34, vcc_lo
	v_cmp_le_u32_e32 vcc_lo, s29, v22
	v_mul_lo_u32 v22, v17, s26
	v_sub_nc_u32_e32 v25, v12, v27
	v_sub_nc_u32_e32 v26, v14, v29
	v_xor_b32_e32 v20, v20, v31
	v_cndmask_b32_e32 v21, v35, v36, vcc_lo
	s_delay_alu instid0(VALU_DEP_4) | instskip(SKIP_1) | instid1(VALU_DEP_3)
	v_mul_lo_u32 v14, v25, s26
	v_sub_nc_u32_e32 v12, v15, v22
	v_xor_b32_e32 v21, v21, v33
	v_sub_nc_u32_e32 v27, v20, v31
	v_mul_lo_u32 v15, v26, s26
	s_delay_alu instid0(VALU_DEP_4) | instskip(NEXT) | instid1(VALU_DEP_4)
	v_add_nc_u32_e32 v12, v1, v12
	v_sub_nc_u32_e32 v28, v21, v33
	v_sub_nc_u32_e32 v14, v18, v14
	v_mul_lo_u32 v20, v27, s26
	s_delay_alu instid0(VALU_DEP_4) | instskip(NEXT) | instid1(VALU_DEP_4)
	v_mul_lo_u32 v12, v12, s25
	v_mul_lo_u32 v21, v28, s26
	v_sub_nc_u32_e32 v13, v13, v15
	v_add_nc_u32_e32 v18, v1, v14
	v_sub_nc_u32_e32 v15, v16, v20
	s_delay_alu instid0(VALU_DEP_4) | instskip(NEXT) | instid1(VALU_DEP_4)
	v_sub_nc_u32_e32 v16, v19, v21
	v_add_nc_u32_e32 v19, v1, v13
	v_mad_u64_u32 v[13:14], null, v17, s24, v[12:13]
	v_mul_lo_u32 v12, v18, s25
	v_add_nc_u32_e32 v20, v1, v15
	v_add_nc_u32_e32 v21, v1, v16
	s_delay_alu instid0(VALU_DEP_4) | instskip(NEXT) | instid1(VALU_DEP_4)
	v_ashrrev_i32_e32 v14, 31, v13
	v_mad_u64_u32 v[15:16], null, v25, s24, v[12:13]
	s_delay_alu instid0(VALU_DEP_2) | instskip(NEXT) | instid1(VALU_DEP_2)
	v_lshlrev_b64 v[12:13], 3, v[13:14]
	v_ashrrev_i32_e32 v16, 31, v15
	s_delay_alu instid0(VALU_DEP_2) | instskip(NEXT) | instid1(VALU_DEP_3)
	v_add_co_u32 v12, vcc_lo, s16, v12
	v_add_co_ci_u32_e32 v13, vcc_lo, s17, v13, vcc_lo
	s_delay_alu instid0(VALU_DEP_3)
	v_lshlrev_b64 v[14:15], 3, v[15:16]
	v_mul_lo_u32 v16, v19, s25
	global_load_b64 v[12:13], v[12:13], off
	v_add_co_u32 v14, vcc_lo, s16, v14
	v_add_co_ci_u32_e32 v15, vcc_lo, s17, v15, vcc_lo
	v_mad_u64_u32 v[17:18], null, v26, s24, v[16:17]
	global_load_b64 v[14:15], v[14:15], off
	v_ashrrev_i32_e32 v18, 31, v17
	s_delay_alu instid0(VALU_DEP_1) | instskip(SKIP_1) | instid1(VALU_DEP_2)
	v_lshlrev_b64 v[16:17], 3, v[17:18]
	v_mul_lo_u32 v18, v20, s25
	v_add_co_u32 v16, vcc_lo, s16, v16
	s_delay_alu instid0(VALU_DEP_3) | instskip(NEXT) | instid1(VALU_DEP_3)
	v_add_co_ci_u32_e32 v17, vcc_lo, s17, v17, vcc_lo
	v_mad_u64_u32 v[19:20], null, v27, s24, v[18:19]
	global_load_b64 v[16:17], v[16:17], off
	v_ashrrev_i32_e32 v20, 31, v19
	s_delay_alu instid0(VALU_DEP_1) | instskip(SKIP_1) | instid1(VALU_DEP_2)
	v_lshlrev_b64 v[18:19], 3, v[19:20]
	v_mul_lo_u32 v20, v21, s25
	v_add_co_u32 v18, vcc_lo, s16, v18
	s_delay_alu instid0(VALU_DEP_3) | instskip(NEXT) | instid1(VALU_DEP_3)
	v_add_co_ci_u32_e32 v19, vcc_lo, s17, v19, vcc_lo
	v_mad_u64_u32 v[21:22], null, v28, s24, v[20:21]
	v_mul_lo_u32 v28, s44, v24
	global_load_b64 v[18:19], v[18:19], off
	v_ashrrev_i32_e32 v22, 31, v21
	s_delay_alu instid0(VALU_DEP_1) | instskip(SKIP_1) | instid1(VALU_DEP_2)
	v_lshlrev_b64 v[20:21], 3, v[21:22]
	v_mul_hi_u32 v22, v7, v6
	v_add_co_u32 v20, vcc_lo, s16, v20
	s_delay_alu instid0(VALU_DEP_3) | instskip(NEXT) | instid1(VALU_DEP_3)
	v_add_co_ci_u32_e32 v21, vcc_lo, s17, v21, vcc_lo
	v_mul_lo_u32 v25, v22, s35
	v_add_nc_u32_e32 v26, 1, v22
	global_load_b64 v[20:21], v[20:21], off
	v_sub_nc_u32_e32 v7, v7, v25
	s_delay_alu instid0(VALU_DEP_1) | instskip(SKIP_1) | instid1(VALU_DEP_2)
	v_subrev_nc_u32_e32 v25, s35, v7
	v_cmp_le_u32_e32 vcc_lo, s35, v7
	v_dual_cndmask_b32 v22, v22, v26 :: v_dual_cndmask_b32 v7, v7, v25
	s_delay_alu instid0(VALU_DEP_1) | instskip(NEXT) | instid1(VALU_DEP_2)
	v_add_nc_u32_e32 v25, 1, v22
	v_cmp_le_u32_e32 vcc_lo, s35, v7
	s_delay_alu instid0(VALU_DEP_2) | instskip(NEXT) | instid1(VALU_DEP_1)
	v_dual_cndmask_b32 v7, v22, v25 :: v_dual_lshlrev_b32 v22, 1, v23
	v_xor_b32_e32 v7, v7, v8
	s_delay_alu instid0(VALU_DEP_2) | instskip(SKIP_1) | instid1(VALU_DEP_3)
	v_sub_nc_u32_e32 v9, v22, v9
	v_add_nc_u32_e32 v22, v1, v28
	v_sub_nc_u32_e32 v23, v7, v8
	s_delay_alu instid0(VALU_DEP_2) | instskip(NEXT) | instid1(VALU_DEP_2)
	v_ashrrev_i32_e32 v22, 31, v22
	v_mad_u64_u32 v[7:8], null, s46, v23, v[1:2]
	v_or_b32_e32 v8, 1, v9
	v_add_nc_u32_e32 v9, 2, v9
	s_delay_alu instid0(VALU_DEP_4) | instskip(SKIP_1) | instid1(VALU_DEP_4)
	v_xor_b32_e32 v31, s40, v22
	v_xor_b32_e32 v32, s41, v22
	v_mul_lo_u32 v29, s4, v8
	v_mul_lo_u32 v7, v7, s23
	;; [unrolled: 1-line block ×3, first 2 shown]
	s_delay_alu instid0(VALU_DEP_2) | instskip(SKIP_1) | instid1(VALU_DEP_3)
	v_mad_u64_u32 v[8:9], null, v23, s22, v[7:8]
	v_add3_u32 v7, v22, v28, v1
	v_add_nc_u32_e32 v23, v1, v30
	v_add_nc_u32_e32 v9, v1, v29
	s_delay_alu instid0(VALU_DEP_3) | instskip(NEXT) | instid1(VALU_DEP_3)
	v_xor_b32_e32 v24, v7, v22
	v_ashrrev_i32_e32 v26, 31, v23
	s_delay_alu instid0(VALU_DEP_3) | instskip(SKIP_1) | instid1(VALU_DEP_4)
	v_ashrrev_i32_e32 v25, 31, v9
	v_ashrrev_i32_e32 v9, 31, v8
	v_mul_hi_u32 v33, v24, v4
	v_mul_hi_u32 v37, v24, v5
	s_delay_alu instid0(VALU_DEP_4)
	v_add3_u32 v27, v25, v29, v1
	v_add3_u32 v36, v26, v30, v1
	v_xor_b32_e32 v34, s40, v25
	v_xor_b32_e32 v35, s40, v26
	;; [unrolled: 1-line block ×4, first 2 shown]
	v_lshlrev_b64 v[7:8], 3, v[8:9]
	v_xor_b32_e32 v9, v27, v25
	v_xor_b32_e32 v36, v36, v26
	v_mul_lo_u32 v25, v33, s33
	v_mul_lo_u32 v26, v37, s34
	v_add_nc_u32_e32 v40, 1, v33
	v_mul_hi_u32 v42, v9, v4
	v_add_co_u32 v7, vcc_lo, s14, v7
	v_add_co_ci_u32_e32 v8, vcc_lo, s15, v8, vcc_lo
	v_sub_nc_u32_e32 v46, v24, v25
	v_sub_nc_u32_e32 v47, v24, v26
	v_add_nc_u32_e32 v41, 1, v37
	v_mul_lo_u32 v48, v42, s33
	v_mul_hi_u32 v43, v36, v4
	v_subrev_nc_u32_e32 v56, s33, v46
	v_cmp_le_u32_e32 vcc_lo, s33, v46
	v_cmp_le_u32_e64 s0, s34, v47
	v_mul_hi_u32 v44, v9, v5
	v_mul_hi_u32 v45, v36, v5
	v_add_nc_u32_e32 v49, 1, v42
	v_cndmask_b32_e32 v33, v33, v40, vcc_lo
	v_cndmask_b32_e64 v37, v37, v41, s0
	v_cndmask_b32_e32 v41, v46, v56, vcc_lo
	v_subrev_nc_u32_e32 v40, s34, v47
	v_sub_nc_u32_e32 v48, v9, v48
	v_add_nc_u32_e32 v46, 1, v33
	v_mul_lo_u32 v50, v43, s33
	v_cmp_le_u32_e32 vcc_lo, s33, v41
	v_mul_lo_u32 v52, v44, s34
	v_cndmask_b32_e64 v40, v47, v40, s0
	v_mul_lo_u32 v54, v45, s34
	v_add_nc_u32_e32 v47, 1, v37
	v_cndmask_b32_e32 v33, v33, v46, vcc_lo
	v_cmp_le_u32_e32 vcc_lo, s33, v48
	v_sub_nc_u32_e32 v50, v36, v50
	v_cmp_le_u32_e64 s1, s34, v40
	v_sub_nc_u32_e32 v9, v9, v52
	v_add_nc_u32_e32 v51, 1, v43
	v_cndmask_b32_e32 v41, v42, v49, vcc_lo
	v_subrev_nc_u32_e32 v42, s33, v48
	v_add_nc_u32_e32 v53, 1, v44
	v_sub_nc_u32_e32 v36, v36, v54
	v_cmp_le_u32_e64 s0, s33, v50
	v_subrev_nc_u32_e32 v46, s33, v50
	v_dual_cndmask_b32 v40, v48, v42 :: v_dual_add_nc_u32 v55, 1, v45
	s_delay_alu instid0(VALU_DEP_4) | instskip(NEXT) | instid1(VALU_DEP_4)
	v_cmp_le_u32_e64 s2, s34, v36
	v_cndmask_b32_e64 v43, v43, v51, s0
	v_xor_b32_e32 v33, v33, v31
	v_add_nc_u32_e32 v42, 1, v41
	v_cmp_le_u32_e32 vcc_lo, s33, v40
	s_delay_alu instid0(VALU_DEP_3) | instskip(NEXT) | instid1(VALU_DEP_3)
	v_sub_nc_u32_e32 v31, v33, v31
	v_cndmask_b32_e32 v33, v41, v42, vcc_lo
	s_delay_alu instid0(VALU_DEP_1) | instskip(NEXT) | instid1(VALU_DEP_1)
	v_xor_b32_e32 v33, v33, v34
	v_sub_nc_u32_e32 v33, v33, v34
	s_waitcnt vmcnt(3)
	v_add_f64 v[22:23], -v[14:15], 1.0
	s_waitcnt vmcnt(2)
	v_fma_f64 v[24:25], -v[16:17], v[16:17], 1.0
	s_delay_alu instid0(VALU_DEP_2) | instskip(SKIP_2) | instid1(VALU_DEP_2)
	v_mul_f64 v[26:27], v[22:23], v[10:11]
	s_waitcnt vmcnt(1)
	v_add_f64 v[16:17], v[18:19], -v[16:17]
	v_mul_f64 v[18:19], v[24:25], v[26:27]
	v_cndmask_b32_e64 v24, v37, v47, s1
	v_cmp_le_u32_e64 s1, s34, v9
	v_subrev_nc_u32_e32 v26, s34, v9
	v_cndmask_b32_e64 v27, v45, v55, s2
	v_add_nc_u32_e32 v45, 1, v43
	v_xor_b32_e32 v24, v24, v32
	v_cndmask_b32_e64 v25, v44, v53, s1
	v_cndmask_b32_e64 v44, v50, v46, s0
	;; [unrolled: 1-line block ×3, first 2 shown]
	v_mul_f64 v[16:17], v[16:17], v[10:11]
	v_sub_nc_u32_e32 v32, v24, v32
	v_add_nc_u32_e32 v26, 1, v25
	v_cmp_le_u32_e32 vcc_lo, s33, v44
	v_subrev_nc_u32_e32 v37, s34, v36
	v_cndmask_b32_e32 v40, v43, v45, vcc_lo
	v_cmp_le_u32_e32 vcc_lo, s34, v9
	s_delay_alu instid0(VALU_DEP_3) | instskip(SKIP_3) | instid1(VALU_DEP_4)
	v_cndmask_b32_e64 v36, v36, v37, s2
	v_add_nc_u32_e32 v37, 1, v27
	v_cndmask_b32_e32 v9, v25, v26, vcc_lo
	v_add_f64 v[24:25], -v[12:13], 1.0
	v_cmp_le_u32_e32 vcc_lo, s34, v36
	v_xor_b32_e32 v36, v40, v35
	s_delay_alu instid0(VALU_DEP_4)
	v_xor_b32_e32 v9, v9, v38
	v_cndmask_b32_e32 v26, v27, v37, vcc_lo
	v_mul_lo_u32 v27, v31, s27
	v_mul_lo_u32 v37, v32, s28
	v_sub_nc_u32_e32 v34, v36, v35
	v_sub_nc_u32_e32 v35, v9, v38
	v_xor_b32_e32 v26, v26, v39
	s_waitcnt vmcnt(0)
	v_mul_f64 v[20:21], v[20:21], v[18:19]
	v_sub_nc_u32_e32 v9, v28, v27
	v_mul_lo_u32 v27, v33, s27
	v_sub_nc_u32_e32 v36, v26, v39
	v_sub_nc_u32_e32 v26, v28, v37
	v_mul_lo_u32 v28, v34, s27
	v_add_nc_u32_e32 v9, v1, v9
	v_mul_lo_u32 v37, v35, s28
	v_mul_lo_u32 v38, v36, s28
	v_mul_f64 v[16:17], v[22:23], v[16:17]
	v_sub_nc_u32_e32 v27, v29, v27
	v_mul_lo_u32 v9, v9, s19
	v_add_nc_u32_e32 v26, v1, v26
	v_sub_nc_u32_e32 v28, v30, v28
	s_delay_alu instid0(VALU_DEP_4)
	v_add_nc_u32_e32 v27, v1, v27
	v_sub_nc_u32_e32 v29, v29, v37
	v_sub_nc_u32_e32 v30, v30, v38
	v_mul_lo_u32 v26, v26, s9
	v_mad_u64_u32 v[22:23], null, v31, s18, v[9:10]
	v_mul_lo_u32 v9, v27, s19
	v_add_nc_u32_e32 v28, v1, v28
	v_add_nc_u32_e32 v29, v1, v29
	;; [unrolled: 1-line block ×4, first 2 shown]
	v_ashrrev_i32_e32 v23, 31, v22
	s_delay_alu instid0(VALU_DEP_2) | instskip(NEXT) | instid1(VALU_DEP_2)
	v_cmp_le_i32_e32 vcc_lo, s5, v1
	v_lshlrev_b64 v[22:23], 3, v[22:23]
	s_or_b32 s37, vcc_lo, s37
	v_mul_f64 v[20:21], v[24:25], v[20:21]
	v_mad_u64_u32 v[24:25], null, v32, s8, v[26:27]
	v_mul_lo_u32 v26, v28, s19
	v_mul_lo_u32 v27, v29, s9
	;; [unrolled: 1-line block ×3, first 2 shown]
	v_mad_u64_u32 v[29:30], null, v33, s18, v[9:10]
	v_mul_f64 v[9:10], v[14:15], v[10:11]
	v_ashrrev_i32_e32 v25, 31, v24
	v_mul_f64 v[14:15], v[14:15], v[16:17]
	v_mul_f64 v[16:17], v[12:13], v[18:19]
	v_mad_u64_u32 v[31:32], null, v34, s18, v[26:27]
	s_delay_alu instid0(VALU_DEP_4) | instskip(SKIP_4) | instid1(VALU_DEP_4)
	v_lshlrev_b64 v[24:25], 3, v[24:25]
	v_mad_u64_u32 v[33:34], null, v35, s8, v[27:28]
	v_ashrrev_i32_e32 v30, 31, v29
	v_mad_u64_u32 v[26:27], null, v36, s8, v[28:29]
	v_ashrrev_i32_e32 v32, 31, v31
	v_ashrrev_i32_e32 v34, 31, v33
	s_delay_alu instid0(VALU_DEP_3) | instskip(NEXT) | instid1(VALU_DEP_1)
	v_ashrrev_i32_e32 v27, 31, v26
	v_lshlrev_b64 v[26:27], 3, v[26:27]
	v_mul_f64 v[11:12], v[12:13], v[20:21]
	v_add_co_u32 v20, vcc_lo, s6, v22
	v_add_co_ci_u32_e32 v21, vcc_lo, s7, v23, vcc_lo
	v_add_co_u32 v22, vcc_lo, s20, v24
	v_add_co_ci_u32_e32 v23, vcc_lo, s21, v25, vcc_lo
	v_lshlrev_b64 v[24:25], 3, v[29:30]
	v_lshlrev_b64 v[28:29], 3, v[31:32]
	;; [unrolled: 1-line block ×3, first 2 shown]
	s_delay_alu instid0(VALU_DEP_3) | instskip(NEXT) | instid1(VALU_DEP_4)
	v_add_co_u32 v24, vcc_lo, s6, v24
	v_add_co_ci_u32_e32 v25, vcc_lo, s7, v25, vcc_lo
	s_delay_alu instid0(VALU_DEP_4)
	v_add_co_u32 v28, vcc_lo, s6, v28
	v_add_co_ci_u32_e32 v29, vcc_lo, s7, v29, vcc_lo
	v_add_co_u32 v30, vcc_lo, s20, v30
	v_add_co_ci_u32_e32 v31, vcc_lo, s21, v31, vcc_lo
	;; [unrolled: 2-line block ×3, first 2 shown]
	s_clause 0x2
	global_store_b64 v[20:21], v[11:12], off
	global_store_b64 v[24:25], v[14:15], off
	;; [unrolled: 1-line block ×3, first 2 shown]
	s_clause 0x2
	global_store_b64 v[22:23], v[11:12], off
	global_store_b64 v[30:31], v[14:15], off
	;; [unrolled: 1-line block ×4, first 2 shown]
	s_and_not1_b32 exec_lo, exec_lo, s37
	s_cbranch_execnz .LBB49_2
.LBB49_3:
	s_nop 0
	s_sendmsg sendmsg(MSG_DEALLOC_VGPRS)
	s_endpgm
	.section	.rodata,"a",@progbits
	.p2align	6, 0x0
	.amdhsa_kernel _ZN2at6native12_GLOBAL__N_16kernel17gru_cell_backwardIddiLi2EEEvNS_4cuda6detail10TensorInfoIT_T1_EES9_S9_S9_S9_S8_S8_
		.amdhsa_group_segment_fixed_size 0
		.amdhsa_private_segment_fixed_size 0
		.amdhsa_kernarg_size 1344
		.amdhsa_user_sgpr_count 15
		.amdhsa_user_sgpr_dispatch_ptr 0
		.amdhsa_user_sgpr_queue_ptr 0
		.amdhsa_user_sgpr_kernarg_segment_ptr 1
		.amdhsa_user_sgpr_dispatch_id 0
		.amdhsa_user_sgpr_private_segment_size 0
		.amdhsa_wavefront_size32 1
		.amdhsa_uses_dynamic_stack 0
		.amdhsa_enable_private_segment 0
		.amdhsa_system_sgpr_workgroup_id_x 1
		.amdhsa_system_sgpr_workgroup_id_y 0
		.amdhsa_system_sgpr_workgroup_id_z 0
		.amdhsa_system_sgpr_workgroup_info 0
		.amdhsa_system_vgpr_workitem_id 0
		.amdhsa_next_free_vgpr 57
		.amdhsa_next_free_sgpr 47
		.amdhsa_reserve_vcc 1
		.amdhsa_float_round_mode_32 0
		.amdhsa_float_round_mode_16_64 0
		.amdhsa_float_denorm_mode_32 3
		.amdhsa_float_denorm_mode_16_64 3
		.amdhsa_dx10_clamp 1
		.amdhsa_ieee_mode 1
		.amdhsa_fp16_overflow 0
		.amdhsa_workgroup_processor_mode 1
		.amdhsa_memory_ordered 1
		.amdhsa_forward_progress 0
		.amdhsa_shared_vgpr_count 0
		.amdhsa_exception_fp_ieee_invalid_op 0
		.amdhsa_exception_fp_denorm_src 0
		.amdhsa_exception_fp_ieee_div_zero 0
		.amdhsa_exception_fp_ieee_overflow 0
		.amdhsa_exception_fp_ieee_underflow 0
		.amdhsa_exception_fp_ieee_inexact 0
		.amdhsa_exception_int_div_zero 0
	.end_amdhsa_kernel
	.section	.text._ZN2at6native12_GLOBAL__N_16kernel17gru_cell_backwardIddiLi2EEEvNS_4cuda6detail10TensorInfoIT_T1_EES9_S9_S9_S9_S8_S8_,"axG",@progbits,_ZN2at6native12_GLOBAL__N_16kernel17gru_cell_backwardIddiLi2EEEvNS_4cuda6detail10TensorInfoIT_T1_EES9_S9_S9_S9_S8_S8_,comdat
.Lfunc_end49:
	.size	_ZN2at6native12_GLOBAL__N_16kernel17gru_cell_backwardIddiLi2EEEvNS_4cuda6detail10TensorInfoIT_T1_EES9_S9_S9_S9_S8_S8_, .Lfunc_end49-_ZN2at6native12_GLOBAL__N_16kernel17gru_cell_backwardIddiLi2EEEvNS_4cuda6detail10TensorInfoIT_T1_EES9_S9_S9_S9_S8_S8_
                                        ; -- End function
	.section	.AMDGPU.csdata,"",@progbits
; Kernel info:
; codeLenInByte = 3020
; NumSgprs: 49
; NumVgprs: 57
; ScratchSize: 0
; MemoryBound: 0
; FloatMode: 240
; IeeeMode: 1
; LDSByteSize: 0 bytes/workgroup (compile time only)
; SGPRBlocks: 6
; VGPRBlocks: 7
; NumSGPRsForWavesPerEU: 49
; NumVGPRsForWavesPerEU: 57
; Occupancy: 16
; WaveLimiterHint : 1
; COMPUTE_PGM_RSRC2:SCRATCH_EN: 0
; COMPUTE_PGM_RSRC2:USER_SGPR: 15
; COMPUTE_PGM_RSRC2:TRAP_HANDLER: 0
; COMPUTE_PGM_RSRC2:TGID_X_EN: 1
; COMPUTE_PGM_RSRC2:TGID_Y_EN: 0
; COMPUTE_PGM_RSRC2:TGID_Z_EN: 0
; COMPUTE_PGM_RSRC2:TIDIG_COMP_CNT: 0
	.section	.text._ZN2at6native12_GLOBAL__N_16kernel17gru_cell_backwardIddlLi1EEEvNS_4cuda6detail10TensorInfoIT_T1_EES9_S9_S9_S9_S8_S8_,"axG",@progbits,_ZN2at6native12_GLOBAL__N_16kernel17gru_cell_backwardIddlLi1EEEvNS_4cuda6detail10TensorInfoIT_T1_EES9_S9_S9_S9_S8_S8_,comdat
	.globl	_ZN2at6native12_GLOBAL__N_16kernel17gru_cell_backwardIddlLi1EEEvNS_4cuda6detail10TensorInfoIT_T1_EES9_S9_S9_S9_S8_S8_ ; -- Begin function _ZN2at6native12_GLOBAL__N_16kernel17gru_cell_backwardIddlLi1EEEvNS_4cuda6detail10TensorInfoIT_T1_EES9_S9_S9_S9_S8_S8_
	.p2align	8
	.type	_ZN2at6native12_GLOBAL__N_16kernel17gru_cell_backwardIddlLi1EEEvNS_4cuda6detail10TensorInfoIT_T1_EES9_S9_S9_S9_S8_S8_,@function
_ZN2at6native12_GLOBAL__N_16kernel17gru_cell_backwardIddlLi1EEEvNS_4cuda6detail10TensorInfoIT_T1_EES9_S9_S9_S9_S8_S8_: ; @_ZN2at6native12_GLOBAL__N_16kernel17gru_cell_backwardIddlLi1EEEvNS_4cuda6detail10TensorInfoIT_T1_EES9_S9_S9_S9_S8_S8_
; %bb.0:
	s_clause 0x1
	s_load_b32 s8, s[0:1], 0x83c
	s_load_b128 s[4:7], s[0:1], 0x820
	v_mov_b32_e32 v1, 0
	s_add_u32 s2, s0, 0x830
	s_addc_u32 s3, s1, 0
	s_waitcnt lgkmcnt(0)
	s_and_b32 s22, s8, 0xffff
	s_mov_b32 s8, exec_lo
	v_mad_u64_u32 v[3:4], null, s15, s22, v[0:1]
	v_mov_b32_e32 v4, v1
	s_delay_alu instid0(VALU_DEP_1)
	v_cmpx_gt_i64_e64 s[6:7], v[3:4]
	s_cbranch_execz .LBB50_7
; %bb.1:
	s_clause 0x1
	s_load_b64 s[24:25], s[0:1], 0x410
	s_load_b64 s[26:27], s[0:1], 0x5b0
	v_cvt_f32_u32_e32 v0, s4
	s_load_b32 s23, s[2:3], 0x0
	s_clause 0x7
	s_load_b64 s[34:35], s[0:1], 0x4e0
	s_load_b64 s[2:3], s[0:1], 0x0
	;; [unrolled: 1-line block ×8, first 2 shown]
	s_mov_b32 s1, 0
	s_lshl_b64 s[18:19], s[4:5], 2
	v_rcp_iflag_f32_e32 v0, v0
	s_lshl_b64 s[20:21], s[4:5], 1
	s_waitcnt lgkmcnt(0)
	s_mul_i32 s30, s23, s22
	s_waitcnt_depctr 0xfff
	v_mul_f32_e32 v0, 0x4f7ffffe, v0
	v_mul_lo_u32 v2, 0, s24
	v_mul_lo_u32 v9, v3, s25
	v_mad_u64_u32 v[5:6], null, v3, s24, 0
	v_mul_lo_u32 v10, 0, s26
	v_mul_lo_u32 v11, v3, s27
	v_mad_u64_u32 v[7:8], null, v3, s26, 0
	v_cvt_u32_f32_e32 v0, v0
	s_mul_i32 s0, s30, s25
	s_sub_i32 s25, 0, s4
	v_add3_u32 v6, v6, v9, v2
	s_mul_hi_u32 s22, s30, s24
	v_mul_lo_u32 v2, s25, v0
	s_delay_alu instid0(VALU_DEP_4)
	v_add3_u32 v8, v8, v11, v10
	s_add_i32 s23, s22, s0
	v_lshlrev_b64 v[5:6], 3, v[5:6]
	s_mul_i32 s22, s30, s24
	s_mul_i32 s0, s30, s27
	v_lshlrev_b64 v[7:8], 3, v[7:8]
	s_mul_hi_u32 s24, s30, s26
	v_mul_hi_u32 v2, v0, v2
	v_add_co_u32 v5, vcc_lo, s28, v5
	v_add_co_ci_u32_e32 v6, vcc_lo, s29, v6, vcc_lo
	s_delay_alu instid0(VALU_DEP_4)
	v_add_co_u32 v7, vcc_lo, s34, v7
	v_add_co_ci_u32_e32 v8, vcc_lo, s35, v8, vcc_lo
	v_add_nc_u32_e32 v0, v0, v2
	s_add_i32 s25, s24, s0
	s_mul_i32 s24, s30, s26
	s_lshl_b64 s[22:23], s[22:23], 3
	s_lshl_b64 s[24:25], s[24:25], 3
	s_ashr_i32 s26, s5, 31
	s_branch .LBB50_3
.LBB50_2:                               ;   in Loop: Header=BB50_3 Depth=1
	s_or_b32 exec_lo, exec_lo, s0
	s_delay_alu instid0(VALU_DEP_1) | instskip(SKIP_3) | instid1(VALU_DEP_4)
	v_lshlrev_b64 v[11:12], 2, v[9:10]
	v_mul_lo_u32 v24, s18, v10
	v_mul_lo_u32 v25, s19, v9
	v_lshlrev_b64 v[29:30], 1, v[9:10]
	v_or_b32_e32 v2, 1, v11
	v_mul_lo_u32 v21, s4, v12
	s_delay_alu instid0(VALU_DEP_3) | instskip(NEXT) | instid1(VALU_DEP_4)
	v_or_b32_e32 v31, 1, v29
	v_mul_lo_u32 v32, s4, v30
	s_delay_alu instid0(VALU_DEP_4) | instskip(SKIP_1) | instid1(VALU_DEP_4)
	v_mul_lo_u32 v15, s5, v2
	v_mad_u64_u32 v[13:14], null, s4, v2, v[3:4]
	v_mul_lo_u32 v33, s5, v31
	s_delay_alu instid0(VALU_DEP_2) | instskip(NEXT) | instid1(VALU_DEP_3)
	v_add3_u32 v2, v15, v14, v21
	v_mul_lo_u32 v16, v13, s17
	v_mad_u64_u32 v[14:15], null, v13, s16, 0
	s_delay_alu instid0(VALU_DEP_3) | instskip(NEXT) | instid1(VALU_DEP_1)
	v_mul_lo_u32 v2, v2, s16
	v_add3_u32 v15, v15, v16, v2
	v_or_b32_e32 v2, 2, v11
	s_delay_alu instid0(VALU_DEP_2) | instskip(NEXT) | instid1(VALU_DEP_2)
	v_lshlrev_b64 v[13:14], 3, v[14:15]
	v_mul_lo_u32 v17, s5, v2
	v_mad_u64_u32 v[15:16], null, s4, v2, v[3:4]
	s_delay_alu instid0(VALU_DEP_3) | instskip(NEXT) | instid1(VALU_DEP_4)
	v_add_co_u32 v13, vcc_lo, s14, v13
	v_add_co_ci_u32_e32 v14, vcc_lo, s15, v14, vcc_lo
	s_delay_alu instid0(VALU_DEP_3) | instskip(NEXT) | instid1(VALU_DEP_4)
	v_add3_u32 v2, v17, v16, v21
	v_mul_lo_u32 v18, v15, s17
	v_mad_u64_u32 v[16:17], null, v15, s16, 0
	global_load_b64 v[13:14], v[13:14], off
	v_mul_lo_u32 v2, v2, s16
	s_delay_alu instid0(VALU_DEP_1) | instskip(SKIP_1) | instid1(VALU_DEP_2)
	v_add3_u32 v17, v17, v18, v2
	v_or_b32_e32 v2, 3, v11
	v_lshlrev_b64 v[15:16], 3, v[16:17]
	s_delay_alu instid0(VALU_DEP_2) | instskip(SKIP_1) | instid1(VALU_DEP_3)
	v_mul_lo_u32 v22, s5, v2
	v_mad_u64_u32 v[17:18], null, s4, v2, v[3:4]
	v_add_co_u32 v15, vcc_lo, s14, v15
	s_delay_alu instid0(VALU_DEP_4)
	v_add_co_ci_u32_e32 v16, vcc_lo, s15, v16, vcc_lo
	global_load_b64 v[15:16], v[15:16], off
	global_load_b64 v[19:20], v[5:6], off
	v_add3_u32 v2, v22, v18, v21
	v_mul_lo_u32 v18, v17, s17
	v_mad_u64_u32 v[21:22], null, v17, s16, 0
	s_delay_alu instid0(VALU_DEP_3) | instskip(NEXT) | instid1(VALU_DEP_1)
	v_mul_lo_u32 v2, v2, s16
	v_add3_u32 v22, v22, v18, v2
	v_add_co_u32 v2, vcc_lo, v11, 4
	v_add_co_ci_u32_e32 v23, vcc_lo, 0, v12, vcc_lo
	s_delay_alu instid0(VALU_DEP_3) | instskip(SKIP_1) | instid1(VALU_DEP_3)
	v_lshlrev_b64 v[11:12], 3, v[21:22]
	v_mad_u64_u32 v[17:18], null, s18, v9, v[3:4]
	v_mul_lo_u32 v26, s4, v23
	v_mul_lo_u32 v27, s5, v2
	v_mad_u64_u32 v[21:22], null, s4, v2, v[3:4]
	v_add_co_u32 v11, vcc_lo, s14, v11
	v_add_co_ci_u32_e32 v12, vcc_lo, s15, v12, vcc_lo
	v_add3_u32 v2, v25, v18, v24
	v_mul_lo_u32 v25, v17, s17
	v_add3_u32 v22, v27, v22, v26
	global_load_b64 v[11:12], v[11:12], off
	v_mad_u64_u32 v[23:24], null, v17, s16, 0
	v_mul_lo_u32 v2, v2, s16
	v_mul_lo_u32 v26, v21, s17
	v_mad_u64_u32 v[17:18], null, v21, s16, 0
	v_mul_lo_u32 v21, v22, s16
	s_delay_alu instid0(VALU_DEP_4) | instskip(SKIP_1) | instid1(VALU_DEP_3)
	v_add3_u32 v24, v24, v25, v2
	v_mul_lo_u32 v2, s20, v10
	v_add3_u32 v18, v18, v26, v21
	s_delay_alu instid0(VALU_DEP_3) | instskip(NEXT) | instid1(VALU_DEP_2)
	v_lshlrev_b64 v[21:22], 3, v[23:24]
	v_lshlrev_b64 v[17:18], 3, v[17:18]
	s_delay_alu instid0(VALU_DEP_2) | instskip(NEXT) | instid1(VALU_DEP_3)
	v_add_co_u32 v21, vcc_lo, s14, v21
	v_add_co_ci_u32_e32 v22, vcc_lo, s15, v22, vcc_lo
	s_delay_alu instid0(VALU_DEP_3) | instskip(NEXT) | instid1(VALU_DEP_4)
	v_add_co_u32 v17, vcc_lo, s14, v17
	v_add_co_ci_u32_e32 v18, vcc_lo, s15, v18, vcc_lo
	s_clause 0x1
	global_load_b64 v[21:22], v[21:22], off
	global_load_b64 v[17:18], v[17:18], off
	v_add_co_u32 v5, vcc_lo, v5, s22
	v_add_co_ci_u32_e32 v6, vcc_lo, s23, v6, vcc_lo
	v_add_co_u32 v29, vcc_lo, v29, 2
	v_add_co_ci_u32_e32 v30, vcc_lo, 0, v30, vcc_lo
	s_delay_alu instid0(VALU_DEP_2)
	v_mul_lo_u32 v34, s5, v29
	s_waitcnt vmcnt(5)
	v_add_f64 v[23:24], -v[13:14], 1.0
	s_waitcnt vmcnt(4)
	v_fma_f64 v[25:26], -v[15:16], v[15:16], 1.0
	s_waitcnt vmcnt(3)
	s_delay_alu instid0(VALU_DEP_2) | instskip(SKIP_2) | instid1(VALU_DEP_2)
	v_mul_f64 v[27:28], v[23:24], v[19:20]
	s_waitcnt vmcnt(2)
	v_add_f64 v[11:12], v[11:12], -v[15:16]
	v_mul_f64 v[25:26], v[25:26], v[27:28]
	v_mad_u64_u32 v[27:28], null, s20, v9, v[3:4]
	v_mul_lo_u32 v9, s21, v9
	s_delay_alu instid0(VALU_DEP_2) | instskip(SKIP_1) | instid1(VALU_DEP_3)
	v_mul_lo_u32 v35, v27, s9
	v_mul_lo_u32 v36, v27, s13
	v_add3_u32 v2, v9, v28, v2
	v_mad_u64_u32 v[9:10], null, v27, s8, 0
	s_waitcnt vmcnt(1)
	v_add_f64 v[15:16], -v[21:22], 1.0
	s_delay_alu instid0(VALU_DEP_3) | instskip(SKIP_2) | instid1(VALU_DEP_3)
	v_mul_lo_u32 v37, v2, s8
	v_mul_lo_u32 v2, v2, s12
	v_mul_f64 v[11:12], v[11:12], v[19:20]
	v_add3_u32 v10, v10, v35, v37
	s_delay_alu instid0(VALU_DEP_1) | instskip(NEXT) | instid1(VALU_DEP_1)
	v_lshlrev_b64 v[9:10], 3, v[9:10]
	v_add_co_u32 v9, s0, s2, v9
	s_delay_alu instid0(VALU_DEP_1)
	v_add_co_ci_u32_e64 v10, s0, s3, v10, s0
	s_waitcnt vmcnt(0)
	v_mul_f64 v[17:18], v[17:18], v[25:26]
	v_mul_f64 v[11:12], v[23:24], v[11:12]
	v_mad_u64_u32 v[23:24], null, s4, v31, v[3:4]
	v_mul_lo_u32 v31, s4, v30
	s_delay_alu instid0(VALU_DEP_2) | instskip(NEXT) | instid1(VALU_DEP_3)
	v_add3_u32 v38, v33, v24, v32
	v_mul_lo_u32 v39, v23, s9
	v_mul_lo_u32 v41, v23, s13
	s_delay_alu instid0(VALU_DEP_3)
	v_mul_lo_u32 v35, v38, s12
	v_mul_f64 v[15:16], v[15:16], v[17:18]
	v_mad_u64_u32 v[17:18], null, v27, s12, 0
	v_mad_u64_u32 v[27:28], null, s4, v29, v[3:4]
	;; [unrolled: 1-line block ×3, first 2 shown]
	v_add_co_u32 v3, vcc_lo, v3, s30
	s_delay_alu instid0(VALU_DEP_4)
	v_add3_u32 v18, v18, v36, v2
	v_mul_lo_u32 v2, v38, s8
	v_add3_u32 v28, v34, v28, v31
	v_mul_lo_u32 v40, v27, s9
	v_mad_u64_u32 v[31:32], null, v27, s8, 0
	v_mad_u64_u32 v[33:34], null, v23, s12, 0
	v_mul_lo_u32 v42, v27, s13
	v_mad_u64_u32 v[23:24], null, v27, s12, 0
	v_mul_lo_u32 v27, v28, s8
	v_mul_f64 v[11:12], v[13:14], v[11:12]
	v_mul_f64 v[13:14], v[13:14], v[19:20]
	v_mul_lo_u32 v28, v28, s12
	v_add3_u32 v30, v30, v39, v2
	v_lshlrev_b64 v[17:18], 3, v[17:18]
	v_add3_u32 v34, v34, v41, v35
	v_add_co_ci_u32_e32 v4, vcc_lo, 0, v4, vcc_lo
	v_add3_u32 v32, v32, v40, v27
	v_lshlrev_b64 v[19:20], 3, v[29:30]
	v_add3_u32 v24, v24, v42, v28
	v_add_co_u32 v17, s0, s10, v17
	s_delay_alu instid0(VALU_DEP_4)
	v_lshlrev_b64 v[27:28], 3, v[31:32]
	v_add_co_ci_u32_e64 v18, s0, s11, v18, s0
	v_lshlrev_b64 v[29:30], 3, v[33:34]
	v_mul_f64 v[15:16], v[21:22], v[15:16]
	v_mul_f64 v[21:22], v[21:22], v[25:26]
	v_add_co_u32 v19, s0, s2, v19
	s_delay_alu instid0(VALU_DEP_1) | instskip(SKIP_2) | instid1(VALU_DEP_1)
	v_add_co_ci_u32_e64 v20, s0, s3, v20, s0
	v_lshlrev_b64 v[23:24], 3, v[23:24]
	v_add_co_u32 v27, s0, s2, v27
	v_add_co_ci_u32_e64 v28, s0, s3, v28, s0
	v_add_co_u32 v29, s0, s10, v29
	s_delay_alu instid0(VALU_DEP_1)
	v_add_co_ci_u32_e64 v30, s0, s11, v30, s0
	v_add_co_u32 v23, s0, s10, v23
	v_cmp_le_i64_e32 vcc_lo, s[6:7], v[3:4]
	v_add_co_ci_u32_e64 v24, s0, s11, v24, s0
	s_clause 0x2
	global_store_b64 v[9:10], v[15:16], off
	global_store_b64 v[19:20], v[11:12], off
	;; [unrolled: 1-line block ×3, first 2 shown]
	s_clause 0x2
	global_store_b64 v[17:18], v[15:16], off
	global_store_b64 v[29:30], v[11:12], off
	;; [unrolled: 1-line block ×4, first 2 shown]
	v_add_co_u32 v7, s0, v7, s24
	s_delay_alu instid0(VALU_DEP_1) | instskip(SKIP_1) | instid1(SALU_CYCLE_1)
	v_add_co_ci_u32_e64 v8, s0, s25, v8, s0
	s_or_b32 s1, vcc_lo, s1
	s_and_not1_b32 exec_lo, exec_lo, s1
	s_cbranch_execz .LBB50_7
.LBB50_3:                               ; =>This Inner Loop Header: Depth=1
	v_or_b32_e32 v2, s5, v4
                                        ; implicit-def: $vgpr9_vgpr10
	s_mov_b32 s0, exec_lo
	s_delay_alu instid0(VALU_DEP_1)
	v_cmpx_ne_u64_e32 0, v[1:2]
	s_xor_b32 s31, exec_lo, s0
	s_cbranch_execz .LBB50_5
; %bb.4:                                ;   in Loop: Header=BB50_3 Depth=1
	s_add_u32 s28, s4, s26
	s_mov_b32 s27, s26
	s_addc_u32 s29, s5, s26
	s_delay_alu instid0(SALU_CYCLE_1) | instskip(NEXT) | instid1(SALU_CYCLE_1)
	s_xor_b64 s[28:29], s[28:29], s[26:27]
	v_cvt_f32_u32_e32 v2, s28
	v_cvt_f32_u32_e32 v9, s29
	s_sub_u32 s0, 0, s28
	s_subb_u32 s27, 0, s29
	s_delay_alu instid0(VALU_DEP_1) | instskip(NEXT) | instid1(VALU_DEP_1)
	v_fmac_f32_e32 v2, 0x4f800000, v9
	v_rcp_f32_e32 v2, v2
	s_waitcnt_depctr 0xfff
	v_mul_f32_e32 v2, 0x5f7ffffc, v2
	s_delay_alu instid0(VALU_DEP_1) | instskip(NEXT) | instid1(VALU_DEP_1)
	v_mul_f32_e32 v9, 0x2f800000, v2
	v_trunc_f32_e32 v9, v9
	s_delay_alu instid0(VALU_DEP_1) | instskip(SKIP_1) | instid1(VALU_DEP_2)
	v_fmac_f32_e32 v2, 0xcf800000, v9
	v_cvt_u32_f32_e32 v9, v9
	v_cvt_u32_f32_e32 v2, v2
	s_delay_alu instid0(VALU_DEP_2) | instskip(NEXT) | instid1(VALU_DEP_2)
	v_mul_lo_u32 v10, s0, v9
	v_mul_hi_u32 v11, s0, v2
	v_mul_lo_u32 v12, s27, v2
	s_delay_alu instid0(VALU_DEP_2) | instskip(SKIP_1) | instid1(VALU_DEP_2)
	v_add_nc_u32_e32 v10, v11, v10
	v_mul_lo_u32 v11, s0, v2
	v_add_nc_u32_e32 v10, v10, v12
	s_delay_alu instid0(VALU_DEP_2) | instskip(NEXT) | instid1(VALU_DEP_2)
	v_mul_hi_u32 v12, v2, v11
	v_mul_lo_u32 v13, v2, v10
	v_mul_hi_u32 v14, v2, v10
	v_mul_hi_u32 v15, v9, v11
	v_mul_lo_u32 v11, v9, v11
	v_mul_hi_u32 v16, v9, v10
	v_mul_lo_u32 v10, v9, v10
	v_add_co_u32 v12, vcc_lo, v12, v13
	v_add_co_ci_u32_e32 v13, vcc_lo, 0, v14, vcc_lo
	s_delay_alu instid0(VALU_DEP_2) | instskip(NEXT) | instid1(VALU_DEP_2)
	v_add_co_u32 v11, vcc_lo, v12, v11
	v_add_co_ci_u32_e32 v11, vcc_lo, v13, v15, vcc_lo
	v_add_co_ci_u32_e32 v12, vcc_lo, 0, v16, vcc_lo
	v_ashrrev_i32_e32 v15, 31, v4
	s_delay_alu instid0(VALU_DEP_3) | instskip(NEXT) | instid1(VALU_DEP_3)
	v_add_co_u32 v10, vcc_lo, v11, v10
	v_add_co_ci_u32_e32 v11, vcc_lo, 0, v12, vcc_lo
	s_delay_alu instid0(VALU_DEP_2) | instskip(NEXT) | instid1(VALU_DEP_2)
	v_add_co_u32 v2, vcc_lo, v2, v10
	v_add_co_ci_u32_e32 v9, vcc_lo, v9, v11, vcc_lo
	s_delay_alu instid0(VALU_DEP_2) | instskip(SKIP_1) | instid1(VALU_DEP_3)
	v_mul_hi_u32 v10, s0, v2
	v_mul_lo_u32 v12, s27, v2
	v_mul_lo_u32 v11, s0, v9
	s_delay_alu instid0(VALU_DEP_1) | instskip(SKIP_1) | instid1(VALU_DEP_2)
	v_add_nc_u32_e32 v10, v10, v11
	v_mul_lo_u32 v11, s0, v2
	v_add_nc_u32_e32 v10, v10, v12
	s_delay_alu instid0(VALU_DEP_2) | instskip(NEXT) | instid1(VALU_DEP_2)
	v_mul_hi_u32 v12, v2, v11
	v_mul_lo_u32 v13, v2, v10
	v_mul_hi_u32 v14, v2, v10
	v_mul_hi_u32 v16, v9, v11
	v_mul_lo_u32 v11, v9, v11
	v_mul_hi_u32 v17, v9, v10
	v_mul_lo_u32 v10, v9, v10
	v_add_co_u32 v12, vcc_lo, v12, v13
	v_add_co_ci_u32_e32 v13, vcc_lo, 0, v14, vcc_lo
	s_delay_alu instid0(VALU_DEP_2) | instskip(NEXT) | instid1(VALU_DEP_2)
	v_add_co_u32 v11, vcc_lo, v12, v11
	v_add_co_ci_u32_e32 v11, vcc_lo, v13, v16, vcc_lo
	v_add_co_ci_u32_e32 v12, vcc_lo, 0, v17, vcc_lo
	v_add_co_u32 v13, vcc_lo, v3, v15
	v_add_co_ci_u32_e32 v14, vcc_lo, v4, v15, vcc_lo
	s_delay_alu instid0(VALU_DEP_4) | instskip(NEXT) | instid1(VALU_DEP_4)
	v_add_co_u32 v10, vcc_lo, v11, v10
	v_add_co_ci_u32_e32 v11, vcc_lo, 0, v12, vcc_lo
	s_delay_alu instid0(VALU_DEP_4) | instskip(NEXT) | instid1(VALU_DEP_3)
	v_xor_b32_e32 v16, v13, v15
	v_add_co_u32 v2, vcc_lo, v2, v10
	s_delay_alu instid0(VALU_DEP_3) | instskip(SKIP_1) | instid1(VALU_DEP_3)
	v_add_co_ci_u32_e32 v17, vcc_lo, v9, v11, vcc_lo
	v_xor_b32_e32 v18, v14, v15
	v_mul_hi_u32 v19, v16, v2
	s_delay_alu instid0(VALU_DEP_3) | instskip(NEXT) | instid1(VALU_DEP_3)
	v_mad_u64_u32 v[9:10], null, v16, v17, 0
	v_mad_u64_u32 v[11:12], null, v18, v2, 0
	;; [unrolled: 1-line block ×3, first 2 shown]
	s_delay_alu instid0(VALU_DEP_3) | instskip(NEXT) | instid1(VALU_DEP_4)
	v_add_co_u32 v2, vcc_lo, v19, v9
	v_add_co_ci_u32_e32 v9, vcc_lo, 0, v10, vcc_lo
	s_delay_alu instid0(VALU_DEP_2) | instskip(NEXT) | instid1(VALU_DEP_2)
	v_add_co_u32 v2, vcc_lo, v2, v11
	v_add_co_ci_u32_e32 v2, vcc_lo, v9, v12, vcc_lo
	v_add_co_ci_u32_e32 v9, vcc_lo, 0, v14, vcc_lo
	s_delay_alu instid0(VALU_DEP_2) | instskip(NEXT) | instid1(VALU_DEP_2)
	v_add_co_u32 v2, vcc_lo, v2, v13
	v_add_co_ci_u32_e32 v11, vcc_lo, 0, v9, vcc_lo
	s_delay_alu instid0(VALU_DEP_2) | instskip(SKIP_1) | instid1(VALU_DEP_3)
	v_mul_lo_u32 v12, s29, v2
	v_mad_u64_u32 v[9:10], null, s28, v2, 0
	v_mul_lo_u32 v13, s28, v11
	s_delay_alu instid0(VALU_DEP_2) | instskip(NEXT) | instid1(VALU_DEP_2)
	v_sub_co_u32 v9, vcc_lo, v16, v9
	v_add3_u32 v10, v10, v13, v12
	s_delay_alu instid0(VALU_DEP_1) | instskip(NEXT) | instid1(VALU_DEP_1)
	v_sub_nc_u32_e32 v12, v18, v10
	v_subrev_co_ci_u32_e64 v12, s0, s29, v12, vcc_lo
	v_add_co_u32 v13, s0, v2, 2
	s_delay_alu instid0(VALU_DEP_1) | instskip(SKIP_3) | instid1(VALU_DEP_3)
	v_add_co_ci_u32_e64 v14, s0, 0, v11, s0
	v_sub_co_u32 v16, s0, v9, s28
	v_sub_co_ci_u32_e32 v10, vcc_lo, v18, v10, vcc_lo
	v_subrev_co_ci_u32_e64 v12, s0, 0, v12, s0
	v_cmp_le_u32_e32 vcc_lo, s28, v16
	s_delay_alu instid0(VALU_DEP_3) | instskip(SKIP_1) | instid1(VALU_DEP_4)
	v_cmp_eq_u32_e64 s0, s29, v10
	v_cndmask_b32_e64 v16, 0, -1, vcc_lo
	v_cmp_le_u32_e32 vcc_lo, s29, v12
	v_cndmask_b32_e64 v17, 0, -1, vcc_lo
	v_cmp_le_u32_e32 vcc_lo, s28, v9
	v_cndmask_b32_e64 v9, 0, -1, vcc_lo
	v_cmp_le_u32_e32 vcc_lo, s29, v10
	v_cndmask_b32_e64 v18, 0, -1, vcc_lo
	v_cmp_eq_u32_e32 vcc_lo, s29, v12
	s_delay_alu instid0(VALU_DEP_2) | instskip(SKIP_3) | instid1(VALU_DEP_3)
	v_cndmask_b32_e64 v9, v18, v9, s0
	v_cndmask_b32_e32 v12, v17, v16, vcc_lo
	v_add_co_u32 v16, vcc_lo, v2, 1
	v_add_co_ci_u32_e32 v17, vcc_lo, 0, v11, vcc_lo
	v_cmp_ne_u32_e32 vcc_lo, 0, v12
	s_delay_alu instid0(VALU_DEP_2) | instskip(NEXT) | instid1(VALU_DEP_4)
	v_cndmask_b32_e32 v10, v17, v14, vcc_lo
	v_cndmask_b32_e32 v12, v16, v13, vcc_lo
	v_cmp_ne_u32_e32 vcc_lo, 0, v9
	v_xor_b32_e32 v13, s26, v15
	s_delay_alu instid0(VALU_DEP_3) | instskip(NEXT) | instid1(VALU_DEP_1)
	v_dual_cndmask_b32 v2, v2, v12 :: v_dual_cndmask_b32 v9, v11, v10
	v_xor_b32_e32 v2, v2, v13
	s_delay_alu instid0(VALU_DEP_2) | instskip(NEXT) | instid1(VALU_DEP_2)
	v_xor_b32_e32 v10, v9, v13
	v_sub_co_u32 v9, vcc_lo, v2, v13
	s_delay_alu instid0(VALU_DEP_2)
	v_sub_co_ci_u32_e32 v10, vcc_lo, v10, v13, vcc_lo
.LBB50_5:                               ;   in Loop: Header=BB50_3 Depth=1
	s_and_not1_saveexec_b32 s0, s31
	s_cbranch_execz .LBB50_2
; %bb.6:                                ;   in Loop: Header=BB50_3 Depth=1
	v_mul_hi_u32 v2, v3, v0
	s_delay_alu instid0(VALU_DEP_1) | instskip(NEXT) | instid1(VALU_DEP_1)
	v_mul_lo_u32 v9, v2, s4
	v_sub_nc_u32_e32 v9, v3, v9
	s_delay_alu instid0(VALU_DEP_1) | instskip(SKIP_1) | instid1(VALU_DEP_2)
	v_subrev_nc_u32_e32 v11, s4, v9
	v_cmp_le_u32_e32 vcc_lo, s4, v9
	v_dual_cndmask_b32 v9, v9, v11 :: v_dual_add_nc_u32 v10, 1, v2
	s_delay_alu instid0(VALU_DEP_1) | instskip(NEXT) | instid1(VALU_DEP_2)
	v_cndmask_b32_e32 v2, v2, v10, vcc_lo
	v_cmp_le_u32_e32 vcc_lo, s4, v9
	s_delay_alu instid0(VALU_DEP_2) | instskip(NEXT) | instid1(VALU_DEP_1)
	v_add_nc_u32_e32 v10, 1, v2
	v_dual_cndmask_b32 v9, v2, v10 :: v_dual_mov_b32 v10, v1
	s_branch .LBB50_2
.LBB50_7:
	s_nop 0
	s_sendmsg sendmsg(MSG_DEALLOC_VGPRS)
	s_endpgm
	.section	.rodata,"a",@progbits
	.p2align	6, 0x0
	.amdhsa_kernel _ZN2at6native12_GLOBAL__N_16kernel17gru_cell_backwardIddlLi1EEEvNS_4cuda6detail10TensorInfoIT_T1_EES9_S9_S9_S9_S8_S8_
		.amdhsa_group_segment_fixed_size 0
		.amdhsa_private_segment_fixed_size 0
		.amdhsa_kernarg_size 2352
		.amdhsa_user_sgpr_count 15
		.amdhsa_user_sgpr_dispatch_ptr 0
		.amdhsa_user_sgpr_queue_ptr 0
		.amdhsa_user_sgpr_kernarg_segment_ptr 1
		.amdhsa_user_sgpr_dispatch_id 0
		.amdhsa_user_sgpr_private_segment_size 0
		.amdhsa_wavefront_size32 1
		.amdhsa_uses_dynamic_stack 0
		.amdhsa_enable_private_segment 0
		.amdhsa_system_sgpr_workgroup_id_x 1
		.amdhsa_system_sgpr_workgroup_id_y 0
		.amdhsa_system_sgpr_workgroup_id_z 0
		.amdhsa_system_sgpr_workgroup_info 0
		.amdhsa_system_vgpr_workitem_id 0
		.amdhsa_next_free_vgpr 43
		.amdhsa_next_free_sgpr 36
		.amdhsa_reserve_vcc 1
		.amdhsa_float_round_mode_32 0
		.amdhsa_float_round_mode_16_64 0
		.amdhsa_float_denorm_mode_32 3
		.amdhsa_float_denorm_mode_16_64 3
		.amdhsa_dx10_clamp 1
		.amdhsa_ieee_mode 1
		.amdhsa_fp16_overflow 0
		.amdhsa_workgroup_processor_mode 1
		.amdhsa_memory_ordered 1
		.amdhsa_forward_progress 0
		.amdhsa_shared_vgpr_count 0
		.amdhsa_exception_fp_ieee_invalid_op 0
		.amdhsa_exception_fp_denorm_src 0
		.amdhsa_exception_fp_ieee_div_zero 0
		.amdhsa_exception_fp_ieee_overflow 0
		.amdhsa_exception_fp_ieee_underflow 0
		.amdhsa_exception_fp_ieee_inexact 0
		.amdhsa_exception_int_div_zero 0
	.end_amdhsa_kernel
	.section	.text._ZN2at6native12_GLOBAL__N_16kernel17gru_cell_backwardIddlLi1EEEvNS_4cuda6detail10TensorInfoIT_T1_EES9_S9_S9_S9_S8_S8_,"axG",@progbits,_ZN2at6native12_GLOBAL__N_16kernel17gru_cell_backwardIddlLi1EEEvNS_4cuda6detail10TensorInfoIT_T1_EES9_S9_S9_S9_S8_S8_,comdat
.Lfunc_end50:
	.size	_ZN2at6native12_GLOBAL__N_16kernel17gru_cell_backwardIddlLi1EEEvNS_4cuda6detail10TensorInfoIT_T1_EES9_S9_S9_S9_S8_S8_, .Lfunc_end50-_ZN2at6native12_GLOBAL__N_16kernel17gru_cell_backwardIddlLi1EEEvNS_4cuda6detail10TensorInfoIT_T1_EES9_S9_S9_S9_S8_S8_
                                        ; -- End function
	.section	.AMDGPU.csdata,"",@progbits
; Kernel info:
; codeLenInByte = 2668
; NumSgprs: 38
; NumVgprs: 43
; ScratchSize: 0
; MemoryBound: 0
; FloatMode: 240
; IeeeMode: 1
; LDSByteSize: 0 bytes/workgroup (compile time only)
; SGPRBlocks: 4
; VGPRBlocks: 5
; NumSGPRsForWavesPerEU: 38
; NumVGPRsForWavesPerEU: 43
; Occupancy: 16
; WaveLimiterHint : 1
; COMPUTE_PGM_RSRC2:SCRATCH_EN: 0
; COMPUTE_PGM_RSRC2:USER_SGPR: 15
; COMPUTE_PGM_RSRC2:TRAP_HANDLER: 0
; COMPUTE_PGM_RSRC2:TGID_X_EN: 1
; COMPUTE_PGM_RSRC2:TGID_Y_EN: 0
; COMPUTE_PGM_RSRC2:TGID_Z_EN: 0
; COMPUTE_PGM_RSRC2:TIDIG_COMP_CNT: 0
	.section	.text._ZN2at6native12_GLOBAL__N_16kernel17gru_cell_backwardIddlLi2EEEvNS_4cuda6detail10TensorInfoIT_T1_EES9_S9_S9_S9_S8_S8_,"axG",@progbits,_ZN2at6native12_GLOBAL__N_16kernel17gru_cell_backwardIddlLi2EEEvNS_4cuda6detail10TensorInfoIT_T1_EES9_S9_S9_S9_S8_S8_,comdat
	.globl	_ZN2at6native12_GLOBAL__N_16kernel17gru_cell_backwardIddlLi2EEEvNS_4cuda6detail10TensorInfoIT_T1_EES9_S9_S9_S9_S8_S8_ ; -- Begin function _ZN2at6native12_GLOBAL__N_16kernel17gru_cell_backwardIddlLi2EEEvNS_4cuda6detail10TensorInfoIT_T1_EES9_S9_S9_S9_S8_S8_
	.p2align	8
	.type	_ZN2at6native12_GLOBAL__N_16kernel17gru_cell_backwardIddlLi2EEEvNS_4cuda6detail10TensorInfoIT_T1_EES9_S9_S9_S9_S8_S8_,@function
_ZN2at6native12_GLOBAL__N_16kernel17gru_cell_backwardIddlLi2EEEvNS_4cuda6detail10TensorInfoIT_T1_EES9_S9_S9_S9_S8_S8_: ; @_ZN2at6native12_GLOBAL__N_16kernel17gru_cell_backwardIddlLi2EEEvNS_4cuda6detail10TensorInfoIT_T1_EES9_S9_S9_S9_S8_S8_
; %bb.0:
	s_clause 0x1
	s_load_b32 s2, s[0:1], 0x83c
	s_load_b128 s[4:7], s[0:1], 0x820
	v_mov_b32_e32 v1, 0
	s_add_u32 s16, s0, 0x830
	s_addc_u32 s17, s1, 0
	s_waitcnt lgkmcnt(0)
	s_and_b32 s33, s2, 0xffff
	s_mov_b32 s2, exec_lo
	v_mad_u64_u32 v[3:4], null, s15, s33, v[0:1]
	v_mov_b32_e32 v4, v1
	s_delay_alu instid0(VALU_DEP_1)
	v_cmpx_gt_i64_e64 s[6:7], v[3:4]
	s_cbranch_execz .LBB51_59
; %bb.1:
	v_cvt_f32_u32_e32 v0, s4
	s_clause 0x5
	s_load_b64 s[2:3], s[0:1], 0x0
	s_load_b64 s[28:29], s[0:1], 0x10
	s_load_b128 s[8:11], s[0:1], 0xd0
	s_load_b64 s[30:31], s[0:1], 0x1a0
	s_load_b64 s[34:35], s[0:1], 0x1b0
	s_load_b128 s[12:15], s[0:1], 0x270
	s_load_b32 s48, s[16:17], 0x0
	s_clause 0x8
	s_load_b64 s[36:37], s[0:1], 0x340
	s_load_b64 s[38:39], s[0:1], 0x350
	s_load_b128 s[16:19], s[0:1], 0x410
	s_load_b64 s[40:41], s[0:1], 0x4e0
	s_load_b64 s[42:43], s[0:1], 0x4f0
	s_load_b128 s[20:23], s[0:1], 0x5b0
	;; [unrolled: 3-line block ×3, first 2 shown]
	s_lshl_b64 s[50:51], s[4:5], 1
	v_rcp_iflag_f32_e32 v0, v0
	s_mov_b32 s1, 0
	s_waitcnt_depctr 0xfff
	v_mul_f32_e32 v0, 0x4f7ffffe, v0
	s_waitcnt lgkmcnt(0)
	s_mul_i32 s33, s48, s33
	s_lshl_b64 s[48:49], s[4:5], 2
	s_sub_u32 s58, 0, s38
	v_cvt_u32_f32_e32 v0, v0
	s_subb_u32 s59, 0, s39
	s_sub_u32 s60, 0, s42
	s_subb_u32 s61, 0, s43
	s_ashr_i32 s52, s5, 31
	s_branch .LBB51_3
.LBB51_2:                               ;   in Loop: Header=BB51_3 Depth=1
	s_or_b32 exec_lo, exec_lo, s0
	s_delay_alu instid0(VALU_DEP_1) | instskip(NEXT) | instid1(VALU_DEP_2)
	v_mad_u64_u32 v[9:10], null, s60, v5, v[3:4]
	v_mul_lo_u32 v2, s60, v6
	v_mul_lo_u32 v13, s61, v5
	v_mul_f64 v[7:8], v[7:8], v[11:12]
	v_mul_lo_u32 v14, v6, s20
	v_mul_lo_u32 v15, v5, s21
	v_mad_u64_u32 v[11:12], null, v5, s20, 0
	v_mad_u64_u32 v[5:6], null, v9, s22, 0
	v_add3_u32 v2, v13, v10, v2
	v_mul_lo_u32 v13, v9, s23
	v_add_co_u32 v3, vcc_lo, v3, s33
	v_add3_u32 v12, v12, v15, v14
	s_delay_alu instid0(VALU_DEP_4) | instskip(SKIP_1) | instid1(VALU_DEP_3)
	v_mul_lo_u32 v2, v2, s22
	v_add_co_ci_u32_e32 v4, vcc_lo, 0, v4, vcc_lo
	v_lshlrev_b64 v[9:10], 3, v[11:12]
	s_delay_alu instid0(VALU_DEP_3) | instskip(NEXT) | instid1(VALU_DEP_2)
	v_add3_u32 v6, v6, v13, v2
	v_add_co_u32 v2, vcc_lo, s40, v9
	s_delay_alu instid0(VALU_DEP_3) | instskip(NEXT) | instid1(VALU_DEP_3)
	v_add_co_ci_u32_e32 v9, vcc_lo, s41, v10, vcc_lo
	v_lshlrev_b64 v[5:6], 3, v[5:6]
	v_cmp_le_i64_e32 vcc_lo, s[6:7], v[3:4]
	s_delay_alu instid0(VALU_DEP_2) | instskip(NEXT) | instid1(VALU_DEP_1)
	v_add_co_u32 v5, s0, v2, v5
	v_add_co_ci_u32_e64 v6, s0, v9, v6, s0
	s_or_b32 s1, vcc_lo, s1
	global_store_b64 v[5:6], v[7:8], off
	s_and_not1_b32 exec_lo, exec_lo, s1
	s_cbranch_execz .LBB51_59
.LBB51_3:                               ; =>This Inner Loop Header: Depth=1
	v_or_b32_e32 v2, s5, v4
	v_ashrrev_i32_e32 v29, 31, v4
                                        ; implicit-def: $vgpr9_vgpr10
	s_mov_b32 s0, exec_lo
	s_delay_alu instid0(VALU_DEP_2)
	v_cmpx_ne_u64_e32 0, v[1:2]
	s_xor_b32 s56, exec_lo, s0
	s_cbranch_execz .LBB51_5
; %bb.4:                                ;   in Loop: Header=BB51_3 Depth=1
	s_add_u32 s54, s4, s52
	s_mov_b32 s53, s52
	s_addc_u32 s55, s5, s52
	s_delay_alu instid0(SALU_CYCLE_1) | instskip(NEXT) | instid1(SALU_CYCLE_1)
	s_xor_b64 s[54:55], s[54:55], s[52:53]
	v_cvt_f32_u32_e32 v2, s54
	v_cvt_f32_u32_e32 v5, s55
	s_sub_u32 s0, 0, s54
	s_subb_u32 s53, 0, s55
	s_delay_alu instid0(VALU_DEP_1) | instskip(NEXT) | instid1(VALU_DEP_1)
	v_fmac_f32_e32 v2, 0x4f800000, v5
	v_rcp_f32_e32 v2, v2
	s_waitcnt_depctr 0xfff
	v_mul_f32_e32 v2, 0x5f7ffffc, v2
	s_delay_alu instid0(VALU_DEP_1) | instskip(NEXT) | instid1(VALU_DEP_1)
	v_mul_f32_e32 v5, 0x2f800000, v2
	v_trunc_f32_e32 v5, v5
	s_delay_alu instid0(VALU_DEP_1) | instskip(SKIP_1) | instid1(VALU_DEP_2)
	v_fmac_f32_e32 v2, 0xcf800000, v5
	v_cvt_u32_f32_e32 v5, v5
	v_cvt_u32_f32_e32 v2, v2
	s_delay_alu instid0(VALU_DEP_2) | instskip(NEXT) | instid1(VALU_DEP_2)
	v_mul_lo_u32 v6, s0, v5
	v_mul_hi_u32 v7, s0, v2
	v_mul_lo_u32 v8, s53, v2
	s_delay_alu instid0(VALU_DEP_2) | instskip(SKIP_1) | instid1(VALU_DEP_2)
	v_add_nc_u32_e32 v6, v7, v6
	v_mul_lo_u32 v7, s0, v2
	v_add_nc_u32_e32 v6, v6, v8
	s_delay_alu instid0(VALU_DEP_2) | instskip(NEXT) | instid1(VALU_DEP_2)
	v_mul_hi_u32 v8, v2, v7
	v_mul_lo_u32 v9, v2, v6
	v_mul_hi_u32 v10, v2, v6
	v_mul_hi_u32 v11, v5, v7
	v_mul_lo_u32 v7, v5, v7
	v_mul_hi_u32 v12, v5, v6
	v_mul_lo_u32 v6, v5, v6
	v_add_co_u32 v8, vcc_lo, v8, v9
	v_add_co_ci_u32_e32 v9, vcc_lo, 0, v10, vcc_lo
	s_delay_alu instid0(VALU_DEP_2) | instskip(NEXT) | instid1(VALU_DEP_2)
	v_add_co_u32 v7, vcc_lo, v8, v7
	v_add_co_ci_u32_e32 v7, vcc_lo, v9, v11, vcc_lo
	v_add_co_ci_u32_e32 v8, vcc_lo, 0, v12, vcc_lo
	s_delay_alu instid0(VALU_DEP_2) | instskip(NEXT) | instid1(VALU_DEP_2)
	v_add_co_u32 v6, vcc_lo, v7, v6
	v_add_co_ci_u32_e32 v7, vcc_lo, 0, v8, vcc_lo
	s_delay_alu instid0(VALU_DEP_2) | instskip(NEXT) | instid1(VALU_DEP_2)
	v_add_co_u32 v2, vcc_lo, v2, v6
	v_add_co_ci_u32_e32 v5, vcc_lo, v5, v7, vcc_lo
	s_delay_alu instid0(VALU_DEP_2) | instskip(SKIP_1) | instid1(VALU_DEP_3)
	v_mul_hi_u32 v6, s0, v2
	v_mul_lo_u32 v8, s53, v2
	v_mul_lo_u32 v7, s0, v5
	s_delay_alu instid0(VALU_DEP_1) | instskip(SKIP_1) | instid1(VALU_DEP_2)
	v_add_nc_u32_e32 v6, v6, v7
	v_mul_lo_u32 v7, s0, v2
	v_add_nc_u32_e32 v6, v6, v8
	s_delay_alu instid0(VALU_DEP_2) | instskip(NEXT) | instid1(VALU_DEP_2)
	v_mul_hi_u32 v8, v2, v7
	v_mul_lo_u32 v9, v2, v6
	v_mul_hi_u32 v10, v2, v6
	v_mul_hi_u32 v11, v5, v7
	v_mul_lo_u32 v7, v5, v7
	v_mul_hi_u32 v12, v5, v6
	v_mul_lo_u32 v6, v5, v6
	v_add_co_u32 v8, vcc_lo, v8, v9
	v_add_co_ci_u32_e32 v9, vcc_lo, 0, v10, vcc_lo
	s_delay_alu instid0(VALU_DEP_2) | instskip(NEXT) | instid1(VALU_DEP_2)
	v_add_co_u32 v7, vcc_lo, v8, v7
	v_add_co_ci_u32_e32 v7, vcc_lo, v9, v11, vcc_lo
	v_add_co_ci_u32_e32 v8, vcc_lo, 0, v12, vcc_lo
	v_add_co_u32 v9, vcc_lo, v3, v29
	v_add_co_ci_u32_e32 v10, vcc_lo, v4, v29, vcc_lo
	s_delay_alu instid0(VALU_DEP_4) | instskip(NEXT) | instid1(VALU_DEP_4)
	v_add_co_u32 v6, vcc_lo, v7, v6
	v_add_co_ci_u32_e32 v7, vcc_lo, 0, v8, vcc_lo
	s_delay_alu instid0(VALU_DEP_4) | instskip(NEXT) | instid1(VALU_DEP_3)
	v_xor_b32_e32 v11, v9, v29
	v_add_co_u32 v2, vcc_lo, v2, v6
	s_delay_alu instid0(VALU_DEP_3) | instskip(SKIP_1) | instid1(VALU_DEP_3)
	v_add_co_ci_u32_e32 v12, vcc_lo, v5, v7, vcc_lo
	v_xor_b32_e32 v13, v10, v29
	v_mul_hi_u32 v14, v11, v2
	s_delay_alu instid0(VALU_DEP_3) | instskip(NEXT) | instid1(VALU_DEP_3)
	v_mad_u64_u32 v[5:6], null, v11, v12, 0
	v_mad_u64_u32 v[7:8], null, v13, v2, 0
	;; [unrolled: 1-line block ×3, first 2 shown]
	s_delay_alu instid0(VALU_DEP_3) | instskip(NEXT) | instid1(VALU_DEP_4)
	v_add_co_u32 v2, vcc_lo, v14, v5
	v_add_co_ci_u32_e32 v5, vcc_lo, 0, v6, vcc_lo
	s_delay_alu instid0(VALU_DEP_2) | instskip(NEXT) | instid1(VALU_DEP_2)
	v_add_co_u32 v2, vcc_lo, v2, v7
	v_add_co_ci_u32_e32 v2, vcc_lo, v5, v8, vcc_lo
	v_add_co_ci_u32_e32 v5, vcc_lo, 0, v10, vcc_lo
	s_delay_alu instid0(VALU_DEP_2) | instskip(NEXT) | instid1(VALU_DEP_2)
	v_add_co_u32 v2, vcc_lo, v2, v9
	v_add_co_ci_u32_e32 v7, vcc_lo, 0, v5, vcc_lo
	s_delay_alu instid0(VALU_DEP_2) | instskip(SKIP_1) | instid1(VALU_DEP_3)
	v_mul_lo_u32 v8, s55, v2
	v_mad_u64_u32 v[5:6], null, s54, v2, 0
	v_mul_lo_u32 v9, s54, v7
	s_delay_alu instid0(VALU_DEP_2) | instskip(NEXT) | instid1(VALU_DEP_2)
	v_sub_co_u32 v5, vcc_lo, v11, v5
	v_add3_u32 v6, v6, v9, v8
	s_delay_alu instid0(VALU_DEP_1) | instskip(NEXT) | instid1(VALU_DEP_1)
	v_sub_nc_u32_e32 v8, v13, v6
	v_subrev_co_ci_u32_e64 v8, s0, s55, v8, vcc_lo
	v_add_co_u32 v9, s0, v2, 2
	s_delay_alu instid0(VALU_DEP_1) | instskip(SKIP_3) | instid1(VALU_DEP_3)
	v_add_co_ci_u32_e64 v10, s0, 0, v7, s0
	v_sub_co_u32 v11, s0, v5, s54
	v_sub_co_ci_u32_e32 v6, vcc_lo, v13, v6, vcc_lo
	v_subrev_co_ci_u32_e64 v8, s0, 0, v8, s0
	v_cmp_le_u32_e32 vcc_lo, s54, v11
	s_delay_alu instid0(VALU_DEP_3) | instskip(SKIP_1) | instid1(VALU_DEP_4)
	v_cmp_eq_u32_e64 s0, s55, v6
	v_cndmask_b32_e64 v11, 0, -1, vcc_lo
	v_cmp_le_u32_e32 vcc_lo, s55, v8
	v_cndmask_b32_e64 v12, 0, -1, vcc_lo
	v_cmp_le_u32_e32 vcc_lo, s54, v5
	;; [unrolled: 2-line block ×3, first 2 shown]
	v_cndmask_b32_e64 v13, 0, -1, vcc_lo
	v_cmp_eq_u32_e32 vcc_lo, s55, v8
	s_delay_alu instid0(VALU_DEP_2) | instskip(SKIP_3) | instid1(VALU_DEP_3)
	v_cndmask_b32_e64 v5, v13, v5, s0
	v_cndmask_b32_e32 v8, v12, v11, vcc_lo
	v_add_co_u32 v11, vcc_lo, v2, 1
	v_add_co_ci_u32_e32 v12, vcc_lo, 0, v7, vcc_lo
	v_cmp_ne_u32_e32 vcc_lo, 0, v8
	s_delay_alu instid0(VALU_DEP_2) | instskip(NEXT) | instid1(VALU_DEP_4)
	v_cndmask_b32_e32 v6, v12, v10, vcc_lo
	v_cndmask_b32_e32 v8, v11, v9, vcc_lo
	v_cmp_ne_u32_e32 vcc_lo, 0, v5
	v_xor_b32_e32 v5, s52, v29
	s_delay_alu instid0(VALU_DEP_3) | instskip(SKIP_1) | instid1(VALU_DEP_2)
	v_cndmask_b32_e32 v2, v2, v8, vcc_lo
	v_cndmask_b32_e32 v6, v7, v6, vcc_lo
	v_xor_b32_e32 v2, v2, v5
	s_delay_alu instid0(VALU_DEP_2) | instskip(NEXT) | instid1(VALU_DEP_2)
	v_xor_b32_e32 v6, v6, v5
	v_sub_co_u32 v9, vcc_lo, v2, v5
	s_delay_alu instid0(VALU_DEP_2)
	v_sub_co_ci_u32_e32 v10, vcc_lo, v6, v5, vcc_lo
.LBB51_5:                               ;   in Loop: Header=BB51_3 Depth=1
	s_and_not1_saveexec_b32 s0, s56
	s_cbranch_execz .LBB51_7
; %bb.6:                                ;   in Loop: Header=BB51_3 Depth=1
	s_sub_i32 s53, 0, s4
	v_mov_b32_e32 v10, v1
	v_mul_lo_u32 v2, s53, v0
	s_delay_alu instid0(VALU_DEP_1) | instskip(NEXT) | instid1(VALU_DEP_1)
	v_mul_hi_u32 v2, v0, v2
	v_add_nc_u32_e32 v2, v0, v2
	s_delay_alu instid0(VALU_DEP_1) | instskip(NEXT) | instid1(VALU_DEP_1)
	v_mul_hi_u32 v2, v3, v2
	v_mul_lo_u32 v5, v2, s4
	v_add_nc_u32_e32 v6, 1, v2
	s_delay_alu instid0(VALU_DEP_2) | instskip(NEXT) | instid1(VALU_DEP_1)
	v_sub_nc_u32_e32 v5, v3, v5
	v_subrev_nc_u32_e32 v7, s4, v5
	v_cmp_le_u32_e32 vcc_lo, s4, v5
	s_delay_alu instid0(VALU_DEP_2) | instskip(NEXT) | instid1(VALU_DEP_1)
	v_dual_cndmask_b32 v5, v5, v7 :: v_dual_cndmask_b32 v2, v2, v6
	v_cmp_le_u32_e32 vcc_lo, s4, v5
	s_delay_alu instid0(VALU_DEP_2) | instskip(NEXT) | instid1(VALU_DEP_1)
	v_add_nc_u32_e32 v6, 1, v2
	v_cndmask_b32_e32 v9, v2, v6, vcc_lo
.LBB51_7:                               ;   in Loop: Header=BB51_3 Depth=1
	s_or_b32 exec_lo, exec_lo, s0
	s_delay_alu instid0(VALU_DEP_1) | instskip(SKIP_3) | instid1(VALU_DEP_1)
	v_mul_lo_u32 v2, s49, v9
	v_mul_lo_u32 v7, s48, v10
	v_mad_u64_u32 v[5:6], null, s48, v9, 0
	s_mov_b32 s0, exec_lo
	v_add3_u32 v6, v6, v7, v2
	s_delay_alu instid0(VALU_DEP_2) | instskip(NEXT) | instid1(VALU_DEP_2)
	v_add_co_u32 v11, vcc_lo, v3, v5
                                        ; implicit-def: $vgpr7_vgpr8
	v_add_co_ci_u32_e32 v12, vcc_lo, v4, v6, vcc_lo
	s_delay_alu instid0(VALU_DEP_1) | instskip(NEXT) | instid1(VALU_DEP_1)
	v_or_b32_e32 v2, s47, v12
	v_cmpx_ne_u64_e32 0, v[1:2]
	s_xor_b32 s53, exec_lo, s0
	s_cbranch_execz .LBB51_9
; %bb.8:                                ;   in Loop: Header=BB51_3 Depth=1
	s_ashr_i32 s54, s47, 31
	s_delay_alu instid0(SALU_CYCLE_1) | instskip(SKIP_2) | instid1(SALU_CYCLE_1)
	s_add_u32 s56, s46, s54
	s_mov_b32 s55, s54
	s_addc_u32 s57, s47, s54
	s_xor_b64 s[56:57], s[56:57], s[54:55]
	s_delay_alu instid0(SALU_CYCLE_1) | instskip(SKIP_3) | instid1(VALU_DEP_1)
	v_cvt_f32_u32_e32 v2, s56
	v_cvt_f32_u32_e32 v7, s57
	s_sub_u32 s0, 0, s56
	s_subb_u32 s55, 0, s57
	v_fmac_f32_e32 v2, 0x4f800000, v7
	s_delay_alu instid0(VALU_DEP_1) | instskip(SKIP_2) | instid1(VALU_DEP_1)
	v_rcp_f32_e32 v2, v2
	s_waitcnt_depctr 0xfff
	v_mul_f32_e32 v2, 0x5f7ffffc, v2
	v_mul_f32_e32 v7, 0x2f800000, v2
	s_delay_alu instid0(VALU_DEP_1) | instskip(NEXT) | instid1(VALU_DEP_1)
	v_trunc_f32_e32 v7, v7
	v_fmac_f32_e32 v2, 0xcf800000, v7
	v_cvt_u32_f32_e32 v7, v7
	s_delay_alu instid0(VALU_DEP_2) | instskip(NEXT) | instid1(VALU_DEP_2)
	v_cvt_u32_f32_e32 v2, v2
	v_mul_lo_u32 v8, s0, v7
	s_delay_alu instid0(VALU_DEP_2) | instskip(SKIP_1) | instid1(VALU_DEP_2)
	v_mul_hi_u32 v13, s0, v2
	v_mul_lo_u32 v14, s55, v2
	v_add_nc_u32_e32 v8, v13, v8
	v_mul_lo_u32 v13, s0, v2
	s_delay_alu instid0(VALU_DEP_2) | instskip(NEXT) | instid1(VALU_DEP_2)
	v_add_nc_u32_e32 v8, v8, v14
	v_mul_hi_u32 v14, v2, v13
	s_delay_alu instid0(VALU_DEP_2)
	v_mul_lo_u32 v15, v2, v8
	v_mul_hi_u32 v16, v2, v8
	v_mul_hi_u32 v17, v7, v13
	v_mul_lo_u32 v13, v7, v13
	v_mul_hi_u32 v18, v7, v8
	v_mul_lo_u32 v8, v7, v8
	v_add_co_u32 v14, vcc_lo, v14, v15
	v_add_co_ci_u32_e32 v15, vcc_lo, 0, v16, vcc_lo
	s_delay_alu instid0(VALU_DEP_2) | instskip(NEXT) | instid1(VALU_DEP_2)
	v_add_co_u32 v13, vcc_lo, v14, v13
	v_add_co_ci_u32_e32 v13, vcc_lo, v15, v17, vcc_lo
	v_add_co_ci_u32_e32 v14, vcc_lo, 0, v18, vcc_lo
	v_ashrrev_i32_e32 v17, 31, v12
	s_delay_alu instid0(VALU_DEP_3) | instskip(NEXT) | instid1(VALU_DEP_3)
	v_add_co_u32 v8, vcc_lo, v13, v8
	v_add_co_ci_u32_e32 v13, vcc_lo, 0, v14, vcc_lo
	s_delay_alu instid0(VALU_DEP_2) | instskip(NEXT) | instid1(VALU_DEP_2)
	v_add_co_u32 v2, vcc_lo, v2, v8
	v_add_co_ci_u32_e32 v7, vcc_lo, v7, v13, vcc_lo
	s_delay_alu instid0(VALU_DEP_2) | instskip(SKIP_1) | instid1(VALU_DEP_3)
	v_mul_hi_u32 v8, s0, v2
	v_mul_lo_u32 v14, s55, v2
	v_mul_lo_u32 v13, s0, v7
	s_delay_alu instid0(VALU_DEP_1) | instskip(SKIP_1) | instid1(VALU_DEP_2)
	v_add_nc_u32_e32 v8, v8, v13
	v_mul_lo_u32 v13, s0, v2
	v_add_nc_u32_e32 v8, v8, v14
	s_delay_alu instid0(VALU_DEP_2) | instskip(NEXT) | instid1(VALU_DEP_2)
	v_mul_hi_u32 v14, v2, v13
	v_mul_lo_u32 v15, v2, v8
	v_mul_hi_u32 v16, v2, v8
	v_mul_hi_u32 v18, v7, v13
	v_mul_lo_u32 v13, v7, v13
	v_mul_hi_u32 v19, v7, v8
	v_mul_lo_u32 v8, v7, v8
	v_add_co_u32 v14, vcc_lo, v14, v15
	v_add_co_ci_u32_e32 v15, vcc_lo, 0, v16, vcc_lo
	s_delay_alu instid0(VALU_DEP_2) | instskip(NEXT) | instid1(VALU_DEP_2)
	v_add_co_u32 v13, vcc_lo, v14, v13
	v_add_co_ci_u32_e32 v13, vcc_lo, v15, v18, vcc_lo
	v_add_co_ci_u32_e32 v14, vcc_lo, 0, v19, vcc_lo
	v_add_co_u32 v11, vcc_lo, v11, v17
	v_add_co_ci_u32_e32 v12, vcc_lo, v12, v17, vcc_lo
	s_delay_alu instid0(VALU_DEP_4) | instskip(NEXT) | instid1(VALU_DEP_4)
	v_add_co_u32 v8, vcc_lo, v13, v8
	v_add_co_ci_u32_e32 v13, vcc_lo, 0, v14, vcc_lo
	s_delay_alu instid0(VALU_DEP_4) | instskip(NEXT) | instid1(VALU_DEP_3)
	v_xor_b32_e32 v15, v11, v17
	v_add_co_u32 v2, vcc_lo, v2, v8
	s_delay_alu instid0(VALU_DEP_3) | instskip(SKIP_1) | instid1(VALU_DEP_3)
	v_add_co_ci_u32_e32 v16, vcc_lo, v7, v13, vcc_lo
	v_xor_b32_e32 v18, v12, v17
	v_mul_hi_u32 v19, v15, v2
	s_delay_alu instid0(VALU_DEP_3) | instskip(NEXT) | instid1(VALU_DEP_3)
	v_mad_u64_u32 v[7:8], null, v15, v16, 0
	v_mad_u64_u32 v[11:12], null, v18, v2, 0
	v_mad_u64_u32 v[13:14], null, v18, v16, 0
	s_delay_alu instid0(VALU_DEP_3) | instskip(NEXT) | instid1(VALU_DEP_4)
	v_add_co_u32 v2, vcc_lo, v19, v7
	v_add_co_ci_u32_e32 v7, vcc_lo, 0, v8, vcc_lo
	s_delay_alu instid0(VALU_DEP_2) | instskip(NEXT) | instid1(VALU_DEP_2)
	v_add_co_u32 v2, vcc_lo, v2, v11
	v_add_co_ci_u32_e32 v2, vcc_lo, v7, v12, vcc_lo
	v_add_co_ci_u32_e32 v7, vcc_lo, 0, v14, vcc_lo
	s_delay_alu instid0(VALU_DEP_2) | instskip(NEXT) | instid1(VALU_DEP_2)
	v_add_co_u32 v2, vcc_lo, v2, v13
	v_add_co_ci_u32_e32 v11, vcc_lo, 0, v7, vcc_lo
	s_delay_alu instid0(VALU_DEP_2) | instskip(SKIP_1) | instid1(VALU_DEP_3)
	v_mul_lo_u32 v12, s57, v2
	v_mad_u64_u32 v[7:8], null, s56, v2, 0
	v_mul_lo_u32 v13, s56, v11
	s_delay_alu instid0(VALU_DEP_2) | instskip(NEXT) | instid1(VALU_DEP_2)
	v_sub_co_u32 v7, vcc_lo, v15, v7
	v_add3_u32 v8, v8, v13, v12
	s_delay_alu instid0(VALU_DEP_1) | instskip(NEXT) | instid1(VALU_DEP_1)
	v_sub_nc_u32_e32 v12, v18, v8
	v_subrev_co_ci_u32_e64 v12, s0, s57, v12, vcc_lo
	v_add_co_u32 v13, s0, v2, 2
	s_delay_alu instid0(VALU_DEP_1) | instskip(SKIP_3) | instid1(VALU_DEP_3)
	v_add_co_ci_u32_e64 v14, s0, 0, v11, s0
	v_sub_co_u32 v15, s0, v7, s56
	v_sub_co_ci_u32_e32 v8, vcc_lo, v18, v8, vcc_lo
	v_subrev_co_ci_u32_e64 v12, s0, 0, v12, s0
	v_cmp_le_u32_e32 vcc_lo, s56, v15
	s_delay_alu instid0(VALU_DEP_3) | instskip(SKIP_1) | instid1(VALU_DEP_4)
	v_cmp_eq_u32_e64 s0, s57, v8
	v_cndmask_b32_e64 v15, 0, -1, vcc_lo
	v_cmp_le_u32_e32 vcc_lo, s57, v12
	v_cndmask_b32_e64 v16, 0, -1, vcc_lo
	v_cmp_le_u32_e32 vcc_lo, s56, v7
	;; [unrolled: 2-line block ×3, first 2 shown]
	v_cndmask_b32_e64 v18, 0, -1, vcc_lo
	v_cmp_eq_u32_e32 vcc_lo, s57, v12
	s_delay_alu instid0(VALU_DEP_2) | instskip(SKIP_3) | instid1(VALU_DEP_3)
	v_cndmask_b32_e64 v7, v18, v7, s0
	v_cndmask_b32_e32 v12, v16, v15, vcc_lo
	v_add_co_u32 v15, vcc_lo, v2, 1
	v_add_co_ci_u32_e32 v16, vcc_lo, 0, v11, vcc_lo
	v_cmp_ne_u32_e32 vcc_lo, 0, v12
	s_delay_alu instid0(VALU_DEP_2) | instskip(NEXT) | instid1(VALU_DEP_4)
	v_cndmask_b32_e32 v8, v16, v14, vcc_lo
	v_cndmask_b32_e32 v12, v15, v13, vcc_lo
	v_cmp_ne_u32_e32 vcc_lo, 0, v7
	v_xor_b32_e32 v13, s54, v17
	s_delay_alu instid0(VALU_DEP_3) | instskip(SKIP_1) | instid1(VALU_DEP_2)
	v_cndmask_b32_e32 v2, v2, v12, vcc_lo
	v_cndmask_b32_e32 v7, v11, v8, vcc_lo
                                        ; implicit-def: $vgpr11
	v_xor_b32_e32 v2, v2, v13
	s_delay_alu instid0(VALU_DEP_2) | instskip(NEXT) | instid1(VALU_DEP_2)
	v_xor_b32_e32 v8, v7, v13
	v_sub_co_u32 v7, vcc_lo, v2, v13
	s_delay_alu instid0(VALU_DEP_2)
	v_sub_co_ci_u32_e32 v8, vcc_lo, v8, v13, vcc_lo
.LBB51_9:                               ;   in Loop: Header=BB51_3 Depth=1
	s_or_saveexec_b32 s0, s53
	v_cvt_f32_u32_e32 v21, s46
	s_xor_b32 exec_lo, exec_lo, s0
	s_cbranch_execz .LBB51_11
; %bb.10:                               ;   in Loop: Header=BB51_3 Depth=1
	s_delay_alu instid0(VALU_DEP_1) | instskip(SKIP_3) | instid1(VALU_DEP_1)
	v_rcp_iflag_f32_e32 v2, v21
	s_sub_i32 s53, 0, s46
	s_waitcnt_depctr 0xfff
	v_mul_f32_e32 v2, 0x4f7ffffe, v2
	v_cvt_u32_f32_e32 v2, v2
	s_delay_alu instid0(VALU_DEP_1) | instskip(NEXT) | instid1(VALU_DEP_1)
	v_mul_lo_u32 v7, s53, v2
	v_mul_hi_u32 v7, v2, v7
	s_delay_alu instid0(VALU_DEP_1) | instskip(NEXT) | instid1(VALU_DEP_1)
	v_add_nc_u32_e32 v2, v2, v7
	v_mul_hi_u32 v2, v11, v2
	s_delay_alu instid0(VALU_DEP_1) | instskip(SKIP_1) | instid1(VALU_DEP_2)
	v_mul_lo_u32 v7, v2, s46
	v_add_nc_u32_e32 v8, 1, v2
	v_sub_nc_u32_e32 v7, v11, v7
	s_delay_alu instid0(VALU_DEP_1) | instskip(SKIP_1) | instid1(VALU_DEP_2)
	v_subrev_nc_u32_e32 v11, s46, v7
	v_cmp_le_u32_e32 vcc_lo, s46, v7
	v_dual_cndmask_b32 v7, v7, v11 :: v_dual_cndmask_b32 v2, v2, v8
	s_delay_alu instid0(VALU_DEP_1) | instskip(NEXT) | instid1(VALU_DEP_2)
	v_cmp_le_u32_e32 vcc_lo, s46, v7
	v_add_nc_u32_e32 v8, 1, v2
	s_delay_alu instid0(VALU_DEP_1)
	v_dual_cndmask_b32 v7, v2, v8 :: v_dual_mov_b32 v8, v1
.LBB51_11:                              ;   in Loop: Header=BB51_3 Depth=1
	s_or_b32 exec_lo, exec_lo, s0
	s_delay_alu instid0(VALU_DEP_1) | instskip(NEXT) | instid1(VALU_DEP_2)
	v_mul_lo_u32 v2, v8, s46
	v_mul_lo_u32 v13, v7, s47
	v_mad_u64_u32 v[11:12], null, v7, s46, 0
	s_mov_b32 s0, exec_lo
	s_delay_alu instid0(VALU_DEP_1) | instskip(NEXT) | instid1(VALU_DEP_2)
	v_add3_u32 v2, v12, v13, v2
	v_sub_co_u32 v5, vcc_lo, v5, v11
	v_mul_lo_u32 v12, v8, s24
	v_mul_lo_u32 v11, v7, s25
	s_delay_alu instid0(VALU_DEP_4) | instskip(NEXT) | instid1(VALU_DEP_4)
	v_sub_co_ci_u32_e32 v2, vcc_lo, v6, v2, vcc_lo
	v_add_co_u32 v13, vcc_lo, v3, v5
	v_mad_u64_u32 v[5:6], null, v7, s24, 0
	s_delay_alu instid0(VALU_DEP_3) | instskip(NEXT) | instid1(VALU_DEP_3)
	v_add_co_ci_u32_e32 v2, vcc_lo, v4, v2, vcc_lo
	v_mul_lo_u32 v14, v13, s27
	v_mad_u64_u32 v[7:8], null, v13, s26, 0
	s_delay_alu instid0(VALU_DEP_3) | instskip(SKIP_2) | instid1(VALU_DEP_2)
	v_mul_lo_u32 v2, v2, s26
	v_add3_u32 v6, v6, v11, v12
	v_lshlrev_b64 v[11:12], 2, v[9:10]
	v_lshlrev_b64 v[5:6], 3, v[5:6]
	s_delay_alu instid0(VALU_DEP_4) | instskip(NEXT) | instid1(VALU_DEP_3)
	v_add3_u32 v8, v8, v14, v2
	v_mul_lo_u32 v13, s5, v11
	s_delay_alu instid0(VALU_DEP_3) | instskip(NEXT) | instid1(VALU_DEP_3)
	v_add_co_u32 v2, vcc_lo, s44, v5
	v_lshlrev_b64 v[7:8], 3, v[7:8]
	v_add_co_ci_u32_e32 v6, vcc_lo, s45, v6, vcc_lo
	s_delay_alu instid0(VALU_DEP_2) | instskip(NEXT) | instid1(VALU_DEP_2)
	v_add_co_u32 v5, vcc_lo, v2, v7
	v_add_co_ci_u32_e32 v6, vcc_lo, v6, v8, vcc_lo
	v_alignbit_b32 v2, v10, v9, 30
	v_mad_u64_u32 v[7:8], null, s4, v11, s[4:5]
	global_load_b64 v[5:6], v[5:6], off
	v_mul_lo_u32 v2, s4, v2
	v_add_co_u32 v15, vcc_lo, v3, v7
	s_delay_alu instid0(VALU_DEP_2) | instskip(NEXT) | instid1(VALU_DEP_1)
	v_add3_u32 v8, v13, v8, v2
                                        ; implicit-def: $vgpr13_vgpr14
	v_add_co_ci_u32_e32 v16, vcc_lo, v4, v8, vcc_lo
	s_delay_alu instid0(VALU_DEP_1) | instskip(NEXT) | instid1(VALU_DEP_1)
	v_or_b32_e32 v2, s47, v16
	v_cmpx_ne_u64_e32 0, v[1:2]
	s_xor_b32 s53, exec_lo, s0
	s_cbranch_execz .LBB51_13
; %bb.12:                               ;   in Loop: Header=BB51_3 Depth=1
	s_ashr_i32 s54, s47, 31
	s_delay_alu instid0(SALU_CYCLE_1) | instskip(SKIP_2) | instid1(SALU_CYCLE_1)
	s_add_u32 s56, s46, s54
	s_mov_b32 s55, s54
	s_addc_u32 s57, s47, s54
	s_xor_b64 s[56:57], s[56:57], s[54:55]
	s_delay_alu instid0(SALU_CYCLE_1) | instskip(SKIP_3) | instid1(VALU_DEP_1)
	v_cvt_f32_u32_e32 v2, s56
	v_cvt_f32_u32_e32 v13, s57
	s_sub_u32 s0, 0, s56
	s_subb_u32 s55, 0, s57
	v_fmac_f32_e32 v2, 0x4f800000, v13
	s_delay_alu instid0(VALU_DEP_1) | instskip(SKIP_2) | instid1(VALU_DEP_1)
	v_rcp_f32_e32 v2, v2
	s_waitcnt_depctr 0xfff
	v_mul_f32_e32 v2, 0x5f7ffffc, v2
	v_mul_f32_e32 v13, 0x2f800000, v2
	s_delay_alu instid0(VALU_DEP_1) | instskip(NEXT) | instid1(VALU_DEP_1)
	v_trunc_f32_e32 v13, v13
	v_fmac_f32_e32 v2, 0xcf800000, v13
	v_cvt_u32_f32_e32 v13, v13
	s_delay_alu instid0(VALU_DEP_2) | instskip(NEXT) | instid1(VALU_DEP_2)
	v_cvt_u32_f32_e32 v2, v2
	v_mul_lo_u32 v14, s0, v13
	s_delay_alu instid0(VALU_DEP_2) | instskip(SKIP_1) | instid1(VALU_DEP_2)
	v_mul_hi_u32 v17, s0, v2
	v_mul_lo_u32 v18, s55, v2
	v_add_nc_u32_e32 v14, v17, v14
	v_mul_lo_u32 v17, s0, v2
	s_delay_alu instid0(VALU_DEP_2) | instskip(NEXT) | instid1(VALU_DEP_2)
	v_add_nc_u32_e32 v14, v14, v18
	v_mul_hi_u32 v18, v2, v17
	s_delay_alu instid0(VALU_DEP_2)
	v_mul_lo_u32 v19, v2, v14
	v_mul_hi_u32 v20, v2, v14
	v_mul_hi_u32 v22, v13, v17
	v_mul_lo_u32 v17, v13, v17
	v_mul_hi_u32 v23, v13, v14
	v_mul_lo_u32 v14, v13, v14
	v_add_co_u32 v18, vcc_lo, v18, v19
	v_add_co_ci_u32_e32 v19, vcc_lo, 0, v20, vcc_lo
	s_delay_alu instid0(VALU_DEP_2) | instskip(NEXT) | instid1(VALU_DEP_2)
	v_add_co_u32 v17, vcc_lo, v18, v17
	v_add_co_ci_u32_e32 v17, vcc_lo, v19, v22, vcc_lo
	v_add_co_ci_u32_e32 v18, vcc_lo, 0, v23, vcc_lo
	v_ashrrev_i32_e32 v22, 31, v16
	s_delay_alu instid0(VALU_DEP_3) | instskip(NEXT) | instid1(VALU_DEP_3)
	v_add_co_u32 v14, vcc_lo, v17, v14
	v_add_co_ci_u32_e32 v17, vcc_lo, 0, v18, vcc_lo
	s_delay_alu instid0(VALU_DEP_2) | instskip(NEXT) | instid1(VALU_DEP_2)
	v_add_co_u32 v2, vcc_lo, v2, v14
	v_add_co_ci_u32_e32 v13, vcc_lo, v13, v17, vcc_lo
	s_delay_alu instid0(VALU_DEP_2) | instskip(SKIP_1) | instid1(VALU_DEP_3)
	v_mul_hi_u32 v14, s0, v2
	v_mul_lo_u32 v18, s55, v2
	v_mul_lo_u32 v17, s0, v13
	s_delay_alu instid0(VALU_DEP_1) | instskip(SKIP_1) | instid1(VALU_DEP_2)
	v_add_nc_u32_e32 v14, v14, v17
	v_mul_lo_u32 v17, s0, v2
	v_add_nc_u32_e32 v14, v14, v18
	s_delay_alu instid0(VALU_DEP_2) | instskip(NEXT) | instid1(VALU_DEP_2)
	v_mul_hi_u32 v18, v2, v17
	v_mul_lo_u32 v19, v2, v14
	v_mul_hi_u32 v20, v2, v14
	v_mul_hi_u32 v23, v13, v17
	v_mul_lo_u32 v17, v13, v17
	v_mul_hi_u32 v24, v13, v14
	v_mul_lo_u32 v14, v13, v14
	v_add_co_u32 v18, vcc_lo, v18, v19
	v_add_co_ci_u32_e32 v19, vcc_lo, 0, v20, vcc_lo
	s_delay_alu instid0(VALU_DEP_2) | instskip(NEXT) | instid1(VALU_DEP_2)
	v_add_co_u32 v17, vcc_lo, v18, v17
	v_add_co_ci_u32_e32 v17, vcc_lo, v19, v23, vcc_lo
	v_add_co_ci_u32_e32 v18, vcc_lo, 0, v24, vcc_lo
	v_add_co_u32 v15, vcc_lo, v15, v22
	v_add_co_ci_u32_e32 v16, vcc_lo, v16, v22, vcc_lo
	s_delay_alu instid0(VALU_DEP_4) | instskip(NEXT) | instid1(VALU_DEP_4)
	v_add_co_u32 v14, vcc_lo, v17, v14
	v_add_co_ci_u32_e32 v17, vcc_lo, 0, v18, vcc_lo
	s_delay_alu instid0(VALU_DEP_4) | instskip(NEXT) | instid1(VALU_DEP_3)
	v_xor_b32_e32 v19, v15, v22
	v_add_co_u32 v2, vcc_lo, v2, v14
	s_delay_alu instid0(VALU_DEP_3) | instskip(SKIP_1) | instid1(VALU_DEP_3)
	v_add_co_ci_u32_e32 v20, vcc_lo, v13, v17, vcc_lo
	v_xor_b32_e32 v23, v16, v22
	v_mul_hi_u32 v24, v19, v2
	s_delay_alu instid0(VALU_DEP_3) | instskip(NEXT) | instid1(VALU_DEP_3)
	v_mad_u64_u32 v[13:14], null, v19, v20, 0
	v_mad_u64_u32 v[15:16], null, v23, v2, 0
	;; [unrolled: 1-line block ×3, first 2 shown]
	s_delay_alu instid0(VALU_DEP_3) | instskip(NEXT) | instid1(VALU_DEP_4)
	v_add_co_u32 v2, vcc_lo, v24, v13
	v_add_co_ci_u32_e32 v13, vcc_lo, 0, v14, vcc_lo
	s_delay_alu instid0(VALU_DEP_2) | instskip(NEXT) | instid1(VALU_DEP_2)
	v_add_co_u32 v2, vcc_lo, v2, v15
	v_add_co_ci_u32_e32 v2, vcc_lo, v13, v16, vcc_lo
	v_add_co_ci_u32_e32 v13, vcc_lo, 0, v18, vcc_lo
	s_delay_alu instid0(VALU_DEP_2) | instskip(NEXT) | instid1(VALU_DEP_2)
	v_add_co_u32 v2, vcc_lo, v2, v17
	v_add_co_ci_u32_e32 v15, vcc_lo, 0, v13, vcc_lo
	s_delay_alu instid0(VALU_DEP_2) | instskip(SKIP_1) | instid1(VALU_DEP_3)
	v_mul_lo_u32 v16, s57, v2
	v_mad_u64_u32 v[13:14], null, s56, v2, 0
	v_mul_lo_u32 v17, s56, v15
	s_delay_alu instid0(VALU_DEP_2) | instskip(NEXT) | instid1(VALU_DEP_2)
	v_sub_co_u32 v13, vcc_lo, v19, v13
	v_add3_u32 v14, v14, v17, v16
	s_delay_alu instid0(VALU_DEP_1) | instskip(NEXT) | instid1(VALU_DEP_1)
	v_sub_nc_u32_e32 v16, v23, v14
	v_subrev_co_ci_u32_e64 v16, s0, s57, v16, vcc_lo
	v_add_co_u32 v17, s0, v2, 2
	s_delay_alu instid0(VALU_DEP_1) | instskip(SKIP_3) | instid1(VALU_DEP_3)
	v_add_co_ci_u32_e64 v18, s0, 0, v15, s0
	v_sub_co_u32 v19, s0, v13, s56
	v_sub_co_ci_u32_e32 v14, vcc_lo, v23, v14, vcc_lo
	v_subrev_co_ci_u32_e64 v16, s0, 0, v16, s0
	v_cmp_le_u32_e32 vcc_lo, s56, v19
	s_delay_alu instid0(VALU_DEP_3) | instskip(SKIP_1) | instid1(VALU_DEP_4)
	v_cmp_eq_u32_e64 s0, s57, v14
	v_cndmask_b32_e64 v19, 0, -1, vcc_lo
	v_cmp_le_u32_e32 vcc_lo, s57, v16
	v_cndmask_b32_e64 v20, 0, -1, vcc_lo
	v_cmp_le_u32_e32 vcc_lo, s56, v13
	;; [unrolled: 2-line block ×3, first 2 shown]
	v_cndmask_b32_e64 v23, 0, -1, vcc_lo
	v_cmp_eq_u32_e32 vcc_lo, s57, v16
	s_delay_alu instid0(VALU_DEP_2) | instskip(SKIP_3) | instid1(VALU_DEP_3)
	v_cndmask_b32_e64 v13, v23, v13, s0
	v_cndmask_b32_e32 v16, v20, v19, vcc_lo
	v_add_co_u32 v19, vcc_lo, v2, 1
	v_add_co_ci_u32_e32 v20, vcc_lo, 0, v15, vcc_lo
	v_cmp_ne_u32_e32 vcc_lo, 0, v16
	s_delay_alu instid0(VALU_DEP_2) | instskip(NEXT) | instid1(VALU_DEP_4)
	v_cndmask_b32_e32 v14, v20, v18, vcc_lo
	v_cndmask_b32_e32 v16, v19, v17, vcc_lo
	v_cmp_ne_u32_e32 vcc_lo, 0, v13
	v_xor_b32_e32 v17, s54, v22
	s_delay_alu instid0(VALU_DEP_3) | instskip(NEXT) | instid1(VALU_DEP_1)
	v_dual_cndmask_b32 v2, v2, v16 :: v_dual_cndmask_b32 v13, v15, v14
                                        ; implicit-def: $vgpr15
	v_xor_b32_e32 v2, v2, v17
	s_delay_alu instid0(VALU_DEP_2) | instskip(NEXT) | instid1(VALU_DEP_2)
	v_xor_b32_e32 v14, v13, v17
	v_sub_co_u32 v13, vcc_lo, v2, v17
	s_delay_alu instid0(VALU_DEP_2)
	v_sub_co_ci_u32_e32 v14, vcc_lo, v14, v17, vcc_lo
.LBB51_13:                              ;   in Loop: Header=BB51_3 Depth=1
	s_and_not1_saveexec_b32 s0, s53
	s_cbranch_execz .LBB51_15
; %bb.14:                               ;   in Loop: Header=BB51_3 Depth=1
	v_rcp_iflag_f32_e32 v2, v21
	s_sub_i32 s53, 0, s46
	s_waitcnt_depctr 0xfff
	v_mul_f32_e32 v2, 0x4f7ffffe, v2
	s_delay_alu instid0(VALU_DEP_1) | instskip(NEXT) | instid1(VALU_DEP_1)
	v_cvt_u32_f32_e32 v2, v2
	v_mul_lo_u32 v13, s53, v2
	s_delay_alu instid0(VALU_DEP_1) | instskip(NEXT) | instid1(VALU_DEP_1)
	v_mul_hi_u32 v13, v2, v13
	v_add_nc_u32_e32 v2, v2, v13
	s_delay_alu instid0(VALU_DEP_1) | instskip(NEXT) | instid1(VALU_DEP_1)
	v_mul_hi_u32 v2, v15, v2
	v_mul_lo_u32 v13, v2, s46
	v_add_nc_u32_e32 v14, 1, v2
	s_delay_alu instid0(VALU_DEP_2) | instskip(NEXT) | instid1(VALU_DEP_1)
	v_sub_nc_u32_e32 v13, v15, v13
	v_subrev_nc_u32_e32 v15, s46, v13
	v_cmp_le_u32_e32 vcc_lo, s46, v13
	s_delay_alu instid0(VALU_DEP_2) | instskip(NEXT) | instid1(VALU_DEP_1)
	v_dual_cndmask_b32 v13, v13, v15 :: v_dual_cndmask_b32 v2, v2, v14
	v_cmp_le_u32_e32 vcc_lo, s46, v13
	s_delay_alu instid0(VALU_DEP_2) | instskip(NEXT) | instid1(VALU_DEP_1)
	v_add_nc_u32_e32 v14, 1, v2
	v_dual_cndmask_b32 v13, v2, v14 :: v_dual_mov_b32 v14, v1
.LBB51_15:                              ;   in Loop: Header=BB51_3 Depth=1
	s_or_b32 exec_lo, exec_lo, s0
	s_delay_alu instid0(VALU_DEP_1) | instskip(NEXT) | instid1(VALU_DEP_2)
	v_mul_lo_u32 v2, v14, s46
	v_mul_lo_u32 v17, v13, s47
	v_mad_u64_u32 v[15:16], null, v13, s46, 0
	s_mov_b32 s0, exec_lo
	s_delay_alu instid0(VALU_DEP_1) | instskip(NEXT) | instid1(VALU_DEP_2)
	v_add3_u32 v2, v16, v17, v2
	v_sub_co_u32 v7, vcc_lo, v7, v15
	v_mul_lo_u32 v16, v14, s24
	v_mul_lo_u32 v15, v13, s25
	s_delay_alu instid0(VALU_DEP_4) | instskip(NEXT) | instid1(VALU_DEP_4)
	v_sub_co_ci_u32_e32 v2, vcc_lo, v8, v2, vcc_lo
	v_add_co_u32 v17, vcc_lo, v3, v7
	v_mad_u64_u32 v[7:8], null, v13, s24, 0
	s_delay_alu instid0(VALU_DEP_3) | instskip(NEXT) | instid1(VALU_DEP_3)
	v_add_co_ci_u32_e32 v2, vcc_lo, v4, v2, vcc_lo
	v_mul_lo_u32 v18, v17, s27
	v_mad_u64_u32 v[13:14], null, v17, s26, 0
	s_delay_alu instid0(VALU_DEP_3) | instskip(SKIP_1) | instid1(VALU_DEP_1)
	v_mul_lo_u32 v2, v2, s26
	v_add3_u32 v8, v8, v15, v16
	v_lshlrev_b64 v[7:8], 3, v[7:8]
	s_delay_alu instid0(VALU_DEP_3) | instskip(NEXT) | instid1(VALU_DEP_2)
	v_add3_u32 v14, v14, v18, v2
	v_add_co_u32 v2, vcc_lo, s44, v7
	s_delay_alu instid0(VALU_DEP_2) | instskip(NEXT) | instid1(VALU_DEP_4)
	v_lshlrev_b64 v[13:14], 3, v[13:14]
	v_add_co_ci_u32_e32 v8, vcc_lo, s45, v8, vcc_lo
	s_delay_alu instid0(VALU_DEP_2) | instskip(NEXT) | instid1(VALU_DEP_2)
	v_add_co_u32 v7, vcc_lo, v2, v13
	v_add_co_ci_u32_e32 v8, vcc_lo, v8, v14, vcc_lo
	v_add_co_u32 v2, vcc_lo, v11, 2
	v_add_co_ci_u32_e32 v13, vcc_lo, 0, v12, vcc_lo
	global_load_b64 v[7:8], v[7:8], off
	v_mul_lo_u32 v15, s5, v2
	v_mul_lo_u32 v16, s4, v13
	v_mad_u64_u32 v[13:14], null, s4, v2, 0
	s_delay_alu instid0(VALU_DEP_1) | instskip(NEXT) | instid1(VALU_DEP_2)
	v_add3_u32 v14, v14, v16, v15
	v_add_co_u32 v17, vcc_lo, v3, v13
                                        ; implicit-def: $vgpr15_vgpr16
	s_delay_alu instid0(VALU_DEP_2) | instskip(NEXT) | instid1(VALU_DEP_1)
	v_add_co_ci_u32_e32 v18, vcc_lo, v4, v14, vcc_lo
	v_or_b32_e32 v2, s47, v18
	s_delay_alu instid0(VALU_DEP_1)
	v_cmpx_ne_u64_e32 0, v[1:2]
	s_xor_b32 s53, exec_lo, s0
	s_cbranch_execz .LBB51_17
; %bb.16:                               ;   in Loop: Header=BB51_3 Depth=1
	s_ashr_i32 s54, s47, 31
	s_delay_alu instid0(SALU_CYCLE_1) | instskip(SKIP_2) | instid1(SALU_CYCLE_1)
	s_add_u32 s56, s46, s54
	s_mov_b32 s55, s54
	s_addc_u32 s57, s47, s54
	s_xor_b64 s[56:57], s[56:57], s[54:55]
	s_delay_alu instid0(SALU_CYCLE_1) | instskip(SKIP_3) | instid1(VALU_DEP_1)
	v_cvt_f32_u32_e32 v2, s56
	v_cvt_f32_u32_e32 v15, s57
	s_sub_u32 s0, 0, s56
	s_subb_u32 s55, 0, s57
	v_fmac_f32_e32 v2, 0x4f800000, v15
	s_delay_alu instid0(VALU_DEP_1) | instskip(SKIP_2) | instid1(VALU_DEP_1)
	v_rcp_f32_e32 v2, v2
	s_waitcnt_depctr 0xfff
	v_mul_f32_e32 v2, 0x5f7ffffc, v2
	v_mul_f32_e32 v15, 0x2f800000, v2
	s_delay_alu instid0(VALU_DEP_1) | instskip(NEXT) | instid1(VALU_DEP_1)
	v_trunc_f32_e32 v15, v15
	v_fmac_f32_e32 v2, 0xcf800000, v15
	v_cvt_u32_f32_e32 v15, v15
	s_delay_alu instid0(VALU_DEP_2) | instskip(NEXT) | instid1(VALU_DEP_2)
	v_cvt_u32_f32_e32 v2, v2
	v_mul_lo_u32 v16, s0, v15
	s_delay_alu instid0(VALU_DEP_2) | instskip(SKIP_1) | instid1(VALU_DEP_2)
	v_mul_hi_u32 v19, s0, v2
	v_mul_lo_u32 v20, s55, v2
	v_add_nc_u32_e32 v16, v19, v16
	v_mul_lo_u32 v19, s0, v2
	s_delay_alu instid0(VALU_DEP_2) | instskip(NEXT) | instid1(VALU_DEP_2)
	v_add_nc_u32_e32 v16, v16, v20
	v_mul_hi_u32 v20, v2, v19
	s_delay_alu instid0(VALU_DEP_2)
	v_mul_lo_u32 v22, v2, v16
	v_mul_hi_u32 v23, v2, v16
	v_mul_hi_u32 v24, v15, v19
	v_mul_lo_u32 v19, v15, v19
	v_mul_hi_u32 v25, v15, v16
	v_mul_lo_u32 v16, v15, v16
	v_add_co_u32 v20, vcc_lo, v20, v22
	v_add_co_ci_u32_e32 v22, vcc_lo, 0, v23, vcc_lo
	s_delay_alu instid0(VALU_DEP_2) | instskip(NEXT) | instid1(VALU_DEP_2)
	v_add_co_u32 v19, vcc_lo, v20, v19
	v_add_co_ci_u32_e32 v19, vcc_lo, v22, v24, vcc_lo
	v_add_co_ci_u32_e32 v20, vcc_lo, 0, v25, vcc_lo
	v_ashrrev_i32_e32 v24, 31, v18
	s_delay_alu instid0(VALU_DEP_3) | instskip(NEXT) | instid1(VALU_DEP_3)
	v_add_co_u32 v16, vcc_lo, v19, v16
	v_add_co_ci_u32_e32 v19, vcc_lo, 0, v20, vcc_lo
	s_delay_alu instid0(VALU_DEP_2) | instskip(NEXT) | instid1(VALU_DEP_2)
	v_add_co_u32 v2, vcc_lo, v2, v16
	v_add_co_ci_u32_e32 v15, vcc_lo, v15, v19, vcc_lo
	s_delay_alu instid0(VALU_DEP_2) | instskip(SKIP_1) | instid1(VALU_DEP_3)
	v_mul_hi_u32 v16, s0, v2
	v_mul_lo_u32 v20, s55, v2
	v_mul_lo_u32 v19, s0, v15
	s_delay_alu instid0(VALU_DEP_1) | instskip(SKIP_1) | instid1(VALU_DEP_2)
	v_add_nc_u32_e32 v16, v16, v19
	v_mul_lo_u32 v19, s0, v2
	v_add_nc_u32_e32 v16, v16, v20
	s_delay_alu instid0(VALU_DEP_2) | instskip(NEXT) | instid1(VALU_DEP_2)
	v_mul_hi_u32 v20, v2, v19
	v_mul_lo_u32 v22, v2, v16
	v_mul_hi_u32 v23, v2, v16
	v_mul_hi_u32 v25, v15, v19
	v_mul_lo_u32 v19, v15, v19
	v_mul_hi_u32 v26, v15, v16
	v_mul_lo_u32 v16, v15, v16
	v_add_co_u32 v20, vcc_lo, v20, v22
	v_add_co_ci_u32_e32 v22, vcc_lo, 0, v23, vcc_lo
	s_delay_alu instid0(VALU_DEP_2) | instskip(NEXT) | instid1(VALU_DEP_2)
	v_add_co_u32 v19, vcc_lo, v20, v19
	v_add_co_ci_u32_e32 v19, vcc_lo, v22, v25, vcc_lo
	v_add_co_ci_u32_e32 v20, vcc_lo, 0, v26, vcc_lo
	v_add_co_u32 v17, vcc_lo, v17, v24
	v_add_co_ci_u32_e32 v18, vcc_lo, v18, v24, vcc_lo
	s_delay_alu instid0(VALU_DEP_4) | instskip(NEXT) | instid1(VALU_DEP_4)
	v_add_co_u32 v16, vcc_lo, v19, v16
	v_add_co_ci_u32_e32 v19, vcc_lo, 0, v20, vcc_lo
	s_delay_alu instid0(VALU_DEP_4) | instskip(NEXT) | instid1(VALU_DEP_3)
	v_xor_b32_e32 v22, v17, v24
	v_add_co_u32 v2, vcc_lo, v2, v16
	s_delay_alu instid0(VALU_DEP_3) | instskip(SKIP_1) | instid1(VALU_DEP_3)
	v_add_co_ci_u32_e32 v23, vcc_lo, v15, v19, vcc_lo
	v_xor_b32_e32 v25, v18, v24
	v_mul_hi_u32 v26, v22, v2
	s_delay_alu instid0(VALU_DEP_3) | instskip(NEXT) | instid1(VALU_DEP_3)
	v_mad_u64_u32 v[15:16], null, v22, v23, 0
	v_mad_u64_u32 v[17:18], null, v25, v2, 0
	;; [unrolled: 1-line block ×3, first 2 shown]
	s_delay_alu instid0(VALU_DEP_3) | instskip(NEXT) | instid1(VALU_DEP_4)
	v_add_co_u32 v2, vcc_lo, v26, v15
	v_add_co_ci_u32_e32 v15, vcc_lo, 0, v16, vcc_lo
	s_delay_alu instid0(VALU_DEP_2) | instskip(NEXT) | instid1(VALU_DEP_2)
	v_add_co_u32 v2, vcc_lo, v2, v17
	v_add_co_ci_u32_e32 v2, vcc_lo, v15, v18, vcc_lo
	v_add_co_ci_u32_e32 v15, vcc_lo, 0, v20, vcc_lo
	s_delay_alu instid0(VALU_DEP_2) | instskip(NEXT) | instid1(VALU_DEP_2)
	v_add_co_u32 v2, vcc_lo, v2, v19
	v_add_co_ci_u32_e32 v17, vcc_lo, 0, v15, vcc_lo
	s_delay_alu instid0(VALU_DEP_2) | instskip(SKIP_1) | instid1(VALU_DEP_3)
	v_mul_lo_u32 v18, s57, v2
	v_mad_u64_u32 v[15:16], null, s56, v2, 0
	v_mul_lo_u32 v19, s56, v17
	s_delay_alu instid0(VALU_DEP_2) | instskip(NEXT) | instid1(VALU_DEP_2)
	v_sub_co_u32 v15, vcc_lo, v22, v15
	v_add3_u32 v16, v16, v19, v18
	s_delay_alu instid0(VALU_DEP_1) | instskip(NEXT) | instid1(VALU_DEP_1)
	v_sub_nc_u32_e32 v18, v25, v16
	v_subrev_co_ci_u32_e64 v18, s0, s57, v18, vcc_lo
	v_add_co_u32 v19, s0, v2, 2
	s_delay_alu instid0(VALU_DEP_1) | instskip(SKIP_3) | instid1(VALU_DEP_3)
	v_add_co_ci_u32_e64 v20, s0, 0, v17, s0
	v_sub_co_u32 v22, s0, v15, s56
	v_sub_co_ci_u32_e32 v16, vcc_lo, v25, v16, vcc_lo
	v_subrev_co_ci_u32_e64 v18, s0, 0, v18, s0
	v_cmp_le_u32_e32 vcc_lo, s56, v22
	s_delay_alu instid0(VALU_DEP_3) | instskip(SKIP_1) | instid1(VALU_DEP_4)
	v_cmp_eq_u32_e64 s0, s57, v16
	v_cndmask_b32_e64 v22, 0, -1, vcc_lo
	v_cmp_le_u32_e32 vcc_lo, s57, v18
	v_cndmask_b32_e64 v23, 0, -1, vcc_lo
	v_cmp_le_u32_e32 vcc_lo, s56, v15
	;; [unrolled: 2-line block ×3, first 2 shown]
	v_cndmask_b32_e64 v25, 0, -1, vcc_lo
	v_cmp_eq_u32_e32 vcc_lo, s57, v18
	s_delay_alu instid0(VALU_DEP_2) | instskip(SKIP_3) | instid1(VALU_DEP_3)
	v_cndmask_b32_e64 v15, v25, v15, s0
	v_cndmask_b32_e32 v18, v23, v22, vcc_lo
	v_add_co_u32 v22, vcc_lo, v2, 1
	v_add_co_ci_u32_e32 v23, vcc_lo, 0, v17, vcc_lo
	v_cmp_ne_u32_e32 vcc_lo, 0, v18
	s_delay_alu instid0(VALU_DEP_2) | instskip(NEXT) | instid1(VALU_DEP_4)
	v_cndmask_b32_e32 v16, v23, v20, vcc_lo
	v_cndmask_b32_e32 v18, v22, v19, vcc_lo
	v_cmp_ne_u32_e32 vcc_lo, 0, v15
	v_xor_b32_e32 v19, s54, v24
	s_delay_alu instid0(VALU_DEP_3) | instskip(NEXT) | instid1(VALU_DEP_1)
	v_dual_cndmask_b32 v2, v2, v18 :: v_dual_cndmask_b32 v15, v17, v16
                                        ; implicit-def: $vgpr17
	v_xor_b32_e32 v2, v2, v19
	s_delay_alu instid0(VALU_DEP_2) | instskip(NEXT) | instid1(VALU_DEP_2)
	v_xor_b32_e32 v16, v15, v19
	v_sub_co_u32 v15, vcc_lo, v2, v19
	s_delay_alu instid0(VALU_DEP_2)
	v_sub_co_ci_u32_e32 v16, vcc_lo, v16, v19, vcc_lo
.LBB51_17:                              ;   in Loop: Header=BB51_3 Depth=1
	s_and_not1_saveexec_b32 s0, s53
	s_cbranch_execz .LBB51_19
; %bb.18:                               ;   in Loop: Header=BB51_3 Depth=1
	v_rcp_iflag_f32_e32 v2, v21
	s_sub_i32 s53, 0, s46
	s_waitcnt_depctr 0xfff
	v_mul_f32_e32 v2, 0x4f7ffffe, v2
	s_delay_alu instid0(VALU_DEP_1) | instskip(NEXT) | instid1(VALU_DEP_1)
	v_cvt_u32_f32_e32 v2, v2
	v_mul_lo_u32 v15, s53, v2
	s_delay_alu instid0(VALU_DEP_1) | instskip(NEXT) | instid1(VALU_DEP_1)
	v_mul_hi_u32 v15, v2, v15
	v_add_nc_u32_e32 v2, v2, v15
	s_delay_alu instid0(VALU_DEP_1) | instskip(NEXT) | instid1(VALU_DEP_1)
	v_mul_hi_u32 v2, v17, v2
	v_mul_lo_u32 v15, v2, s46
	v_add_nc_u32_e32 v16, 1, v2
	s_delay_alu instid0(VALU_DEP_2) | instskip(NEXT) | instid1(VALU_DEP_1)
	v_sub_nc_u32_e32 v15, v17, v15
	v_subrev_nc_u32_e32 v17, s46, v15
	v_cmp_le_u32_e32 vcc_lo, s46, v15
	s_delay_alu instid0(VALU_DEP_2) | instskip(NEXT) | instid1(VALU_DEP_1)
	v_dual_cndmask_b32 v15, v15, v17 :: v_dual_cndmask_b32 v2, v2, v16
	v_cmp_le_u32_e32 vcc_lo, s46, v15
	s_delay_alu instid0(VALU_DEP_2) | instskip(NEXT) | instid1(VALU_DEP_1)
	v_add_nc_u32_e32 v16, 1, v2
	v_dual_cndmask_b32 v15, v2, v16 :: v_dual_mov_b32 v16, v1
.LBB51_19:                              ;   in Loop: Header=BB51_3 Depth=1
	s_or_b32 exec_lo, exec_lo, s0
	s_delay_alu instid0(VALU_DEP_1) | instskip(NEXT) | instid1(VALU_DEP_2)
	v_mul_lo_u32 v2, v16, s46
	v_mul_lo_u32 v19, v15, s47
	v_mad_u64_u32 v[17:18], null, v15, s46, 0
	s_mov_b32 s0, exec_lo
	s_delay_alu instid0(VALU_DEP_1) | instskip(NEXT) | instid1(VALU_DEP_2)
	v_add3_u32 v2, v18, v19, v2
	v_sub_co_u32 v13, vcc_lo, v13, v17
	v_mul_lo_u32 v18, v16, s24
	v_mul_lo_u32 v17, v15, s25
	s_delay_alu instid0(VALU_DEP_4) | instskip(NEXT) | instid1(VALU_DEP_4)
	v_sub_co_ci_u32_e32 v2, vcc_lo, v14, v2, vcc_lo
	v_add_co_u32 v19, vcc_lo, v3, v13
	v_mad_u64_u32 v[13:14], null, v15, s24, 0
	s_delay_alu instid0(VALU_DEP_3) | instskip(NEXT) | instid1(VALU_DEP_3)
	v_add_co_ci_u32_e32 v2, vcc_lo, v4, v2, vcc_lo
	v_mul_lo_u32 v20, v19, s27
	v_mad_u64_u32 v[15:16], null, v19, s26, 0
	s_delay_alu instid0(VALU_DEP_3) | instskip(SKIP_1) | instid1(VALU_DEP_1)
	v_mul_lo_u32 v2, v2, s26
	v_add3_u32 v14, v14, v17, v18
	v_lshlrev_b64 v[13:14], 3, v[13:14]
	s_delay_alu instid0(VALU_DEP_3) | instskip(NEXT) | instid1(VALU_DEP_2)
	v_add3_u32 v16, v16, v20, v2
	v_add_co_u32 v2, vcc_lo, s44, v13
	s_delay_alu instid0(VALU_DEP_2) | instskip(NEXT) | instid1(VALU_DEP_4)
	v_lshlrev_b64 v[15:16], 3, v[15:16]
	v_add_co_ci_u32_e32 v14, vcc_lo, s45, v14, vcc_lo
	s_delay_alu instid0(VALU_DEP_2) | instskip(NEXT) | instid1(VALU_DEP_2)
	v_add_co_u32 v13, vcc_lo, v2, v15
	v_add_co_ci_u32_e32 v14, vcc_lo, v14, v16, vcc_lo
	v_add_co_u32 v2, vcc_lo, v11, 3
	global_load_b64 v[15:16], v[13:14], off
	v_add_co_ci_u32_e32 v13, vcc_lo, 0, v12, vcc_lo
	v_mul_lo_u32 v17, s5, v2
	s_delay_alu instid0(VALU_DEP_2) | instskip(SKIP_1) | instid1(VALU_DEP_1)
	v_mul_lo_u32 v18, s4, v13
	v_mad_u64_u32 v[13:14], null, s4, v2, 0
	v_add3_u32 v14, v14, v18, v17
	s_delay_alu instid0(VALU_DEP_2) | instskip(NEXT) | instid1(VALU_DEP_2)
	v_add_co_u32 v19, vcc_lo, v3, v13
                                        ; implicit-def: $vgpr17_vgpr18
	v_add_co_ci_u32_e32 v20, vcc_lo, v4, v14, vcc_lo
	s_delay_alu instid0(VALU_DEP_1) | instskip(NEXT) | instid1(VALU_DEP_1)
	v_or_b32_e32 v2, s47, v20
	v_cmpx_ne_u64_e32 0, v[1:2]
	s_xor_b32 s53, exec_lo, s0
	s_cbranch_execz .LBB51_21
; %bb.20:                               ;   in Loop: Header=BB51_3 Depth=1
	s_ashr_i32 s54, s47, 31
	s_delay_alu instid0(SALU_CYCLE_1) | instskip(SKIP_2) | instid1(SALU_CYCLE_1)
	s_add_u32 s56, s46, s54
	s_mov_b32 s55, s54
	s_addc_u32 s57, s47, s54
	s_xor_b64 s[56:57], s[56:57], s[54:55]
	s_delay_alu instid0(SALU_CYCLE_1) | instskip(SKIP_3) | instid1(VALU_DEP_1)
	v_cvt_f32_u32_e32 v2, s56
	v_cvt_f32_u32_e32 v17, s57
	s_sub_u32 s0, 0, s56
	s_subb_u32 s55, 0, s57
	v_fmac_f32_e32 v2, 0x4f800000, v17
	s_delay_alu instid0(VALU_DEP_1) | instskip(SKIP_2) | instid1(VALU_DEP_1)
	v_rcp_f32_e32 v2, v2
	s_waitcnt_depctr 0xfff
	v_mul_f32_e32 v2, 0x5f7ffffc, v2
	v_mul_f32_e32 v17, 0x2f800000, v2
	s_delay_alu instid0(VALU_DEP_1) | instskip(NEXT) | instid1(VALU_DEP_1)
	v_trunc_f32_e32 v17, v17
	v_fmac_f32_e32 v2, 0xcf800000, v17
	v_cvt_u32_f32_e32 v17, v17
	s_delay_alu instid0(VALU_DEP_2) | instskip(NEXT) | instid1(VALU_DEP_2)
	v_cvt_u32_f32_e32 v2, v2
	v_mul_lo_u32 v18, s0, v17
	s_delay_alu instid0(VALU_DEP_2) | instskip(SKIP_1) | instid1(VALU_DEP_2)
	v_mul_hi_u32 v22, s0, v2
	v_mul_lo_u32 v23, s55, v2
	v_add_nc_u32_e32 v18, v22, v18
	v_mul_lo_u32 v22, s0, v2
	s_delay_alu instid0(VALU_DEP_2) | instskip(NEXT) | instid1(VALU_DEP_2)
	v_add_nc_u32_e32 v18, v18, v23
	v_mul_hi_u32 v23, v2, v22
	s_delay_alu instid0(VALU_DEP_2)
	v_mul_lo_u32 v24, v2, v18
	v_mul_hi_u32 v25, v2, v18
	v_mul_hi_u32 v26, v17, v22
	v_mul_lo_u32 v22, v17, v22
	v_mul_hi_u32 v27, v17, v18
	v_mul_lo_u32 v18, v17, v18
	v_add_co_u32 v23, vcc_lo, v23, v24
	v_add_co_ci_u32_e32 v24, vcc_lo, 0, v25, vcc_lo
	s_delay_alu instid0(VALU_DEP_2) | instskip(NEXT) | instid1(VALU_DEP_2)
	v_add_co_u32 v22, vcc_lo, v23, v22
	v_add_co_ci_u32_e32 v22, vcc_lo, v24, v26, vcc_lo
	v_add_co_ci_u32_e32 v23, vcc_lo, 0, v27, vcc_lo
	v_ashrrev_i32_e32 v26, 31, v20
	s_delay_alu instid0(VALU_DEP_3) | instskip(NEXT) | instid1(VALU_DEP_3)
	v_add_co_u32 v18, vcc_lo, v22, v18
	v_add_co_ci_u32_e32 v22, vcc_lo, 0, v23, vcc_lo
	s_delay_alu instid0(VALU_DEP_2) | instskip(NEXT) | instid1(VALU_DEP_2)
	v_add_co_u32 v2, vcc_lo, v2, v18
	v_add_co_ci_u32_e32 v17, vcc_lo, v17, v22, vcc_lo
	s_delay_alu instid0(VALU_DEP_2) | instskip(SKIP_1) | instid1(VALU_DEP_3)
	v_mul_hi_u32 v18, s0, v2
	v_mul_lo_u32 v23, s55, v2
	v_mul_lo_u32 v22, s0, v17
	s_delay_alu instid0(VALU_DEP_1) | instskip(SKIP_1) | instid1(VALU_DEP_2)
	v_add_nc_u32_e32 v18, v18, v22
	v_mul_lo_u32 v22, s0, v2
	v_add_nc_u32_e32 v18, v18, v23
	s_delay_alu instid0(VALU_DEP_2) | instskip(NEXT) | instid1(VALU_DEP_2)
	v_mul_hi_u32 v23, v2, v22
	v_mul_lo_u32 v24, v2, v18
	v_mul_hi_u32 v25, v2, v18
	v_mul_hi_u32 v27, v17, v22
	v_mul_lo_u32 v22, v17, v22
	v_mul_hi_u32 v28, v17, v18
	v_mul_lo_u32 v18, v17, v18
	v_add_co_u32 v23, vcc_lo, v23, v24
	v_add_co_ci_u32_e32 v24, vcc_lo, 0, v25, vcc_lo
	s_delay_alu instid0(VALU_DEP_2) | instskip(NEXT) | instid1(VALU_DEP_2)
	v_add_co_u32 v22, vcc_lo, v23, v22
	v_add_co_ci_u32_e32 v22, vcc_lo, v24, v27, vcc_lo
	v_add_co_ci_u32_e32 v23, vcc_lo, 0, v28, vcc_lo
	v_add_co_u32 v19, vcc_lo, v19, v26
	v_add_co_ci_u32_e32 v20, vcc_lo, v20, v26, vcc_lo
	s_delay_alu instid0(VALU_DEP_4) | instskip(NEXT) | instid1(VALU_DEP_4)
	v_add_co_u32 v18, vcc_lo, v22, v18
	v_add_co_ci_u32_e32 v22, vcc_lo, 0, v23, vcc_lo
	s_delay_alu instid0(VALU_DEP_4) | instskip(NEXT) | instid1(VALU_DEP_3)
	v_xor_b32_e32 v24, v19, v26
	v_add_co_u32 v2, vcc_lo, v2, v18
	s_delay_alu instid0(VALU_DEP_3) | instskip(SKIP_1) | instid1(VALU_DEP_3)
	v_add_co_ci_u32_e32 v25, vcc_lo, v17, v22, vcc_lo
	v_xor_b32_e32 v27, v20, v26
	v_mul_hi_u32 v28, v24, v2
	s_delay_alu instid0(VALU_DEP_3) | instskip(NEXT) | instid1(VALU_DEP_3)
	v_mad_u64_u32 v[17:18], null, v24, v25, 0
	v_mad_u64_u32 v[19:20], null, v27, v2, 0
	;; [unrolled: 1-line block ×3, first 2 shown]
	s_delay_alu instid0(VALU_DEP_3) | instskip(NEXT) | instid1(VALU_DEP_4)
	v_add_co_u32 v2, vcc_lo, v28, v17
	v_add_co_ci_u32_e32 v17, vcc_lo, 0, v18, vcc_lo
	s_delay_alu instid0(VALU_DEP_2) | instskip(NEXT) | instid1(VALU_DEP_2)
	v_add_co_u32 v2, vcc_lo, v2, v19
	v_add_co_ci_u32_e32 v2, vcc_lo, v17, v20, vcc_lo
	v_add_co_ci_u32_e32 v17, vcc_lo, 0, v23, vcc_lo
	s_delay_alu instid0(VALU_DEP_2) | instskip(NEXT) | instid1(VALU_DEP_2)
	v_add_co_u32 v2, vcc_lo, v2, v22
	v_add_co_ci_u32_e32 v19, vcc_lo, 0, v17, vcc_lo
	s_delay_alu instid0(VALU_DEP_2) | instskip(SKIP_1) | instid1(VALU_DEP_3)
	v_mul_lo_u32 v20, s57, v2
	v_mad_u64_u32 v[17:18], null, s56, v2, 0
	v_mul_lo_u32 v22, s56, v19
	s_delay_alu instid0(VALU_DEP_2) | instskip(NEXT) | instid1(VALU_DEP_2)
	v_sub_co_u32 v17, vcc_lo, v24, v17
	v_add3_u32 v18, v18, v22, v20
	s_delay_alu instid0(VALU_DEP_1) | instskip(NEXT) | instid1(VALU_DEP_1)
	v_sub_nc_u32_e32 v20, v27, v18
	v_subrev_co_ci_u32_e64 v20, s0, s57, v20, vcc_lo
	v_add_co_u32 v22, s0, v2, 2
	s_delay_alu instid0(VALU_DEP_1) | instskip(SKIP_3) | instid1(VALU_DEP_3)
	v_add_co_ci_u32_e64 v23, s0, 0, v19, s0
	v_sub_co_u32 v24, s0, v17, s56
	v_sub_co_ci_u32_e32 v18, vcc_lo, v27, v18, vcc_lo
	v_subrev_co_ci_u32_e64 v20, s0, 0, v20, s0
	v_cmp_le_u32_e32 vcc_lo, s56, v24
	s_delay_alu instid0(VALU_DEP_3) | instskip(SKIP_1) | instid1(VALU_DEP_4)
	v_cmp_eq_u32_e64 s0, s57, v18
	v_cndmask_b32_e64 v24, 0, -1, vcc_lo
	v_cmp_le_u32_e32 vcc_lo, s57, v20
	v_cndmask_b32_e64 v25, 0, -1, vcc_lo
	v_cmp_le_u32_e32 vcc_lo, s56, v17
	;; [unrolled: 2-line block ×3, first 2 shown]
	v_cndmask_b32_e64 v27, 0, -1, vcc_lo
	v_cmp_eq_u32_e32 vcc_lo, s57, v20
	s_delay_alu instid0(VALU_DEP_2) | instskip(SKIP_3) | instid1(VALU_DEP_3)
	v_cndmask_b32_e64 v17, v27, v17, s0
	v_cndmask_b32_e32 v20, v25, v24, vcc_lo
	v_add_co_u32 v24, vcc_lo, v2, 1
	v_add_co_ci_u32_e32 v25, vcc_lo, 0, v19, vcc_lo
	v_cmp_ne_u32_e32 vcc_lo, 0, v20
	s_delay_alu instid0(VALU_DEP_2) | instskip(NEXT) | instid1(VALU_DEP_4)
	v_cndmask_b32_e32 v18, v25, v23, vcc_lo
	v_cndmask_b32_e32 v20, v24, v22, vcc_lo
	v_cmp_ne_u32_e32 vcc_lo, 0, v17
	v_xor_b32_e32 v22, s54, v26
	s_delay_alu instid0(VALU_DEP_3) | instskip(NEXT) | instid1(VALU_DEP_1)
	v_dual_cndmask_b32 v2, v2, v20 :: v_dual_cndmask_b32 v17, v19, v18
                                        ; implicit-def: $vgpr19
	v_xor_b32_e32 v2, v2, v22
	s_delay_alu instid0(VALU_DEP_2) | instskip(NEXT) | instid1(VALU_DEP_2)
	v_xor_b32_e32 v18, v17, v22
	v_sub_co_u32 v17, vcc_lo, v2, v22
	s_delay_alu instid0(VALU_DEP_2)
	v_sub_co_ci_u32_e32 v18, vcc_lo, v18, v22, vcc_lo
.LBB51_21:                              ;   in Loop: Header=BB51_3 Depth=1
	s_and_not1_saveexec_b32 s0, s53
	s_cbranch_execz .LBB51_23
; %bb.22:                               ;   in Loop: Header=BB51_3 Depth=1
	v_rcp_iflag_f32_e32 v2, v21
	s_sub_i32 s53, 0, s46
	s_waitcnt_depctr 0xfff
	v_mul_f32_e32 v2, 0x4f7ffffe, v2
	s_delay_alu instid0(VALU_DEP_1) | instskip(NEXT) | instid1(VALU_DEP_1)
	v_cvt_u32_f32_e32 v2, v2
	v_mul_lo_u32 v17, s53, v2
	s_delay_alu instid0(VALU_DEP_1) | instskip(NEXT) | instid1(VALU_DEP_1)
	v_mul_hi_u32 v17, v2, v17
	v_add_nc_u32_e32 v2, v2, v17
	s_delay_alu instid0(VALU_DEP_1) | instskip(NEXT) | instid1(VALU_DEP_1)
	v_mul_hi_u32 v2, v19, v2
	v_mul_lo_u32 v17, v2, s46
	v_add_nc_u32_e32 v18, 1, v2
	s_delay_alu instid0(VALU_DEP_2) | instskip(NEXT) | instid1(VALU_DEP_1)
	v_sub_nc_u32_e32 v17, v19, v17
	v_subrev_nc_u32_e32 v19, s46, v17
	v_cmp_le_u32_e32 vcc_lo, s46, v17
	s_delay_alu instid0(VALU_DEP_2) | instskip(NEXT) | instid1(VALU_DEP_1)
	v_dual_cndmask_b32 v17, v17, v19 :: v_dual_cndmask_b32 v2, v2, v18
	v_cmp_le_u32_e32 vcc_lo, s46, v17
	s_delay_alu instid0(VALU_DEP_2) | instskip(NEXT) | instid1(VALU_DEP_1)
	v_add_nc_u32_e32 v18, 1, v2
	v_dual_cndmask_b32 v17, v2, v18 :: v_dual_mov_b32 v18, v1
.LBB51_23:                              ;   in Loop: Header=BB51_3 Depth=1
	s_or_b32 exec_lo, exec_lo, s0
	s_delay_alu instid0(VALU_DEP_1) | instskip(NEXT) | instid1(VALU_DEP_2)
	v_mul_lo_u32 v2, v18, s46
	v_mul_lo_u32 v22, v17, s47
	v_mad_u64_u32 v[19:20], null, v17, s46, 0
	s_mov_b32 s0, exec_lo
	s_delay_alu instid0(VALU_DEP_1) | instskip(NEXT) | instid1(VALU_DEP_2)
	v_add3_u32 v2, v20, v22, v2
	v_sub_co_u32 v13, vcc_lo, v13, v19
	v_mul_lo_u32 v20, v18, s24
	v_mul_lo_u32 v19, v17, s25
	s_delay_alu instid0(VALU_DEP_4) | instskip(NEXT) | instid1(VALU_DEP_4)
	v_sub_co_ci_u32_e32 v2, vcc_lo, v14, v2, vcc_lo
	v_add_co_u32 v22, vcc_lo, v3, v13
	v_mad_u64_u32 v[13:14], null, v17, s24, 0
	s_delay_alu instid0(VALU_DEP_3) | instskip(NEXT) | instid1(VALU_DEP_3)
	v_add_co_ci_u32_e32 v2, vcc_lo, v4, v2, vcc_lo
	v_mul_lo_u32 v23, v22, s27
	v_mad_u64_u32 v[17:18], null, v22, s26, 0
	s_delay_alu instid0(VALU_DEP_3) | instskip(SKIP_1) | instid1(VALU_DEP_1)
	v_mul_lo_u32 v2, v2, s26
	v_add3_u32 v14, v14, v19, v20
	v_lshlrev_b64 v[13:14], 3, v[13:14]
	s_delay_alu instid0(VALU_DEP_3) | instskip(NEXT) | instid1(VALU_DEP_2)
	v_add3_u32 v18, v18, v23, v2
	v_add_co_u32 v2, vcc_lo, s44, v13
	s_delay_alu instid0(VALU_DEP_2) | instskip(NEXT) | instid1(VALU_DEP_4)
	v_lshlrev_b64 v[17:18], 3, v[17:18]
	v_add_co_ci_u32_e32 v14, vcc_lo, s45, v14, vcc_lo
	s_delay_alu instid0(VALU_DEP_2) | instskip(NEXT) | instid1(VALU_DEP_2)
	v_add_co_u32 v13, vcc_lo, v2, v17
	v_add_co_ci_u32_e32 v14, vcc_lo, v14, v18, vcc_lo
	v_add_co_u32 v2, vcc_lo, v11, 4
	v_add_co_ci_u32_e32 v11, vcc_lo, 0, v12, vcc_lo
	global_load_b64 v[19:20], v[13:14], off
	v_mul_lo_u32 v13, s5, v2
	v_mul_lo_u32 v14, s4, v11
	v_mad_u64_u32 v[11:12], null, s4, v2, 0
	s_delay_alu instid0(VALU_DEP_1) | instskip(NEXT) | instid1(VALU_DEP_2)
	v_add3_u32 v12, v12, v14, v13
	v_add_co_u32 v17, vcc_lo, v3, v11
                                        ; implicit-def: $vgpr13_vgpr14
	s_delay_alu instid0(VALU_DEP_2) | instskip(NEXT) | instid1(VALU_DEP_1)
	v_add_co_ci_u32_e32 v18, vcc_lo, v4, v12, vcc_lo
	v_or_b32_e32 v2, s47, v18
	s_delay_alu instid0(VALU_DEP_1)
	v_cmpx_ne_u64_e32 0, v[1:2]
	s_xor_b32 s53, exec_lo, s0
	s_cbranch_execz .LBB51_25
; %bb.24:                               ;   in Loop: Header=BB51_3 Depth=1
	s_ashr_i32 s54, s47, 31
	s_delay_alu instid0(SALU_CYCLE_1) | instskip(SKIP_2) | instid1(SALU_CYCLE_1)
	s_add_u32 s56, s46, s54
	s_mov_b32 s55, s54
	s_addc_u32 s57, s47, s54
	s_xor_b64 s[56:57], s[56:57], s[54:55]
	s_delay_alu instid0(SALU_CYCLE_1) | instskip(SKIP_3) | instid1(VALU_DEP_1)
	v_cvt_f32_u32_e32 v2, s56
	v_cvt_f32_u32_e32 v13, s57
	s_sub_u32 s0, 0, s56
	s_subb_u32 s55, 0, s57
	v_fmac_f32_e32 v2, 0x4f800000, v13
	s_delay_alu instid0(VALU_DEP_1) | instskip(SKIP_2) | instid1(VALU_DEP_1)
	v_rcp_f32_e32 v2, v2
	s_waitcnt_depctr 0xfff
	v_mul_f32_e32 v2, 0x5f7ffffc, v2
	v_mul_f32_e32 v13, 0x2f800000, v2
	s_delay_alu instid0(VALU_DEP_1) | instskip(NEXT) | instid1(VALU_DEP_1)
	v_trunc_f32_e32 v13, v13
	v_fmac_f32_e32 v2, 0xcf800000, v13
	v_cvt_u32_f32_e32 v13, v13
	s_delay_alu instid0(VALU_DEP_2) | instskip(NEXT) | instid1(VALU_DEP_2)
	v_cvt_u32_f32_e32 v2, v2
	v_mul_lo_u32 v14, s0, v13
	s_delay_alu instid0(VALU_DEP_2) | instskip(SKIP_1) | instid1(VALU_DEP_2)
	v_mul_hi_u32 v21, s0, v2
	v_mul_lo_u32 v22, s55, v2
	v_add_nc_u32_e32 v14, v21, v14
	v_mul_lo_u32 v21, s0, v2
	s_delay_alu instid0(VALU_DEP_2) | instskip(NEXT) | instid1(VALU_DEP_2)
	v_add_nc_u32_e32 v14, v14, v22
	v_mul_hi_u32 v22, v2, v21
	s_delay_alu instid0(VALU_DEP_2)
	v_mul_lo_u32 v23, v2, v14
	v_mul_hi_u32 v24, v2, v14
	v_mul_hi_u32 v25, v13, v21
	v_mul_lo_u32 v21, v13, v21
	v_mul_hi_u32 v26, v13, v14
	v_mul_lo_u32 v14, v13, v14
	v_add_co_u32 v22, vcc_lo, v22, v23
	v_add_co_ci_u32_e32 v23, vcc_lo, 0, v24, vcc_lo
	s_delay_alu instid0(VALU_DEP_2) | instskip(NEXT) | instid1(VALU_DEP_2)
	v_add_co_u32 v21, vcc_lo, v22, v21
	v_add_co_ci_u32_e32 v21, vcc_lo, v23, v25, vcc_lo
	v_add_co_ci_u32_e32 v22, vcc_lo, 0, v26, vcc_lo
	v_ashrrev_i32_e32 v25, 31, v18
	s_delay_alu instid0(VALU_DEP_3) | instskip(NEXT) | instid1(VALU_DEP_3)
	v_add_co_u32 v14, vcc_lo, v21, v14
	v_add_co_ci_u32_e32 v21, vcc_lo, 0, v22, vcc_lo
	s_delay_alu instid0(VALU_DEP_2) | instskip(NEXT) | instid1(VALU_DEP_2)
	v_add_co_u32 v2, vcc_lo, v2, v14
	v_add_co_ci_u32_e32 v13, vcc_lo, v13, v21, vcc_lo
	s_delay_alu instid0(VALU_DEP_2) | instskip(SKIP_1) | instid1(VALU_DEP_3)
	v_mul_hi_u32 v14, s0, v2
	v_mul_lo_u32 v22, s55, v2
	v_mul_lo_u32 v21, s0, v13
	s_delay_alu instid0(VALU_DEP_1) | instskip(SKIP_1) | instid1(VALU_DEP_2)
	v_add_nc_u32_e32 v14, v14, v21
	v_mul_lo_u32 v21, s0, v2
	v_add_nc_u32_e32 v14, v14, v22
	s_delay_alu instid0(VALU_DEP_2) | instskip(NEXT) | instid1(VALU_DEP_2)
	v_mul_hi_u32 v22, v2, v21
	v_mul_lo_u32 v23, v2, v14
	v_mul_hi_u32 v24, v2, v14
	v_mul_hi_u32 v26, v13, v21
	v_mul_lo_u32 v21, v13, v21
	v_mul_hi_u32 v27, v13, v14
	v_mul_lo_u32 v14, v13, v14
	v_add_co_u32 v22, vcc_lo, v22, v23
	v_add_co_ci_u32_e32 v23, vcc_lo, 0, v24, vcc_lo
	s_delay_alu instid0(VALU_DEP_2) | instskip(NEXT) | instid1(VALU_DEP_2)
	v_add_co_u32 v21, vcc_lo, v22, v21
	v_add_co_ci_u32_e32 v21, vcc_lo, v23, v26, vcc_lo
	v_add_co_ci_u32_e32 v22, vcc_lo, 0, v27, vcc_lo
	v_add_co_u32 v17, vcc_lo, v17, v25
	v_add_co_ci_u32_e32 v18, vcc_lo, v18, v25, vcc_lo
	s_delay_alu instid0(VALU_DEP_4) | instskip(NEXT) | instid1(VALU_DEP_4)
	v_add_co_u32 v14, vcc_lo, v21, v14
	v_add_co_ci_u32_e32 v21, vcc_lo, 0, v22, vcc_lo
	s_delay_alu instid0(VALU_DEP_4) | instskip(NEXT) | instid1(VALU_DEP_3)
	v_xor_b32_e32 v23, v17, v25
	v_add_co_u32 v2, vcc_lo, v2, v14
	s_delay_alu instid0(VALU_DEP_3) | instskip(SKIP_1) | instid1(VALU_DEP_3)
	v_add_co_ci_u32_e32 v24, vcc_lo, v13, v21, vcc_lo
	v_xor_b32_e32 v26, v18, v25
	v_mul_hi_u32 v27, v23, v2
	s_delay_alu instid0(VALU_DEP_3) | instskip(NEXT) | instid1(VALU_DEP_3)
	v_mad_u64_u32 v[13:14], null, v23, v24, 0
	v_mad_u64_u32 v[17:18], null, v26, v2, 0
	;; [unrolled: 1-line block ×3, first 2 shown]
	s_delay_alu instid0(VALU_DEP_3) | instskip(NEXT) | instid1(VALU_DEP_4)
	v_add_co_u32 v2, vcc_lo, v27, v13
	v_add_co_ci_u32_e32 v13, vcc_lo, 0, v14, vcc_lo
	s_delay_alu instid0(VALU_DEP_2) | instskip(NEXT) | instid1(VALU_DEP_2)
	v_add_co_u32 v2, vcc_lo, v2, v17
	v_add_co_ci_u32_e32 v2, vcc_lo, v13, v18, vcc_lo
	v_add_co_ci_u32_e32 v13, vcc_lo, 0, v22, vcc_lo
	s_delay_alu instid0(VALU_DEP_2) | instskip(NEXT) | instid1(VALU_DEP_2)
	v_add_co_u32 v2, vcc_lo, v2, v21
	v_add_co_ci_u32_e32 v17, vcc_lo, 0, v13, vcc_lo
	s_delay_alu instid0(VALU_DEP_2) | instskip(SKIP_1) | instid1(VALU_DEP_3)
	v_mul_lo_u32 v18, s57, v2
	v_mad_u64_u32 v[13:14], null, s56, v2, 0
	v_mul_lo_u32 v21, s56, v17
	s_delay_alu instid0(VALU_DEP_2) | instskip(NEXT) | instid1(VALU_DEP_2)
	v_sub_co_u32 v13, vcc_lo, v23, v13
	v_add3_u32 v14, v14, v21, v18
	s_delay_alu instid0(VALU_DEP_1) | instskip(NEXT) | instid1(VALU_DEP_1)
	v_sub_nc_u32_e32 v18, v26, v14
	v_subrev_co_ci_u32_e64 v18, s0, s57, v18, vcc_lo
	v_add_co_u32 v21, s0, v2, 2
	s_delay_alu instid0(VALU_DEP_1) | instskip(SKIP_3) | instid1(VALU_DEP_3)
	v_add_co_ci_u32_e64 v22, s0, 0, v17, s0
	v_sub_co_u32 v23, s0, v13, s56
	v_sub_co_ci_u32_e32 v14, vcc_lo, v26, v14, vcc_lo
	v_subrev_co_ci_u32_e64 v18, s0, 0, v18, s0
	v_cmp_le_u32_e32 vcc_lo, s56, v23
	s_delay_alu instid0(VALU_DEP_3) | instskip(SKIP_1) | instid1(VALU_DEP_4)
	v_cmp_eq_u32_e64 s0, s57, v14
	v_cndmask_b32_e64 v23, 0, -1, vcc_lo
	v_cmp_le_u32_e32 vcc_lo, s57, v18
	v_cndmask_b32_e64 v24, 0, -1, vcc_lo
	v_cmp_le_u32_e32 vcc_lo, s56, v13
	v_cndmask_b32_e64 v13, 0, -1, vcc_lo
	v_cmp_le_u32_e32 vcc_lo, s57, v14
	v_cndmask_b32_e64 v26, 0, -1, vcc_lo
	v_cmp_eq_u32_e32 vcc_lo, s57, v18
	s_delay_alu instid0(VALU_DEP_2) | instskip(SKIP_3) | instid1(VALU_DEP_3)
	v_cndmask_b32_e64 v13, v26, v13, s0
	v_cndmask_b32_e32 v18, v24, v23, vcc_lo
	v_add_co_u32 v23, vcc_lo, v2, 1
	v_add_co_ci_u32_e32 v24, vcc_lo, 0, v17, vcc_lo
	v_cmp_ne_u32_e32 vcc_lo, 0, v18
	s_delay_alu instid0(VALU_DEP_2) | instskip(NEXT) | instid1(VALU_DEP_4)
	v_cndmask_b32_e32 v14, v24, v22, vcc_lo
	v_cndmask_b32_e32 v18, v23, v21, vcc_lo
	v_cmp_ne_u32_e32 vcc_lo, 0, v13
	v_xor_b32_e32 v21, s54, v25
	s_delay_alu instid0(VALU_DEP_3) | instskip(SKIP_1) | instid1(VALU_DEP_2)
	v_cndmask_b32_e32 v2, v2, v18, vcc_lo
	v_cndmask_b32_e32 v13, v17, v14, vcc_lo
                                        ; implicit-def: $vgpr17
	v_xor_b32_e32 v2, v2, v21
	s_delay_alu instid0(VALU_DEP_2) | instskip(NEXT) | instid1(VALU_DEP_2)
	v_xor_b32_e32 v14, v13, v21
	v_sub_co_u32 v13, vcc_lo, v2, v21
	s_delay_alu instid0(VALU_DEP_2)
	v_sub_co_ci_u32_e32 v14, vcc_lo, v14, v21, vcc_lo
                                        ; implicit-def: $vgpr21
.LBB51_25:                              ;   in Loop: Header=BB51_3 Depth=1
	s_and_not1_saveexec_b32 s0, s53
	s_cbranch_execz .LBB51_27
; %bb.26:                               ;   in Loop: Header=BB51_3 Depth=1
	v_rcp_iflag_f32_e32 v2, v21
	s_sub_i32 s53, 0, s46
	s_waitcnt_depctr 0xfff
	v_mul_f32_e32 v2, 0x4f7ffffe, v2
	s_delay_alu instid0(VALU_DEP_1) | instskip(NEXT) | instid1(VALU_DEP_1)
	v_cvt_u32_f32_e32 v2, v2
	v_mul_lo_u32 v13, s53, v2
	s_delay_alu instid0(VALU_DEP_1) | instskip(NEXT) | instid1(VALU_DEP_1)
	v_mul_hi_u32 v13, v2, v13
	v_add_nc_u32_e32 v2, v2, v13
	s_delay_alu instid0(VALU_DEP_1) | instskip(NEXT) | instid1(VALU_DEP_1)
	v_mul_hi_u32 v2, v17, v2
	v_mul_lo_u32 v13, v2, s46
	v_add_nc_u32_e32 v14, 1, v2
	s_delay_alu instid0(VALU_DEP_2) | instskip(NEXT) | instid1(VALU_DEP_1)
	v_sub_nc_u32_e32 v13, v17, v13
	v_subrev_nc_u32_e32 v17, s46, v13
	v_cmp_le_u32_e32 vcc_lo, s46, v13
	s_delay_alu instid0(VALU_DEP_2) | instskip(NEXT) | instid1(VALU_DEP_1)
	v_dual_cndmask_b32 v13, v13, v17 :: v_dual_cndmask_b32 v2, v2, v14
	v_cmp_le_u32_e32 vcc_lo, s46, v13
	s_delay_alu instid0(VALU_DEP_2) | instskip(NEXT) | instid1(VALU_DEP_1)
	v_add_nc_u32_e32 v14, 1, v2
	v_dual_cndmask_b32 v13, v2, v14 :: v_dual_mov_b32 v14, v1
.LBB51_27:                              ;   in Loop: Header=BB51_3 Depth=1
	s_or_b32 exec_lo, exec_lo, s0
	s_delay_alu instid0(VALU_DEP_1) | instskip(NEXT) | instid1(VALU_DEP_2)
	v_mul_lo_u32 v2, v14, s46
	v_mul_lo_u32 v21, v13, s47
	v_mad_u64_u32 v[17:18], null, v13, s46, 0
	s_mov_b32 s0, exec_lo
	s_delay_alu instid0(VALU_DEP_1) | instskip(NEXT) | instid1(VALU_DEP_2)
	v_add3_u32 v2, v18, v21, v2
	v_sub_co_u32 v11, vcc_lo, v11, v17
	v_mul_lo_u32 v18, v14, s24
	v_mul_lo_u32 v17, v13, s25
	s_delay_alu instid0(VALU_DEP_4) | instskip(NEXT) | instid1(VALU_DEP_4)
	v_sub_co_ci_u32_e32 v2, vcc_lo, v12, v2, vcc_lo
	v_add_co_u32 v21, vcc_lo, v3, v11
	v_mad_u64_u32 v[11:12], null, v13, s24, 0
	s_delay_alu instid0(VALU_DEP_3) | instskip(NEXT) | instid1(VALU_DEP_3)
	v_add_co_ci_u32_e32 v2, vcc_lo, v4, v2, vcc_lo
	v_mul_lo_u32 v22, v21, s27
	v_mad_u64_u32 v[13:14], null, v21, s26, 0
	s_delay_alu instid0(VALU_DEP_3) | instskip(SKIP_1) | instid1(VALU_DEP_1)
	v_mul_lo_u32 v2, v2, s26
	v_add3_u32 v12, v12, v17, v18
	v_lshlrev_b64 v[11:12], 3, v[11:12]
	s_delay_alu instid0(VALU_DEP_3) | instskip(NEXT) | instid1(VALU_DEP_2)
	v_add3_u32 v14, v14, v22, v2
	v_add_co_u32 v2, vcc_lo, s44, v11
	s_delay_alu instid0(VALU_DEP_2) | instskip(NEXT) | instid1(VALU_DEP_4)
	v_lshlrev_b64 v[13:14], 3, v[13:14]
	v_add_co_ci_u32_e32 v12, vcc_lo, s45, v12, vcc_lo
	s_delay_alu instid0(VALU_DEP_2) | instskip(NEXT) | instid1(VALU_DEP_2)
	v_add_co_u32 v11, vcc_lo, v2, v13
	v_add_co_ci_u32_e32 v12, vcc_lo, v12, v14, vcc_lo
	v_or_b32_e32 v2, s39, v4
	global_load_b64 v[21:22], v[11:12], off
                                        ; implicit-def: $vgpr11_vgpr12
	v_cmpx_ne_u64_e32 0, v[1:2]
	s_xor_b32 s53, exec_lo, s0
	s_cbranch_execz .LBB51_29
; %bb.28:                               ;   in Loop: Header=BB51_3 Depth=1
	s_ashr_i32 s54, s39, 31
	s_delay_alu instid0(SALU_CYCLE_1) | instskip(SKIP_2) | instid1(SALU_CYCLE_1)
	s_add_u32 s56, s38, s54
	s_mov_b32 s55, s54
	s_addc_u32 s57, s39, s54
	s_xor_b64 s[56:57], s[56:57], s[54:55]
	s_delay_alu instid0(SALU_CYCLE_1) | instskip(SKIP_3) | instid1(VALU_DEP_1)
	v_cvt_f32_u32_e32 v2, s56
	v_cvt_f32_u32_e32 v11, s57
	s_sub_u32 s0, 0, s56
	s_subb_u32 s55, 0, s57
	v_fmac_f32_e32 v2, 0x4f800000, v11
	s_delay_alu instid0(VALU_DEP_1) | instskip(SKIP_2) | instid1(VALU_DEP_1)
	v_rcp_f32_e32 v2, v2
	s_waitcnt_depctr 0xfff
	v_mul_f32_e32 v2, 0x5f7ffffc, v2
	v_mul_f32_e32 v11, 0x2f800000, v2
	s_delay_alu instid0(VALU_DEP_1) | instskip(NEXT) | instid1(VALU_DEP_1)
	v_trunc_f32_e32 v11, v11
	v_fmac_f32_e32 v2, 0xcf800000, v11
	v_cvt_u32_f32_e32 v11, v11
	s_delay_alu instid0(VALU_DEP_2) | instskip(NEXT) | instid1(VALU_DEP_2)
	v_cvt_u32_f32_e32 v2, v2
	v_mul_lo_u32 v12, s0, v11
	s_delay_alu instid0(VALU_DEP_2) | instskip(SKIP_1) | instid1(VALU_DEP_2)
	v_mul_hi_u32 v13, s0, v2
	v_mul_lo_u32 v14, s55, v2
	v_add_nc_u32_e32 v12, v13, v12
	v_mul_lo_u32 v13, s0, v2
	s_delay_alu instid0(VALU_DEP_2) | instskip(NEXT) | instid1(VALU_DEP_2)
	v_add_nc_u32_e32 v12, v12, v14
	v_mul_hi_u32 v14, v2, v13
	s_delay_alu instid0(VALU_DEP_2)
	v_mul_lo_u32 v17, v2, v12
	v_mul_hi_u32 v18, v2, v12
	v_mul_hi_u32 v23, v11, v13
	v_mul_lo_u32 v13, v11, v13
	v_mul_hi_u32 v24, v11, v12
	v_mul_lo_u32 v12, v11, v12
	v_add_co_u32 v14, vcc_lo, v14, v17
	v_add_co_ci_u32_e32 v17, vcc_lo, 0, v18, vcc_lo
	s_delay_alu instid0(VALU_DEP_2) | instskip(NEXT) | instid1(VALU_DEP_2)
	v_add_co_u32 v13, vcc_lo, v14, v13
	v_add_co_ci_u32_e32 v13, vcc_lo, v17, v23, vcc_lo
	v_add_co_ci_u32_e32 v14, vcc_lo, 0, v24, vcc_lo
	s_delay_alu instid0(VALU_DEP_2) | instskip(NEXT) | instid1(VALU_DEP_2)
	v_add_co_u32 v12, vcc_lo, v13, v12
	v_add_co_ci_u32_e32 v13, vcc_lo, 0, v14, vcc_lo
	s_delay_alu instid0(VALU_DEP_2) | instskip(NEXT) | instid1(VALU_DEP_2)
	v_add_co_u32 v2, vcc_lo, v2, v12
	v_add_co_ci_u32_e32 v11, vcc_lo, v11, v13, vcc_lo
	s_delay_alu instid0(VALU_DEP_2) | instskip(SKIP_1) | instid1(VALU_DEP_3)
	v_mul_hi_u32 v12, s0, v2
	v_mul_lo_u32 v14, s55, v2
	v_mul_lo_u32 v13, s0, v11
	s_delay_alu instid0(VALU_DEP_1) | instskip(SKIP_1) | instid1(VALU_DEP_2)
	v_add_nc_u32_e32 v12, v12, v13
	v_mul_lo_u32 v13, s0, v2
	v_add_nc_u32_e32 v12, v12, v14
	s_delay_alu instid0(VALU_DEP_2) | instskip(NEXT) | instid1(VALU_DEP_2)
	v_mul_hi_u32 v14, v2, v13
	v_mul_lo_u32 v17, v2, v12
	v_mul_hi_u32 v18, v2, v12
	v_mul_hi_u32 v23, v11, v13
	v_mul_lo_u32 v13, v11, v13
	v_mul_hi_u32 v24, v11, v12
	v_mul_lo_u32 v12, v11, v12
	v_add_co_u32 v14, vcc_lo, v14, v17
	v_add_co_ci_u32_e32 v17, vcc_lo, 0, v18, vcc_lo
	s_delay_alu instid0(VALU_DEP_2) | instskip(NEXT) | instid1(VALU_DEP_2)
	v_add_co_u32 v13, vcc_lo, v14, v13
	v_add_co_ci_u32_e32 v13, vcc_lo, v17, v23, vcc_lo
	v_add_co_ci_u32_e32 v14, vcc_lo, 0, v24, vcc_lo
	v_add_co_u32 v17, vcc_lo, v3, v29
	v_add_co_ci_u32_e32 v18, vcc_lo, v4, v29, vcc_lo
	s_delay_alu instid0(VALU_DEP_4) | instskip(NEXT) | instid1(VALU_DEP_4)
	v_add_co_u32 v12, vcc_lo, v13, v12
	v_add_co_ci_u32_e32 v13, vcc_lo, 0, v14, vcc_lo
	s_delay_alu instid0(VALU_DEP_4) | instskip(NEXT) | instid1(VALU_DEP_3)
	v_xor_b32_e32 v23, v17, v29
	v_add_co_u32 v2, vcc_lo, v2, v12
	s_delay_alu instid0(VALU_DEP_3) | instskip(SKIP_1) | instid1(VALU_DEP_3)
	v_add_co_ci_u32_e32 v24, vcc_lo, v11, v13, vcc_lo
	v_xor_b32_e32 v25, v18, v29
	v_mul_hi_u32 v26, v23, v2
	s_delay_alu instid0(VALU_DEP_3) | instskip(NEXT) | instid1(VALU_DEP_3)
	v_mad_u64_u32 v[11:12], null, v23, v24, 0
	v_mad_u64_u32 v[13:14], null, v25, v2, 0
	;; [unrolled: 1-line block ×3, first 2 shown]
	s_delay_alu instid0(VALU_DEP_3) | instskip(NEXT) | instid1(VALU_DEP_4)
	v_add_co_u32 v2, vcc_lo, v26, v11
	v_add_co_ci_u32_e32 v11, vcc_lo, 0, v12, vcc_lo
	s_delay_alu instid0(VALU_DEP_2) | instskip(NEXT) | instid1(VALU_DEP_2)
	v_add_co_u32 v2, vcc_lo, v2, v13
	v_add_co_ci_u32_e32 v2, vcc_lo, v11, v14, vcc_lo
	v_add_co_ci_u32_e32 v11, vcc_lo, 0, v18, vcc_lo
	s_delay_alu instid0(VALU_DEP_2) | instskip(NEXT) | instid1(VALU_DEP_2)
	v_add_co_u32 v2, vcc_lo, v2, v17
	v_add_co_ci_u32_e32 v13, vcc_lo, 0, v11, vcc_lo
	s_delay_alu instid0(VALU_DEP_2) | instskip(SKIP_1) | instid1(VALU_DEP_3)
	v_mul_lo_u32 v14, s57, v2
	v_mad_u64_u32 v[11:12], null, s56, v2, 0
	v_mul_lo_u32 v17, s56, v13
	s_delay_alu instid0(VALU_DEP_2) | instskip(NEXT) | instid1(VALU_DEP_2)
	v_sub_co_u32 v11, vcc_lo, v23, v11
	v_add3_u32 v12, v12, v17, v14
	s_delay_alu instid0(VALU_DEP_1) | instskip(NEXT) | instid1(VALU_DEP_1)
	v_sub_nc_u32_e32 v14, v25, v12
	v_subrev_co_ci_u32_e64 v14, s0, s57, v14, vcc_lo
	v_add_co_u32 v17, s0, v2, 2
	s_delay_alu instid0(VALU_DEP_1) | instskip(SKIP_3) | instid1(VALU_DEP_3)
	v_add_co_ci_u32_e64 v18, s0, 0, v13, s0
	v_sub_co_u32 v23, s0, v11, s56
	v_sub_co_ci_u32_e32 v12, vcc_lo, v25, v12, vcc_lo
	v_subrev_co_ci_u32_e64 v14, s0, 0, v14, s0
	v_cmp_le_u32_e32 vcc_lo, s56, v23
	s_delay_alu instid0(VALU_DEP_3) | instskip(SKIP_1) | instid1(VALU_DEP_4)
	v_cmp_eq_u32_e64 s0, s57, v12
	v_cndmask_b32_e64 v23, 0, -1, vcc_lo
	v_cmp_le_u32_e32 vcc_lo, s57, v14
	v_cndmask_b32_e64 v24, 0, -1, vcc_lo
	v_cmp_le_u32_e32 vcc_lo, s56, v11
	v_cndmask_b32_e64 v11, 0, -1, vcc_lo
	v_cmp_le_u32_e32 vcc_lo, s57, v12
	v_cndmask_b32_e64 v25, 0, -1, vcc_lo
	v_cmp_eq_u32_e32 vcc_lo, s57, v14
	s_delay_alu instid0(VALU_DEP_2) | instskip(SKIP_3) | instid1(VALU_DEP_3)
	v_cndmask_b32_e64 v11, v25, v11, s0
	v_cndmask_b32_e32 v14, v24, v23, vcc_lo
	v_add_co_u32 v23, vcc_lo, v2, 1
	v_add_co_ci_u32_e32 v24, vcc_lo, 0, v13, vcc_lo
	v_cmp_ne_u32_e32 vcc_lo, 0, v14
	s_delay_alu instid0(VALU_DEP_2) | instskip(NEXT) | instid1(VALU_DEP_4)
	v_cndmask_b32_e32 v12, v24, v18, vcc_lo
	v_cndmask_b32_e32 v14, v23, v17, vcc_lo
	v_cmp_ne_u32_e32 vcc_lo, 0, v11
	v_xor_b32_e32 v17, s54, v29
	s_delay_alu instid0(VALU_DEP_3) | instskip(NEXT) | instid1(VALU_DEP_1)
	v_dual_cndmask_b32 v2, v2, v14 :: v_dual_cndmask_b32 v11, v13, v12
	v_xor_b32_e32 v2, v2, v17
	s_delay_alu instid0(VALU_DEP_2) | instskip(NEXT) | instid1(VALU_DEP_2)
	v_xor_b32_e32 v12, v11, v17
	v_sub_co_u32 v11, vcc_lo, v2, v17
	s_delay_alu instid0(VALU_DEP_2)
	v_sub_co_ci_u32_e32 v12, vcc_lo, v12, v17, vcc_lo
.LBB51_29:                              ;   in Loop: Header=BB51_3 Depth=1
	s_and_not1_saveexec_b32 s0, s53
	s_cbranch_execz .LBB51_31
; %bb.30:                               ;   in Loop: Header=BB51_3 Depth=1
	v_cvt_f32_u32_e32 v2, s38
	s_sub_i32 s53, 0, s38
	s_delay_alu instid0(VALU_DEP_1) | instskip(SKIP_2) | instid1(VALU_DEP_1)
	v_rcp_iflag_f32_e32 v2, v2
	s_waitcnt_depctr 0xfff
	v_mul_f32_e32 v2, 0x4f7ffffe, v2
	v_cvt_u32_f32_e32 v2, v2
	s_delay_alu instid0(VALU_DEP_1) | instskip(NEXT) | instid1(VALU_DEP_1)
	v_mul_lo_u32 v11, s53, v2
	v_mul_hi_u32 v11, v2, v11
	s_delay_alu instid0(VALU_DEP_1) | instskip(NEXT) | instid1(VALU_DEP_1)
	v_add_nc_u32_e32 v2, v2, v11
	v_mul_hi_u32 v2, v3, v2
	s_delay_alu instid0(VALU_DEP_1) | instskip(SKIP_1) | instid1(VALU_DEP_2)
	v_mul_lo_u32 v11, v2, s38
	v_add_nc_u32_e32 v12, 1, v2
	v_sub_nc_u32_e32 v11, v3, v11
	s_delay_alu instid0(VALU_DEP_1) | instskip(SKIP_1) | instid1(VALU_DEP_2)
	v_subrev_nc_u32_e32 v13, s38, v11
	v_cmp_le_u32_e32 vcc_lo, s38, v11
	v_dual_cndmask_b32 v11, v11, v13 :: v_dual_cndmask_b32 v2, v2, v12
	s_delay_alu instid0(VALU_DEP_1) | instskip(NEXT) | instid1(VALU_DEP_2)
	v_cmp_le_u32_e32 vcc_lo, s38, v11
	v_add_nc_u32_e32 v12, 1, v2
	s_delay_alu instid0(VALU_DEP_1)
	v_dual_cndmask_b32 v11, v2, v12 :: v_dual_mov_b32 v12, v1
.LBB51_31:                              ;   in Loop: Header=BB51_3 Depth=1
	s_or_b32 exec_lo, exec_lo, s0
	s_delay_alu instid0(VALU_DEP_1) | instskip(NEXT) | instid1(VALU_DEP_2)
	v_mad_u64_u32 v[13:14], null, s58, v11, v[3:4]
	v_mul_lo_u32 v2, s58, v12
	v_mul_lo_u32 v17, s59, v11
	;; [unrolled: 1-line block ×4, first 2 shown]
                                        ; implicit-def: $vgpr27_vgpr28
	s_mov_b32 s0, exec_lo
	s_delay_alu instid0(VALU_DEP_3) | instskip(SKIP_3) | instid1(VALU_DEP_4)
	v_add3_u32 v2, v17, v14, v2
	v_mad_u64_u32 v[17:18], null, v11, s16, 0
	v_mul_lo_u32 v14, v13, s19
	v_mad_u64_u32 v[11:12], null, v13, s18, 0
	v_mul_lo_u32 v2, v2, s18
	s_delay_alu instid0(VALU_DEP_4) | instskip(NEXT) | instid1(VALU_DEP_2)
	v_add3_u32 v18, v18, v24, v23
	v_add3_u32 v12, v12, v14, v2
	s_delay_alu instid0(VALU_DEP_2) | instskip(SKIP_1) | instid1(VALU_DEP_3)
	v_lshlrev_b64 v[13:14], 3, v[17:18]
	v_mad_u64_u32 v[17:18], null, s50, v9, 0
	v_lshlrev_b64 v[11:12], 3, v[11:12]
	s_delay_alu instid0(VALU_DEP_3) | instskip(NEXT) | instid1(VALU_DEP_4)
	v_add_co_u32 v2, vcc_lo, s36, v13
	v_add_co_ci_u32_e32 v13, vcc_lo, s37, v14, vcc_lo
	s_delay_alu instid0(VALU_DEP_2) | instskip(NEXT) | instid1(VALU_DEP_2)
	v_add_co_u32 v11, vcc_lo, v2, v11
	v_add_co_ci_u32_e32 v12, vcc_lo, v13, v12, vcc_lo
	v_mul_lo_u32 v2, s51, v9
	v_mul_lo_u32 v13, s50, v10
	v_add_co_u32 v32, vcc_lo, v3, v17
	global_load_b64 v[11:12], v[11:12], off
	v_add3_u32 v18, v18, v13, v2
	s_delay_alu instid0(VALU_DEP_1) | instskip(NEXT) | instid1(VALU_DEP_1)
	v_add_co_ci_u32_e32 v34, vcc_lo, v4, v18, vcc_lo
	v_or_b32_e32 v2, s29, v34
	v_ashrrev_i32_e32 v30, 31, v34
	s_delay_alu instid0(VALU_DEP_2)
	v_cmpx_ne_u64_e32 0, v[1:2]
	s_xor_b32 s53, exec_lo, s0
	s_cbranch_execz .LBB51_33
; %bb.32:                               ;   in Loop: Header=BB51_3 Depth=1
	s_ashr_i32 s54, s29, 31
	s_delay_alu instid0(SALU_CYCLE_1) | instskip(SKIP_2) | instid1(SALU_CYCLE_1)
	s_add_u32 s56, s28, s54
	s_mov_b32 s55, s54
	s_addc_u32 s57, s29, s54
	s_xor_b64 s[56:57], s[56:57], s[54:55]
	s_delay_alu instid0(SALU_CYCLE_1) | instskip(SKIP_3) | instid1(VALU_DEP_1)
	v_cvt_f32_u32_e32 v2, s56
	v_cvt_f32_u32_e32 v13, s57
	s_sub_u32 s0, 0, s56
	s_subb_u32 s55, 0, s57
	v_fmac_f32_e32 v2, 0x4f800000, v13
	s_delay_alu instid0(VALU_DEP_1) | instskip(SKIP_2) | instid1(VALU_DEP_1)
	v_rcp_f32_e32 v2, v2
	s_waitcnt_depctr 0xfff
	v_mul_f32_e32 v2, 0x5f7ffffc, v2
	v_mul_f32_e32 v13, 0x2f800000, v2
	s_delay_alu instid0(VALU_DEP_1) | instskip(NEXT) | instid1(VALU_DEP_1)
	v_trunc_f32_e32 v13, v13
	v_fmac_f32_e32 v2, 0xcf800000, v13
	v_cvt_u32_f32_e32 v13, v13
	s_delay_alu instid0(VALU_DEP_2) | instskip(NEXT) | instid1(VALU_DEP_2)
	v_cvt_u32_f32_e32 v2, v2
	v_mul_lo_u32 v14, s0, v13
	s_delay_alu instid0(VALU_DEP_2) | instskip(SKIP_1) | instid1(VALU_DEP_2)
	v_mul_hi_u32 v23, s0, v2
	v_mul_lo_u32 v24, s55, v2
	v_add_nc_u32_e32 v14, v23, v14
	v_mul_lo_u32 v23, s0, v2
	s_delay_alu instid0(VALU_DEP_2) | instskip(NEXT) | instid1(VALU_DEP_2)
	v_add_nc_u32_e32 v14, v14, v24
	v_mul_hi_u32 v24, v2, v23
	s_delay_alu instid0(VALU_DEP_2)
	v_mul_lo_u32 v25, v2, v14
	v_mul_hi_u32 v26, v2, v14
	v_mul_hi_u32 v27, v13, v23
	v_mul_lo_u32 v23, v13, v23
	v_mul_hi_u32 v28, v13, v14
	v_mul_lo_u32 v14, v13, v14
	v_add_co_u32 v24, vcc_lo, v24, v25
	v_add_co_ci_u32_e32 v25, vcc_lo, 0, v26, vcc_lo
	s_delay_alu instid0(VALU_DEP_2) | instskip(NEXT) | instid1(VALU_DEP_2)
	v_add_co_u32 v23, vcc_lo, v24, v23
	v_add_co_ci_u32_e32 v23, vcc_lo, v25, v27, vcc_lo
	v_add_co_ci_u32_e32 v24, vcc_lo, 0, v28, vcc_lo
	s_delay_alu instid0(VALU_DEP_2) | instskip(NEXT) | instid1(VALU_DEP_2)
	v_add_co_u32 v14, vcc_lo, v23, v14
	v_add_co_ci_u32_e32 v23, vcc_lo, 0, v24, vcc_lo
	s_delay_alu instid0(VALU_DEP_2) | instskip(NEXT) | instid1(VALU_DEP_2)
	v_add_co_u32 v2, vcc_lo, v2, v14
	v_add_co_ci_u32_e32 v13, vcc_lo, v13, v23, vcc_lo
	s_delay_alu instid0(VALU_DEP_2) | instskip(SKIP_1) | instid1(VALU_DEP_3)
	v_mul_hi_u32 v14, s0, v2
	v_mul_lo_u32 v24, s55, v2
	v_mul_lo_u32 v23, s0, v13
	s_delay_alu instid0(VALU_DEP_1) | instskip(SKIP_1) | instid1(VALU_DEP_2)
	v_add_nc_u32_e32 v14, v14, v23
	v_mul_lo_u32 v23, s0, v2
	v_add_nc_u32_e32 v14, v14, v24
	s_delay_alu instid0(VALU_DEP_2) | instskip(NEXT) | instid1(VALU_DEP_2)
	v_mul_hi_u32 v24, v2, v23
	v_mul_lo_u32 v25, v2, v14
	v_mul_hi_u32 v26, v2, v14
	v_mul_hi_u32 v27, v13, v23
	v_mul_lo_u32 v23, v13, v23
	v_mul_hi_u32 v28, v13, v14
	v_mul_lo_u32 v14, v13, v14
	v_add_co_u32 v24, vcc_lo, v24, v25
	v_add_co_ci_u32_e32 v25, vcc_lo, 0, v26, vcc_lo
	s_delay_alu instid0(VALU_DEP_2) | instskip(NEXT) | instid1(VALU_DEP_2)
	v_add_co_u32 v23, vcc_lo, v24, v23
	v_add_co_ci_u32_e32 v23, vcc_lo, v25, v27, vcc_lo
	v_add_co_ci_u32_e32 v24, vcc_lo, 0, v28, vcc_lo
	v_add_co_u32 v25, vcc_lo, v32, v30
	v_add_co_ci_u32_e32 v26, vcc_lo, v34, v30, vcc_lo
	s_delay_alu instid0(VALU_DEP_4) | instskip(NEXT) | instid1(VALU_DEP_4)
	v_add_co_u32 v14, vcc_lo, v23, v14
	v_add_co_ci_u32_e32 v23, vcc_lo, 0, v24, vcc_lo
	s_delay_alu instid0(VALU_DEP_4) | instskip(NEXT) | instid1(VALU_DEP_3)
	v_xor_b32_e32 v27, v25, v30
	v_add_co_u32 v2, vcc_lo, v2, v14
	s_delay_alu instid0(VALU_DEP_3) | instskip(SKIP_1) | instid1(VALU_DEP_3)
	v_add_co_ci_u32_e32 v28, vcc_lo, v13, v23, vcc_lo
	v_xor_b32_e32 v31, v26, v30
	v_mul_hi_u32 v33, v27, v2
	s_delay_alu instid0(VALU_DEP_3) | instskip(NEXT) | instid1(VALU_DEP_3)
	v_mad_u64_u32 v[13:14], null, v27, v28, 0
	v_mad_u64_u32 v[23:24], null, v31, v2, 0
	;; [unrolled: 1-line block ×3, first 2 shown]
	s_delay_alu instid0(VALU_DEP_3) | instskip(NEXT) | instid1(VALU_DEP_4)
	v_add_co_u32 v2, vcc_lo, v33, v13
	v_add_co_ci_u32_e32 v13, vcc_lo, 0, v14, vcc_lo
	s_delay_alu instid0(VALU_DEP_2) | instskip(NEXT) | instid1(VALU_DEP_2)
	v_add_co_u32 v2, vcc_lo, v2, v23
	v_add_co_ci_u32_e32 v2, vcc_lo, v13, v24, vcc_lo
	v_add_co_ci_u32_e32 v13, vcc_lo, 0, v26, vcc_lo
	s_delay_alu instid0(VALU_DEP_2) | instskip(NEXT) | instid1(VALU_DEP_2)
	v_add_co_u32 v2, vcc_lo, v2, v25
	v_add_co_ci_u32_e32 v23, vcc_lo, 0, v13, vcc_lo
	s_delay_alu instid0(VALU_DEP_2) | instskip(SKIP_1) | instid1(VALU_DEP_3)
	v_mul_lo_u32 v24, s57, v2
	v_mad_u64_u32 v[13:14], null, s56, v2, 0
	v_mul_lo_u32 v25, s56, v23
	s_delay_alu instid0(VALU_DEP_2) | instskip(NEXT) | instid1(VALU_DEP_2)
	v_sub_co_u32 v13, vcc_lo, v27, v13
	v_add3_u32 v14, v14, v25, v24
	s_delay_alu instid0(VALU_DEP_1) | instskip(NEXT) | instid1(VALU_DEP_1)
	v_sub_nc_u32_e32 v24, v31, v14
	v_subrev_co_ci_u32_e64 v24, s0, s57, v24, vcc_lo
	v_add_co_u32 v25, s0, v2, 2
	s_delay_alu instid0(VALU_DEP_1) | instskip(SKIP_3) | instid1(VALU_DEP_3)
	v_add_co_ci_u32_e64 v26, s0, 0, v23, s0
	v_sub_co_u32 v27, s0, v13, s56
	v_sub_co_ci_u32_e32 v14, vcc_lo, v31, v14, vcc_lo
	v_subrev_co_ci_u32_e64 v24, s0, 0, v24, s0
	v_cmp_le_u32_e32 vcc_lo, s56, v27
	s_delay_alu instid0(VALU_DEP_3) | instskip(SKIP_1) | instid1(VALU_DEP_4)
	v_cmp_eq_u32_e64 s0, s57, v14
	v_cndmask_b32_e64 v27, 0, -1, vcc_lo
	v_cmp_le_u32_e32 vcc_lo, s57, v24
	v_cndmask_b32_e64 v28, 0, -1, vcc_lo
	v_cmp_le_u32_e32 vcc_lo, s56, v13
	;; [unrolled: 2-line block ×3, first 2 shown]
	v_cndmask_b32_e64 v31, 0, -1, vcc_lo
	v_cmp_eq_u32_e32 vcc_lo, s57, v24
	s_delay_alu instid0(VALU_DEP_2) | instskip(SKIP_3) | instid1(VALU_DEP_3)
	v_cndmask_b32_e64 v13, v31, v13, s0
	v_cndmask_b32_e32 v24, v28, v27, vcc_lo
	v_add_co_u32 v27, vcc_lo, v2, 1
	v_add_co_ci_u32_e32 v28, vcc_lo, 0, v23, vcc_lo
	v_cmp_ne_u32_e32 vcc_lo, 0, v24
	s_delay_alu instid0(VALU_DEP_2) | instskip(NEXT) | instid1(VALU_DEP_4)
	v_cndmask_b32_e32 v14, v28, v26, vcc_lo
	v_cndmask_b32_e32 v24, v27, v25, vcc_lo
	v_cmp_ne_u32_e32 vcc_lo, 0, v13
	v_xor_b32_e32 v13, s54, v30
	s_delay_alu instid0(VALU_DEP_3) | instskip(SKIP_1) | instid1(VALU_DEP_2)
	v_cndmask_b32_e32 v2, v2, v24, vcc_lo
	v_cndmask_b32_e32 v14, v23, v14, vcc_lo
	v_xor_b32_e32 v2, v2, v13
	s_delay_alu instid0(VALU_DEP_2) | instskip(NEXT) | instid1(VALU_DEP_2)
	v_xor_b32_e32 v14, v14, v13
	v_sub_co_u32 v27, vcc_lo, v2, v13
	s_delay_alu instid0(VALU_DEP_2)
	v_sub_co_ci_u32_e32 v28, vcc_lo, v14, v13, vcc_lo
.LBB51_33:                              ;   in Loop: Header=BB51_3 Depth=1
	s_or_saveexec_b32 s0, s53
	v_cvt_f32_u32_e32 v36, s28
	s_xor_b32 exec_lo, exec_lo, s0
	s_cbranch_execz .LBB51_35
; %bb.34:                               ;   in Loop: Header=BB51_3 Depth=1
	s_delay_alu instid0(VALU_DEP_1) | instskip(SKIP_4) | instid1(VALU_DEP_1)
	v_rcp_iflag_f32_e32 v2, v36
	s_sub_i32 s53, 0, s28
	v_mov_b32_e32 v28, v1
	s_waitcnt_depctr 0xfff
	v_mul_f32_e32 v2, 0x4f7ffffe, v2
	v_cvt_u32_f32_e32 v2, v2
	s_delay_alu instid0(VALU_DEP_1) | instskip(NEXT) | instid1(VALU_DEP_1)
	v_mul_lo_u32 v13, s53, v2
	v_mul_hi_u32 v13, v2, v13
	s_delay_alu instid0(VALU_DEP_1) | instskip(NEXT) | instid1(VALU_DEP_1)
	v_add_nc_u32_e32 v2, v2, v13
	v_mul_hi_u32 v2, v32, v2
	s_delay_alu instid0(VALU_DEP_1) | instskip(SKIP_1) | instid1(VALU_DEP_2)
	v_mul_lo_u32 v13, v2, s28
	v_add_nc_u32_e32 v14, 1, v2
	v_sub_nc_u32_e32 v13, v32, v13
	s_delay_alu instid0(VALU_DEP_1) | instskip(SKIP_1) | instid1(VALU_DEP_2)
	v_subrev_nc_u32_e32 v23, s28, v13
	v_cmp_le_u32_e32 vcc_lo, s28, v13
	v_dual_cndmask_b32 v13, v13, v23 :: v_dual_cndmask_b32 v2, v2, v14
	s_delay_alu instid0(VALU_DEP_1) | instskip(NEXT) | instid1(VALU_DEP_2)
	v_cmp_le_u32_e32 vcc_lo, s28, v13
	v_add_nc_u32_e32 v14, 1, v2
	s_delay_alu instid0(VALU_DEP_1)
	v_cndmask_b32_e32 v27, v2, v14, vcc_lo
.LBB51_35:                              ;   in Loop: Header=BB51_3 Depth=1
	s_or_b32 exec_lo, exec_lo, s0
	s_waitcnt vmcnt(4)
	v_add_f64 v[23:24], -v[7:8], 1.0
	s_waitcnt vmcnt(3)
	v_fma_f64 v[13:14], -v[15:16], v[15:16], 1.0
	v_mul_lo_u32 v2, v28, s28
	v_mul_lo_u32 v31, v27, s29
	;; [unrolled: 1-line block ×4, first 2 shown]
	v_mad_u64_u32 v[37:38], null, v27, s8, 0
	s_mov_b32 s0, exec_lo
	s_delay_alu instid0(VALU_DEP_1) | instskip(NEXT) | instid1(VALU_DEP_1)
	v_add3_u32 v38, v38, v39, v33
	v_lshlrev_b64 v[37:38], 3, v[37:38]
	s_waitcnt vmcnt(0)
	v_mul_f64 v[25:26], v[23:24], v[11:12]
	s_delay_alu instid0(VALU_DEP_1) | instskip(SKIP_1) | instid1(VALU_DEP_2)
	v_mul_f64 v[13:14], v[13:14], v[25:26]
	v_add_f64 v[25:26], -v[5:6], 1.0
	v_mul_f64 v[21:22], v[21:22], v[13:14]
	s_delay_alu instid0(VALU_DEP_1) | instskip(SKIP_1) | instid1(VALU_DEP_1)
	v_mul_f64 v[21:22], v[25:26], v[21:22]
	v_mad_u64_u32 v[25:26], null, v27, s28, 0
	v_add3_u32 v2, v26, v31, v2
	s_delay_alu instid0(VALU_DEP_2) | instskip(NEXT) | instid1(VALU_DEP_2)
	v_sub_co_u32 v25, vcc_lo, v17, v25
	v_sub_co_ci_u32_e32 v2, vcc_lo, v18, v2, vcc_lo
	s_delay_alu instid0(VALU_DEP_2) | instskip(SKIP_1) | instid1(VALU_DEP_3)
	v_add_co_u32 v31, vcc_lo, v3, v25
	v_lshlrev_b64 v[25:26], 1, v[9:10]
	v_add_co_ci_u32_e32 v2, vcc_lo, v4, v2, vcc_lo
	v_alignbit_b32 v9, v10, v9, 31
	s_delay_alu instid0(VALU_DEP_4) | instskip(SKIP_1) | instid1(VALU_DEP_4)
	v_mul_lo_u32 v35, v31, s11
	v_mad_u64_u32 v[27:28], null, v31, s10, 0
	v_mul_lo_u32 v2, v2, s10
	s_delay_alu instid0(VALU_DEP_4) | instskip(SKIP_2) | instid1(VALU_DEP_4)
	v_mul_lo_u32 v31, s4, v9
	v_mul_lo_u32 v40, s5, v25
	v_mad_u64_u32 v[9:10], null, s4, v25, s[4:5]
	v_add3_u32 v28, v28, v35, v2
	s_delay_alu instid0(VALU_DEP_2) | instskip(NEXT) | instid1(VALU_DEP_3)
	v_add3_u32 v10, v40, v10, v31
	v_add_co_u32 v33, vcc_lo, v3, v9
	v_mul_f64 v[21:22], v[5:6], v[21:22]
	s_delay_alu instid0(VALU_DEP_4) | instskip(NEXT) | instid1(VALU_DEP_4)
	v_lshlrev_b64 v[27:28], 3, v[27:28]
	v_add_co_ci_u32_e32 v35, vcc_lo, v4, v10, vcc_lo
	v_add_co_u32 v31, vcc_lo, s2, v37
	v_add_co_ci_u32_e32 v37, vcc_lo, s3, v38, vcc_lo
	s_delay_alu instid0(VALU_DEP_3) | instskip(NEXT) | instid1(VALU_DEP_3)
	v_or_b32_e32 v2, s29, v35
	v_add_co_u32 v27, vcc_lo, v31, v27
	s_delay_alu instid0(VALU_DEP_3)
	v_add_co_ci_u32_e32 v28, vcc_lo, v37, v28, vcc_lo
	v_ashrrev_i32_e32 v31, 31, v35
	global_store_b64 v[27:28], v[21:22], off
                                        ; implicit-def: $vgpr27_vgpr28
	v_cmpx_ne_u64_e32 0, v[1:2]
	s_xor_b32 s53, exec_lo, s0
	s_cbranch_execz .LBB51_37
; %bb.36:                               ;   in Loop: Header=BB51_3 Depth=1
	s_ashr_i32 s54, s29, 31
	s_delay_alu instid0(SALU_CYCLE_1) | instskip(SKIP_2) | instid1(SALU_CYCLE_1)
	s_add_u32 s56, s28, s54
	s_mov_b32 s55, s54
	s_addc_u32 s57, s29, s54
	s_xor_b64 s[56:57], s[56:57], s[54:55]
	s_delay_alu instid0(SALU_CYCLE_1) | instskip(SKIP_3) | instid1(VALU_DEP_1)
	v_cvt_f32_u32_e32 v2, s56
	v_cvt_f32_u32_e32 v27, s57
	s_sub_u32 s0, 0, s56
	s_subb_u32 s55, 0, s57
	v_fmac_f32_e32 v2, 0x4f800000, v27
	s_delay_alu instid0(VALU_DEP_1) | instskip(SKIP_2) | instid1(VALU_DEP_1)
	v_rcp_f32_e32 v2, v2
	s_waitcnt_depctr 0xfff
	v_mul_f32_e32 v2, 0x5f7ffffc, v2
	v_mul_f32_e32 v27, 0x2f800000, v2
	s_delay_alu instid0(VALU_DEP_1) | instskip(NEXT) | instid1(VALU_DEP_1)
	v_trunc_f32_e32 v27, v27
	v_fmac_f32_e32 v2, 0xcf800000, v27
	v_cvt_u32_f32_e32 v27, v27
	s_delay_alu instid0(VALU_DEP_2) | instskip(NEXT) | instid1(VALU_DEP_2)
	v_cvt_u32_f32_e32 v2, v2
	v_mul_lo_u32 v28, s0, v27
	s_delay_alu instid0(VALU_DEP_2) | instskip(SKIP_1) | instid1(VALU_DEP_2)
	v_mul_hi_u32 v37, s0, v2
	v_mul_lo_u32 v38, s55, v2
	v_add_nc_u32_e32 v28, v37, v28
	v_mul_lo_u32 v37, s0, v2
	s_delay_alu instid0(VALU_DEP_2) | instskip(NEXT) | instid1(VALU_DEP_2)
	v_add_nc_u32_e32 v28, v28, v38
	v_mul_hi_u32 v38, v2, v37
	s_delay_alu instid0(VALU_DEP_2)
	v_mul_lo_u32 v39, v2, v28
	v_mul_hi_u32 v40, v2, v28
	v_mul_hi_u32 v41, v27, v37
	v_mul_lo_u32 v37, v27, v37
	v_mul_hi_u32 v42, v27, v28
	v_mul_lo_u32 v28, v27, v28
	v_add_co_u32 v38, vcc_lo, v38, v39
	v_add_co_ci_u32_e32 v39, vcc_lo, 0, v40, vcc_lo
	s_delay_alu instid0(VALU_DEP_2) | instskip(NEXT) | instid1(VALU_DEP_2)
	v_add_co_u32 v37, vcc_lo, v38, v37
	v_add_co_ci_u32_e32 v37, vcc_lo, v39, v41, vcc_lo
	v_add_co_ci_u32_e32 v38, vcc_lo, 0, v42, vcc_lo
	s_delay_alu instid0(VALU_DEP_2) | instskip(NEXT) | instid1(VALU_DEP_2)
	v_add_co_u32 v28, vcc_lo, v37, v28
	v_add_co_ci_u32_e32 v37, vcc_lo, 0, v38, vcc_lo
	s_delay_alu instid0(VALU_DEP_2) | instskip(NEXT) | instid1(VALU_DEP_2)
	v_add_co_u32 v2, vcc_lo, v2, v28
	v_add_co_ci_u32_e32 v27, vcc_lo, v27, v37, vcc_lo
	s_delay_alu instid0(VALU_DEP_2) | instskip(SKIP_1) | instid1(VALU_DEP_3)
	v_mul_hi_u32 v28, s0, v2
	v_mul_lo_u32 v38, s55, v2
	v_mul_lo_u32 v37, s0, v27
	s_delay_alu instid0(VALU_DEP_1) | instskip(SKIP_1) | instid1(VALU_DEP_2)
	v_add_nc_u32_e32 v28, v28, v37
	v_mul_lo_u32 v37, s0, v2
	v_add_nc_u32_e32 v28, v28, v38
	s_delay_alu instid0(VALU_DEP_2) | instskip(NEXT) | instid1(VALU_DEP_2)
	v_mul_hi_u32 v38, v2, v37
	v_mul_lo_u32 v39, v2, v28
	v_mul_hi_u32 v40, v2, v28
	v_mul_hi_u32 v41, v27, v37
	v_mul_lo_u32 v37, v27, v37
	v_mul_hi_u32 v42, v27, v28
	v_mul_lo_u32 v28, v27, v28
	v_add_co_u32 v38, vcc_lo, v38, v39
	v_add_co_ci_u32_e32 v39, vcc_lo, 0, v40, vcc_lo
	s_delay_alu instid0(VALU_DEP_2) | instskip(NEXT) | instid1(VALU_DEP_2)
	v_add_co_u32 v37, vcc_lo, v38, v37
	v_add_co_ci_u32_e32 v37, vcc_lo, v39, v41, vcc_lo
	v_add_co_ci_u32_e32 v38, vcc_lo, 0, v42, vcc_lo
	v_add_co_u32 v39, vcc_lo, v33, v31
	v_add_co_ci_u32_e32 v40, vcc_lo, v35, v31, vcc_lo
	s_delay_alu instid0(VALU_DEP_4) | instskip(NEXT) | instid1(VALU_DEP_4)
	v_add_co_u32 v28, vcc_lo, v37, v28
	v_add_co_ci_u32_e32 v37, vcc_lo, 0, v38, vcc_lo
	s_delay_alu instid0(VALU_DEP_4) | instskip(NEXT) | instid1(VALU_DEP_3)
	v_xor_b32_e32 v41, v39, v31
	v_add_co_u32 v2, vcc_lo, v2, v28
	s_delay_alu instid0(VALU_DEP_3) | instskip(SKIP_1) | instid1(VALU_DEP_3)
	v_add_co_ci_u32_e32 v42, vcc_lo, v27, v37, vcc_lo
	v_xor_b32_e32 v43, v40, v31
	v_mul_hi_u32 v44, v41, v2
	s_delay_alu instid0(VALU_DEP_3) | instskip(NEXT) | instid1(VALU_DEP_3)
	v_mad_u64_u32 v[27:28], null, v41, v42, 0
	v_mad_u64_u32 v[37:38], null, v43, v2, 0
	;; [unrolled: 1-line block ×3, first 2 shown]
	s_delay_alu instid0(VALU_DEP_3) | instskip(NEXT) | instid1(VALU_DEP_4)
	v_add_co_u32 v2, vcc_lo, v44, v27
	v_add_co_ci_u32_e32 v27, vcc_lo, 0, v28, vcc_lo
	s_delay_alu instid0(VALU_DEP_2) | instskip(NEXT) | instid1(VALU_DEP_2)
	v_add_co_u32 v2, vcc_lo, v2, v37
	v_add_co_ci_u32_e32 v2, vcc_lo, v27, v38, vcc_lo
	v_add_co_ci_u32_e32 v27, vcc_lo, 0, v40, vcc_lo
	s_delay_alu instid0(VALU_DEP_2) | instskip(NEXT) | instid1(VALU_DEP_2)
	v_add_co_u32 v2, vcc_lo, v2, v39
	v_add_co_ci_u32_e32 v37, vcc_lo, 0, v27, vcc_lo
	s_delay_alu instid0(VALU_DEP_2) | instskip(SKIP_1) | instid1(VALU_DEP_3)
	v_mul_lo_u32 v38, s57, v2
	v_mad_u64_u32 v[27:28], null, s56, v2, 0
	v_mul_lo_u32 v39, s56, v37
	s_delay_alu instid0(VALU_DEP_2) | instskip(NEXT) | instid1(VALU_DEP_2)
	v_sub_co_u32 v27, vcc_lo, v41, v27
	v_add3_u32 v28, v28, v39, v38
	s_delay_alu instid0(VALU_DEP_1) | instskip(NEXT) | instid1(VALU_DEP_1)
	v_sub_nc_u32_e32 v38, v43, v28
	v_subrev_co_ci_u32_e64 v38, s0, s57, v38, vcc_lo
	v_add_co_u32 v39, s0, v2, 2
	s_delay_alu instid0(VALU_DEP_1) | instskip(SKIP_3) | instid1(VALU_DEP_3)
	v_add_co_ci_u32_e64 v40, s0, 0, v37, s0
	v_sub_co_u32 v41, s0, v27, s56
	v_sub_co_ci_u32_e32 v28, vcc_lo, v43, v28, vcc_lo
	v_subrev_co_ci_u32_e64 v38, s0, 0, v38, s0
	v_cmp_le_u32_e32 vcc_lo, s56, v41
	s_delay_alu instid0(VALU_DEP_3) | instskip(SKIP_1) | instid1(VALU_DEP_4)
	v_cmp_eq_u32_e64 s0, s57, v28
	v_cndmask_b32_e64 v41, 0, -1, vcc_lo
	v_cmp_le_u32_e32 vcc_lo, s57, v38
	v_cndmask_b32_e64 v42, 0, -1, vcc_lo
	v_cmp_le_u32_e32 vcc_lo, s56, v27
	;; [unrolled: 2-line block ×3, first 2 shown]
	v_cndmask_b32_e64 v43, 0, -1, vcc_lo
	v_cmp_eq_u32_e32 vcc_lo, s57, v38
	s_delay_alu instid0(VALU_DEP_2) | instskip(SKIP_3) | instid1(VALU_DEP_3)
	v_cndmask_b32_e64 v27, v43, v27, s0
	v_cndmask_b32_e32 v38, v42, v41, vcc_lo
	v_add_co_u32 v41, vcc_lo, v2, 1
	v_add_co_ci_u32_e32 v42, vcc_lo, 0, v37, vcc_lo
	v_cmp_ne_u32_e32 vcc_lo, 0, v38
	s_delay_alu instid0(VALU_DEP_2) | instskip(NEXT) | instid1(VALU_DEP_4)
	v_cndmask_b32_e32 v28, v42, v40, vcc_lo
	v_cndmask_b32_e32 v38, v41, v39, vcc_lo
	v_cmp_ne_u32_e32 vcc_lo, 0, v27
	v_xor_b32_e32 v39, s54, v31
	s_delay_alu instid0(VALU_DEP_3) | instskip(NEXT) | instid1(VALU_DEP_1)
	v_dual_cndmask_b32 v2, v2, v38 :: v_dual_cndmask_b32 v27, v37, v28
	v_xor_b32_e32 v2, v2, v39
	s_delay_alu instid0(VALU_DEP_2) | instskip(NEXT) | instid1(VALU_DEP_2)
	v_xor_b32_e32 v28, v27, v39
	v_sub_co_u32 v27, vcc_lo, v2, v39
	s_delay_alu instid0(VALU_DEP_2)
	v_sub_co_ci_u32_e32 v28, vcc_lo, v28, v39, vcc_lo
.LBB51_37:                              ;   in Loop: Header=BB51_3 Depth=1
	s_and_not1_saveexec_b32 s0, s53
	s_cbranch_execz .LBB51_39
; %bb.38:                               ;   in Loop: Header=BB51_3 Depth=1
	v_rcp_iflag_f32_e32 v2, v36
	s_sub_i32 s53, 0, s28
	s_waitcnt_depctr 0xfff
	v_mul_f32_e32 v2, 0x4f7ffffe, v2
	s_delay_alu instid0(VALU_DEP_1) | instskip(NEXT) | instid1(VALU_DEP_1)
	v_cvt_u32_f32_e32 v2, v2
	v_mul_lo_u32 v27, s53, v2
	s_delay_alu instid0(VALU_DEP_1) | instskip(NEXT) | instid1(VALU_DEP_1)
	v_mul_hi_u32 v27, v2, v27
	v_add_nc_u32_e32 v2, v2, v27
	s_delay_alu instid0(VALU_DEP_1) | instskip(NEXT) | instid1(VALU_DEP_1)
	v_mul_hi_u32 v2, v33, v2
	v_mul_lo_u32 v27, v2, s28
	v_add_nc_u32_e32 v28, 1, v2
	s_delay_alu instid0(VALU_DEP_2) | instskip(NEXT) | instid1(VALU_DEP_1)
	v_sub_nc_u32_e32 v27, v33, v27
	v_subrev_nc_u32_e32 v37, s28, v27
	v_cmp_le_u32_e32 vcc_lo, s28, v27
	s_delay_alu instid0(VALU_DEP_2) | instskip(NEXT) | instid1(VALU_DEP_1)
	v_dual_cndmask_b32 v27, v27, v37 :: v_dual_cndmask_b32 v2, v2, v28
	v_cmp_le_u32_e32 vcc_lo, s28, v27
	s_delay_alu instid0(VALU_DEP_2) | instskip(NEXT) | instid1(VALU_DEP_1)
	v_add_nc_u32_e32 v28, 1, v2
	v_dual_cndmask_b32 v27, v2, v28 :: v_dual_mov_b32 v28, v1
.LBB51_39:                              ;   in Loop: Header=BB51_3 Depth=1
	s_or_b32 exec_lo, exec_lo, s0
	v_add_f64 v[15:16], v[19:20], -v[15:16]
	s_delay_alu instid0(VALU_DEP_2) | instskip(NEXT) | instid1(VALU_DEP_3)
	v_mul_lo_u32 v2, v28, s28
	v_mad_u64_u32 v[19:20], null, v27, s28, 0
	v_mul_lo_u32 v28, v28, s8
	v_mul_lo_u32 v38, v27, s9
	s_mov_b32 s0, exec_lo
	s_delay_alu instid0(VALU_DEP_3) | instskip(SKIP_1) | instid1(VALU_DEP_1)
	v_sub_co_u32 v19, vcc_lo, v9, v19
	v_mul_f64 v[15:16], v[15:16], v[11:12]
	v_mul_f64 v[15:16], v[23:24], v[15:16]
	v_mul_lo_u32 v23, v27, s29
	s_delay_alu instid0(VALU_DEP_1) | instskip(SKIP_1) | instid1(VALU_DEP_2)
	v_add3_u32 v2, v20, v23, v2
	v_mad_u64_u32 v[23:24], null, v27, s8, 0
	v_sub_co_ci_u32_e32 v2, vcc_lo, v10, v2, vcc_lo
	v_add_co_u32 v37, vcc_lo, v3, v19
	s_delay_alu instid0(VALU_DEP_3) | instskip(NEXT) | instid1(VALU_DEP_3)
	v_add3_u32 v24, v24, v38, v28
	v_add_co_ci_u32_e32 v2, vcc_lo, v4, v2, vcc_lo
	v_add_co_u32 v40, vcc_lo, v25, 2
	s_delay_alu instid0(VALU_DEP_4) | instskip(NEXT) | instid1(VALU_DEP_3)
	v_mul_lo_u32 v39, v37, s11
	v_mul_lo_u32 v2, v2, s10
	v_lshlrev_b64 v[23:24], 3, v[23:24]
	s_delay_alu instid0(VALU_DEP_4) | instskip(SKIP_3) | instid1(VALU_DEP_2)
	v_mul_lo_u32 v27, s5, v40
	v_mul_f64 v[19:20], v[7:8], v[15:16]
	v_add_co_ci_u32_e32 v15, vcc_lo, 0, v26, vcc_lo
	v_mad_u64_u32 v[25:26], null, v37, s10, 0
	v_mul_lo_u32 v37, s4, v15
	v_mad_u64_u32 v[15:16], null, s4, v40, 0
	s_delay_alu instid0(VALU_DEP_3) | instskip(NEXT) | instid1(VALU_DEP_2)
	v_add3_u32 v26, v26, v39, v2
	v_add3_u32 v16, v16, v37, v27
	s_delay_alu instid0(VALU_DEP_2) | instskip(NEXT) | instid1(VALU_DEP_4)
	v_lshlrev_b64 v[37:38], 3, v[25:26]
	v_add_co_u32 v26, vcc_lo, v3, v15
	s_delay_alu instid0(VALU_DEP_3) | instskip(SKIP_2) | instid1(VALU_DEP_3)
	v_add_co_ci_u32_e32 v27, vcc_lo, v4, v16, vcc_lo
	v_add_co_u32 v23, vcc_lo, s2, v23
	v_add_co_ci_u32_e32 v24, vcc_lo, s3, v24, vcc_lo
	v_or_b32_e32 v2, s29, v27
	s_delay_alu instid0(VALU_DEP_3) | instskip(NEXT) | instid1(VALU_DEP_3)
	v_add_co_u32 v23, vcc_lo, v23, v37
	v_add_co_ci_u32_e32 v24, vcc_lo, v24, v38, vcc_lo
	v_ashrrev_i32_e32 v25, 31, v27
	global_store_b64 v[23:24], v[19:20], off
                                        ; implicit-def: $vgpr23_vgpr24
	v_cmpx_ne_u64_e32 0, v[1:2]
	s_xor_b32 s53, exec_lo, s0
	s_cbranch_execz .LBB51_41
; %bb.40:                               ;   in Loop: Header=BB51_3 Depth=1
	s_ashr_i32 s54, s29, 31
	s_delay_alu instid0(SALU_CYCLE_1) | instskip(SKIP_2) | instid1(SALU_CYCLE_1)
	s_add_u32 s56, s28, s54
	s_mov_b32 s55, s54
	s_addc_u32 s57, s29, s54
	s_xor_b64 s[56:57], s[56:57], s[54:55]
	s_delay_alu instid0(SALU_CYCLE_1) | instskip(SKIP_3) | instid1(VALU_DEP_1)
	v_cvt_f32_u32_e32 v2, s56
	v_cvt_f32_u32_e32 v23, s57
	s_sub_u32 s0, 0, s56
	s_subb_u32 s55, 0, s57
	v_fmac_f32_e32 v2, 0x4f800000, v23
	s_delay_alu instid0(VALU_DEP_1) | instskip(SKIP_2) | instid1(VALU_DEP_1)
	v_rcp_f32_e32 v2, v2
	s_waitcnt_depctr 0xfff
	v_mul_f32_e32 v2, 0x5f7ffffc, v2
	v_mul_f32_e32 v23, 0x2f800000, v2
	s_delay_alu instid0(VALU_DEP_1) | instskip(NEXT) | instid1(VALU_DEP_1)
	v_trunc_f32_e32 v23, v23
	v_fmac_f32_e32 v2, 0xcf800000, v23
	v_cvt_u32_f32_e32 v23, v23
	s_delay_alu instid0(VALU_DEP_2) | instskip(NEXT) | instid1(VALU_DEP_2)
	v_cvt_u32_f32_e32 v2, v2
	v_mul_lo_u32 v24, s0, v23
	s_delay_alu instid0(VALU_DEP_2) | instskip(SKIP_1) | instid1(VALU_DEP_2)
	v_mul_hi_u32 v28, s0, v2
	v_mul_lo_u32 v36, s55, v2
	v_add_nc_u32_e32 v24, v28, v24
	v_mul_lo_u32 v28, s0, v2
	s_delay_alu instid0(VALU_DEP_2) | instskip(NEXT) | instid1(VALU_DEP_2)
	v_add_nc_u32_e32 v24, v24, v36
	v_mul_hi_u32 v36, v2, v28
	s_delay_alu instid0(VALU_DEP_2)
	v_mul_lo_u32 v37, v2, v24
	v_mul_hi_u32 v38, v2, v24
	v_mul_hi_u32 v39, v23, v28
	v_mul_lo_u32 v28, v23, v28
	v_mul_hi_u32 v40, v23, v24
	v_mul_lo_u32 v24, v23, v24
	v_add_co_u32 v36, vcc_lo, v36, v37
	v_add_co_ci_u32_e32 v37, vcc_lo, 0, v38, vcc_lo
	s_delay_alu instid0(VALU_DEP_2) | instskip(NEXT) | instid1(VALU_DEP_2)
	v_add_co_u32 v28, vcc_lo, v36, v28
	v_add_co_ci_u32_e32 v28, vcc_lo, v37, v39, vcc_lo
	v_add_co_ci_u32_e32 v36, vcc_lo, 0, v40, vcc_lo
	s_delay_alu instid0(VALU_DEP_2) | instskip(NEXT) | instid1(VALU_DEP_2)
	v_add_co_u32 v24, vcc_lo, v28, v24
	v_add_co_ci_u32_e32 v28, vcc_lo, 0, v36, vcc_lo
	s_delay_alu instid0(VALU_DEP_2) | instskip(NEXT) | instid1(VALU_DEP_2)
	v_add_co_u32 v2, vcc_lo, v2, v24
	v_add_co_ci_u32_e32 v23, vcc_lo, v23, v28, vcc_lo
	s_delay_alu instid0(VALU_DEP_2) | instskip(SKIP_1) | instid1(VALU_DEP_3)
	v_mul_hi_u32 v24, s0, v2
	v_mul_lo_u32 v36, s55, v2
	v_mul_lo_u32 v28, s0, v23
	s_delay_alu instid0(VALU_DEP_1) | instskip(SKIP_1) | instid1(VALU_DEP_2)
	v_add_nc_u32_e32 v24, v24, v28
	v_mul_lo_u32 v28, s0, v2
	v_add_nc_u32_e32 v24, v24, v36
	s_delay_alu instid0(VALU_DEP_2) | instskip(NEXT) | instid1(VALU_DEP_2)
	v_mul_hi_u32 v36, v2, v28
	v_mul_lo_u32 v37, v2, v24
	v_mul_hi_u32 v38, v2, v24
	v_mul_hi_u32 v39, v23, v28
	v_mul_lo_u32 v28, v23, v28
	v_mul_hi_u32 v40, v23, v24
	v_mul_lo_u32 v24, v23, v24
	v_add_co_u32 v36, vcc_lo, v36, v37
	v_add_co_ci_u32_e32 v37, vcc_lo, 0, v38, vcc_lo
	s_delay_alu instid0(VALU_DEP_2) | instskip(NEXT) | instid1(VALU_DEP_2)
	v_add_co_u32 v28, vcc_lo, v36, v28
	v_add_co_ci_u32_e32 v28, vcc_lo, v37, v39, vcc_lo
	v_add_co_ci_u32_e32 v36, vcc_lo, 0, v40, vcc_lo
	v_add_co_u32 v37, vcc_lo, v26, v25
	v_add_co_ci_u32_e32 v38, vcc_lo, v27, v25, vcc_lo
	s_delay_alu instid0(VALU_DEP_4) | instskip(NEXT) | instid1(VALU_DEP_4)
	v_add_co_u32 v24, vcc_lo, v28, v24
	v_add_co_ci_u32_e32 v28, vcc_lo, 0, v36, vcc_lo
	s_delay_alu instid0(VALU_DEP_4) | instskip(NEXT) | instid1(VALU_DEP_3)
	v_xor_b32_e32 v40, v37, v25
	v_add_co_u32 v2, vcc_lo, v2, v24
	s_delay_alu instid0(VALU_DEP_3) | instskip(SKIP_1) | instid1(VALU_DEP_3)
	v_add_co_ci_u32_e32 v28, vcc_lo, v23, v28, vcc_lo
	v_xor_b32_e32 v41, v38, v25
	v_mul_hi_u32 v42, v40, v2
	s_delay_alu instid0(VALU_DEP_3) | instskip(NEXT) | instid1(VALU_DEP_3)
	v_mad_u64_u32 v[23:24], null, v40, v28, 0
	v_mad_u64_u32 v[36:37], null, v41, v2, 0
	;; [unrolled: 1-line block ×3, first 2 shown]
	s_delay_alu instid0(VALU_DEP_3) | instskip(NEXT) | instid1(VALU_DEP_4)
	v_add_co_u32 v2, vcc_lo, v42, v23
	v_add_co_ci_u32_e32 v23, vcc_lo, 0, v24, vcc_lo
	s_delay_alu instid0(VALU_DEP_2) | instskip(NEXT) | instid1(VALU_DEP_2)
	v_add_co_u32 v2, vcc_lo, v2, v36
	v_add_co_ci_u32_e32 v2, vcc_lo, v23, v37, vcc_lo
	v_add_co_ci_u32_e32 v23, vcc_lo, 0, v39, vcc_lo
	s_delay_alu instid0(VALU_DEP_2) | instskip(NEXT) | instid1(VALU_DEP_2)
	v_add_co_u32 v2, vcc_lo, v2, v38
	v_add_co_ci_u32_e32 v28, vcc_lo, 0, v23, vcc_lo
	s_delay_alu instid0(VALU_DEP_2) | instskip(SKIP_1) | instid1(VALU_DEP_3)
	v_mul_lo_u32 v36, s57, v2
	v_mad_u64_u32 v[23:24], null, s56, v2, 0
	v_mul_lo_u32 v37, s56, v28
	s_delay_alu instid0(VALU_DEP_2) | instskip(NEXT) | instid1(VALU_DEP_2)
	v_sub_co_u32 v23, vcc_lo, v40, v23
	v_add3_u32 v24, v24, v37, v36
	s_delay_alu instid0(VALU_DEP_1) | instskip(NEXT) | instid1(VALU_DEP_1)
	v_sub_nc_u32_e32 v36, v41, v24
	v_subrev_co_ci_u32_e64 v36, s0, s57, v36, vcc_lo
	v_add_co_u32 v37, s0, v2, 2
	s_delay_alu instid0(VALU_DEP_1) | instskip(SKIP_3) | instid1(VALU_DEP_3)
	v_add_co_ci_u32_e64 v38, s0, 0, v28, s0
	v_sub_co_u32 v39, s0, v23, s56
	v_sub_co_ci_u32_e32 v24, vcc_lo, v41, v24, vcc_lo
	v_subrev_co_ci_u32_e64 v36, s0, 0, v36, s0
	v_cmp_le_u32_e32 vcc_lo, s56, v39
	s_delay_alu instid0(VALU_DEP_3) | instskip(SKIP_1) | instid1(VALU_DEP_4)
	v_cmp_eq_u32_e64 s0, s57, v24
	v_cndmask_b32_e64 v39, 0, -1, vcc_lo
	v_cmp_le_u32_e32 vcc_lo, s57, v36
	v_cndmask_b32_e64 v40, 0, -1, vcc_lo
	v_cmp_le_u32_e32 vcc_lo, s56, v23
	v_cndmask_b32_e64 v23, 0, -1, vcc_lo
	v_cmp_le_u32_e32 vcc_lo, s57, v24
	v_cndmask_b32_e64 v41, 0, -1, vcc_lo
	v_cmp_eq_u32_e32 vcc_lo, s57, v36
	s_delay_alu instid0(VALU_DEP_2) | instskip(SKIP_3) | instid1(VALU_DEP_3)
	v_cndmask_b32_e64 v23, v41, v23, s0
	v_cndmask_b32_e32 v36, v40, v39, vcc_lo
	v_add_co_u32 v39, vcc_lo, v2, 1
	v_add_co_ci_u32_e32 v40, vcc_lo, 0, v28, vcc_lo
	v_cmp_ne_u32_e32 vcc_lo, 0, v36
	s_delay_alu instid0(VALU_DEP_2) | instskip(NEXT) | instid1(VALU_DEP_4)
	v_cndmask_b32_e32 v24, v40, v38, vcc_lo
	v_cndmask_b32_e32 v36, v39, v37, vcc_lo
	v_cmp_ne_u32_e32 vcc_lo, 0, v23
	v_xor_b32_e32 v37, s54, v25
	s_delay_alu instid0(VALU_DEP_3) | instskip(SKIP_1) | instid1(VALU_DEP_2)
	v_cndmask_b32_e32 v2, v2, v36, vcc_lo
	v_cndmask_b32_e32 v23, v28, v24, vcc_lo
                                        ; implicit-def: $vgpr36
	v_xor_b32_e32 v2, v2, v37
	s_delay_alu instid0(VALU_DEP_2) | instskip(NEXT) | instid1(VALU_DEP_2)
	v_xor_b32_e32 v24, v23, v37
	v_sub_co_u32 v23, vcc_lo, v2, v37
	s_delay_alu instid0(VALU_DEP_2)
	v_sub_co_ci_u32_e32 v24, vcc_lo, v24, v37, vcc_lo
.LBB51_41:                              ;   in Loop: Header=BB51_3 Depth=1
	s_and_not1_saveexec_b32 s0, s53
	s_cbranch_execz .LBB51_43
; %bb.42:                               ;   in Loop: Header=BB51_3 Depth=1
	v_rcp_iflag_f32_e32 v2, v36
	s_sub_i32 s53, 0, s28
	s_waitcnt_depctr 0xfff
	v_mul_f32_e32 v2, 0x4f7ffffe, v2
	s_delay_alu instid0(VALU_DEP_1) | instskip(NEXT) | instid1(VALU_DEP_1)
	v_cvt_u32_f32_e32 v2, v2
	v_mul_lo_u32 v23, s53, v2
	s_delay_alu instid0(VALU_DEP_1) | instskip(NEXT) | instid1(VALU_DEP_1)
	v_mul_hi_u32 v23, v2, v23
	v_add_nc_u32_e32 v2, v2, v23
	s_delay_alu instid0(VALU_DEP_1) | instskip(NEXT) | instid1(VALU_DEP_1)
	v_mul_hi_u32 v2, v26, v2
	v_mul_lo_u32 v23, v2, s28
	v_add_nc_u32_e32 v24, 1, v2
	s_delay_alu instid0(VALU_DEP_2) | instskip(NEXT) | instid1(VALU_DEP_1)
	v_sub_nc_u32_e32 v23, v26, v23
	v_subrev_nc_u32_e32 v28, s28, v23
	v_cmp_le_u32_e32 vcc_lo, s28, v23
	s_delay_alu instid0(VALU_DEP_2) | instskip(SKIP_1) | instid1(VALU_DEP_2)
	v_cndmask_b32_e32 v23, v23, v28, vcc_lo
	v_cndmask_b32_e32 v2, v2, v24, vcc_lo
	v_cmp_le_u32_e32 vcc_lo, s28, v23
	s_delay_alu instid0(VALU_DEP_2) | instskip(NEXT) | instid1(VALU_DEP_1)
	v_add_nc_u32_e32 v24, 1, v2
	v_dual_cndmask_b32 v23, v2, v24 :: v_dual_mov_b32 v24, v1
.LBB51_43:                              ;   in Loop: Header=BB51_3 Depth=1
	s_or_b32 exec_lo, exec_lo, s0
	s_delay_alu instid0(VALU_DEP_1) | instskip(NEXT) | instid1(VALU_DEP_2)
	v_mul_lo_u32 v2, v24, s28
	v_mul_lo_u32 v28, v23, s29
	v_mad_u64_u32 v[36:37], null, v23, s28, 0
	v_mul_lo_u32 v38, v23, s9
	s_mov_b32 s0, exec_lo
	s_delay_alu instid0(VALU_DEP_2) | instskip(SKIP_1) | instid1(VALU_DEP_4)
	v_add3_u32 v2, v37, v28, v2
	v_mul_lo_u32 v28, v24, s8
	v_sub_co_u32 v24, vcc_lo, v15, v36
	v_mad_u64_u32 v[36:37], null, v23, s8, 0
	s_delay_alu instid0(VALU_DEP_4) | instskip(NEXT) | instid1(VALU_DEP_3)
	v_sub_co_ci_u32_e32 v2, vcc_lo, v16, v2, vcc_lo
	v_add_co_u32 v39, vcc_lo, v3, v24
	s_delay_alu instid0(VALU_DEP_2) | instskip(NEXT) | instid1(VALU_DEP_2)
	v_add_co_ci_u32_e32 v2, vcc_lo, v4, v2, vcc_lo
	v_mul_lo_u32 v40, v39, s11
	v_mad_u64_u32 v[23:24], null, v39, s10, 0
	s_delay_alu instid0(VALU_DEP_3) | instskip(SKIP_1) | instid1(VALU_DEP_1)
	v_mul_lo_u32 v2, v2, s10
	v_add3_u32 v37, v37, v38, v28
	v_lshlrev_b64 v[36:37], 3, v[36:37]
	s_delay_alu instid0(VALU_DEP_3) | instskip(SKIP_1) | instid1(VALU_DEP_3)
	v_add3_u32 v24, v24, v40, v2
	v_or_b32_e32 v2, s35, v34
	v_add_co_u32 v28, vcc_lo, s2, v36
	s_delay_alu instid0(VALU_DEP_3) | instskip(SKIP_1) | instid1(VALU_DEP_2)
	v_lshlrev_b64 v[23:24], 3, v[23:24]
	v_add_co_ci_u32_e32 v36, vcc_lo, s3, v37, vcc_lo
	v_add_co_u32 v23, vcc_lo, v28, v23
	s_delay_alu instid0(VALU_DEP_2)
	v_add_co_ci_u32_e32 v24, vcc_lo, v36, v24, vcc_lo
	global_store_b64 v[23:24], v[13:14], off
                                        ; implicit-def: $vgpr23_vgpr24
	v_cmpx_ne_u64_e32 0, v[1:2]
	s_xor_b32 s53, exec_lo, s0
	s_cbranch_execz .LBB51_45
; %bb.44:                               ;   in Loop: Header=BB51_3 Depth=1
	s_ashr_i32 s54, s35, 31
	s_delay_alu instid0(SALU_CYCLE_1) | instskip(SKIP_2) | instid1(SALU_CYCLE_1)
	s_add_u32 s56, s34, s54
	s_mov_b32 s55, s54
	s_addc_u32 s57, s35, s54
	s_xor_b64 s[56:57], s[56:57], s[54:55]
	s_delay_alu instid0(SALU_CYCLE_1) | instskip(SKIP_3) | instid1(VALU_DEP_1)
	v_cvt_f32_u32_e32 v2, s56
	v_cvt_f32_u32_e32 v23, s57
	s_sub_u32 s0, 0, s56
	s_subb_u32 s55, 0, s57
	v_fmac_f32_e32 v2, 0x4f800000, v23
	s_delay_alu instid0(VALU_DEP_1) | instskip(SKIP_2) | instid1(VALU_DEP_1)
	v_rcp_f32_e32 v2, v2
	s_waitcnt_depctr 0xfff
	v_mul_f32_e32 v2, 0x5f7ffffc, v2
	v_mul_f32_e32 v23, 0x2f800000, v2
	s_delay_alu instid0(VALU_DEP_1) | instskip(NEXT) | instid1(VALU_DEP_1)
	v_trunc_f32_e32 v23, v23
	v_fmac_f32_e32 v2, 0xcf800000, v23
	v_cvt_u32_f32_e32 v23, v23
	s_delay_alu instid0(VALU_DEP_2) | instskip(NEXT) | instid1(VALU_DEP_2)
	v_cvt_u32_f32_e32 v2, v2
	v_mul_lo_u32 v24, s0, v23
	s_delay_alu instid0(VALU_DEP_2) | instskip(SKIP_1) | instid1(VALU_DEP_2)
	v_mul_hi_u32 v28, s0, v2
	v_mul_lo_u32 v36, s55, v2
	v_add_nc_u32_e32 v24, v28, v24
	v_mul_lo_u32 v28, s0, v2
	s_delay_alu instid0(VALU_DEP_2) | instskip(NEXT) | instid1(VALU_DEP_2)
	v_add_nc_u32_e32 v24, v24, v36
	v_mul_hi_u32 v36, v2, v28
	s_delay_alu instid0(VALU_DEP_2)
	v_mul_lo_u32 v37, v2, v24
	v_mul_hi_u32 v38, v2, v24
	v_mul_hi_u32 v39, v23, v28
	v_mul_lo_u32 v28, v23, v28
	v_mul_hi_u32 v40, v23, v24
	v_mul_lo_u32 v24, v23, v24
	v_add_co_u32 v36, vcc_lo, v36, v37
	v_add_co_ci_u32_e32 v37, vcc_lo, 0, v38, vcc_lo
	s_delay_alu instid0(VALU_DEP_2) | instskip(NEXT) | instid1(VALU_DEP_2)
	v_add_co_u32 v28, vcc_lo, v36, v28
	v_add_co_ci_u32_e32 v28, vcc_lo, v37, v39, vcc_lo
	v_add_co_ci_u32_e32 v36, vcc_lo, 0, v40, vcc_lo
	s_delay_alu instid0(VALU_DEP_2) | instskip(NEXT) | instid1(VALU_DEP_2)
	v_add_co_u32 v24, vcc_lo, v28, v24
	v_add_co_ci_u32_e32 v28, vcc_lo, 0, v36, vcc_lo
	s_delay_alu instid0(VALU_DEP_2) | instskip(NEXT) | instid1(VALU_DEP_2)
	v_add_co_u32 v2, vcc_lo, v2, v24
	v_add_co_ci_u32_e32 v23, vcc_lo, v23, v28, vcc_lo
	s_delay_alu instid0(VALU_DEP_2) | instskip(SKIP_1) | instid1(VALU_DEP_3)
	v_mul_hi_u32 v24, s0, v2
	v_mul_lo_u32 v36, s55, v2
	v_mul_lo_u32 v28, s0, v23
	s_delay_alu instid0(VALU_DEP_1) | instskip(SKIP_1) | instid1(VALU_DEP_2)
	v_add_nc_u32_e32 v24, v24, v28
	v_mul_lo_u32 v28, s0, v2
	v_add_nc_u32_e32 v24, v24, v36
	s_delay_alu instid0(VALU_DEP_2) | instskip(NEXT) | instid1(VALU_DEP_2)
	v_mul_hi_u32 v36, v2, v28
	v_mul_lo_u32 v37, v2, v24
	v_mul_hi_u32 v38, v2, v24
	v_mul_hi_u32 v39, v23, v28
	v_mul_lo_u32 v28, v23, v28
	v_mul_hi_u32 v40, v23, v24
	v_mul_lo_u32 v24, v23, v24
	v_add_co_u32 v36, vcc_lo, v36, v37
	v_add_co_ci_u32_e32 v37, vcc_lo, 0, v38, vcc_lo
	s_delay_alu instid0(VALU_DEP_2) | instskip(NEXT) | instid1(VALU_DEP_2)
	v_add_co_u32 v28, vcc_lo, v36, v28
	v_add_co_ci_u32_e32 v28, vcc_lo, v37, v39, vcc_lo
	v_add_co_ci_u32_e32 v36, vcc_lo, 0, v40, vcc_lo
	v_add_co_u32 v32, vcc_lo, v32, v30
	v_add_co_ci_u32_e32 v34, vcc_lo, v34, v30, vcc_lo
	s_delay_alu instid0(VALU_DEP_4) | instskip(NEXT) | instid1(VALU_DEP_4)
	v_add_co_u32 v24, vcc_lo, v28, v24
	v_add_co_ci_u32_e32 v28, vcc_lo, 0, v36, vcc_lo
	s_delay_alu instid0(VALU_DEP_4) | instskip(NEXT) | instid1(VALU_DEP_3)
	v_xor_b32_e32 v32, v32, v30
	v_add_co_u32 v2, vcc_lo, v2, v24
	s_delay_alu instid0(VALU_DEP_3) | instskip(SKIP_1) | instid1(VALU_DEP_3)
	v_add_co_ci_u32_e32 v28, vcc_lo, v23, v28, vcc_lo
	v_xor_b32_e32 v34, v34, v30
	v_mul_hi_u32 v40, v32, v2
	v_xor_b32_e32 v30, s54, v30
	s_delay_alu instid0(VALU_DEP_4) | instskip(NEXT) | instid1(VALU_DEP_4)
	v_mad_u64_u32 v[23:24], null, v32, v28, 0
	v_mad_u64_u32 v[36:37], null, v34, v2, 0
	;; [unrolled: 1-line block ×3, first 2 shown]
	s_delay_alu instid0(VALU_DEP_3) | instskip(NEXT) | instid1(VALU_DEP_4)
	v_add_co_u32 v2, vcc_lo, v40, v23
	v_add_co_ci_u32_e32 v23, vcc_lo, 0, v24, vcc_lo
	s_delay_alu instid0(VALU_DEP_2) | instskip(NEXT) | instid1(VALU_DEP_2)
	v_add_co_u32 v2, vcc_lo, v2, v36
	v_add_co_ci_u32_e32 v2, vcc_lo, v23, v37, vcc_lo
	v_add_co_ci_u32_e32 v23, vcc_lo, 0, v39, vcc_lo
	s_delay_alu instid0(VALU_DEP_2) | instskip(NEXT) | instid1(VALU_DEP_2)
	v_add_co_u32 v2, vcc_lo, v2, v38
	v_add_co_ci_u32_e32 v28, vcc_lo, 0, v23, vcc_lo
	s_delay_alu instid0(VALU_DEP_2) | instskip(SKIP_1) | instid1(VALU_DEP_3)
	v_mul_lo_u32 v36, s57, v2
	v_mad_u64_u32 v[23:24], null, s56, v2, 0
	v_mul_lo_u32 v37, s56, v28
	s_delay_alu instid0(VALU_DEP_2) | instskip(NEXT) | instid1(VALU_DEP_2)
	v_sub_co_u32 v23, vcc_lo, v32, v23
	v_add3_u32 v24, v24, v37, v36
	s_delay_alu instid0(VALU_DEP_1) | instskip(NEXT) | instid1(VALU_DEP_1)
	v_sub_nc_u32_e32 v36, v34, v24
	v_subrev_co_ci_u32_e64 v32, s0, s57, v36, vcc_lo
	v_add_co_u32 v36, s0, v2, 2
	s_delay_alu instid0(VALU_DEP_1) | instskip(SKIP_3) | instid1(VALU_DEP_3)
	v_add_co_ci_u32_e64 v37, s0, 0, v28, s0
	v_sub_co_u32 v38, s0, v23, s56
	v_sub_co_ci_u32_e32 v24, vcc_lo, v34, v24, vcc_lo
	v_subrev_co_ci_u32_e64 v32, s0, 0, v32, s0
	v_cmp_le_u32_e32 vcc_lo, s56, v38
	s_delay_alu instid0(VALU_DEP_3) | instskip(SKIP_1) | instid1(VALU_DEP_4)
	v_cmp_eq_u32_e64 s0, s57, v24
	v_cndmask_b32_e64 v34, 0, -1, vcc_lo
	v_cmp_le_u32_e32 vcc_lo, s57, v32
	v_cndmask_b32_e64 v38, 0, -1, vcc_lo
	v_cmp_le_u32_e32 vcc_lo, s56, v23
	;; [unrolled: 2-line block ×3, first 2 shown]
	v_cndmask_b32_e64 v39, 0, -1, vcc_lo
	v_cmp_eq_u32_e32 vcc_lo, s57, v32
	s_delay_alu instid0(VALU_DEP_2) | instskip(SKIP_3) | instid1(VALU_DEP_3)
	v_cndmask_b32_e64 v23, v39, v23, s0
	v_cndmask_b32_e32 v32, v38, v34, vcc_lo
	v_add_co_u32 v34, vcc_lo, v2, 1
	v_add_co_ci_u32_e32 v38, vcc_lo, 0, v28, vcc_lo
	v_cmp_ne_u32_e32 vcc_lo, 0, v32
	s_delay_alu instid0(VALU_DEP_2) | instskip(NEXT) | instid1(VALU_DEP_4)
	v_cndmask_b32_e32 v24, v38, v37, vcc_lo
	v_cndmask_b32_e32 v32, v34, v36, vcc_lo
	v_cmp_ne_u32_e32 vcc_lo, 0, v23
	s_delay_alu instid0(VALU_DEP_2) | instskip(NEXT) | instid1(VALU_DEP_4)
	v_cndmask_b32_e32 v2, v2, v32, vcc_lo
	v_cndmask_b32_e32 v23, v28, v24, vcc_lo
                                        ; implicit-def: $vgpr32
	s_delay_alu instid0(VALU_DEP_2) | instskip(NEXT) | instid1(VALU_DEP_2)
	v_xor_b32_e32 v2, v2, v30
	v_xor_b32_e32 v24, v23, v30
	s_delay_alu instid0(VALU_DEP_2) | instskip(NEXT) | instid1(VALU_DEP_2)
	v_sub_co_u32 v23, vcc_lo, v2, v30
	v_sub_co_ci_u32_e32 v24, vcc_lo, v24, v30, vcc_lo
.LBB51_45:                              ;   in Loop: Header=BB51_3 Depth=1
	s_or_saveexec_b32 s0, s53
	v_cvt_f32_u32_e32 v28, s34
	s_xor_b32 exec_lo, exec_lo, s0
	s_cbranch_execz .LBB51_47
; %bb.46:                               ;   in Loop: Header=BB51_3 Depth=1
	s_delay_alu instid0(VALU_DEP_1) | instskip(SKIP_3) | instid1(VALU_DEP_1)
	v_rcp_iflag_f32_e32 v2, v28
	s_sub_i32 s53, 0, s34
	s_waitcnt_depctr 0xfff
	v_mul_f32_e32 v2, 0x4f7ffffe, v2
	v_cvt_u32_f32_e32 v2, v2
	s_delay_alu instid0(VALU_DEP_1) | instskip(NEXT) | instid1(VALU_DEP_1)
	v_mul_lo_u32 v23, s53, v2
	v_mul_hi_u32 v23, v2, v23
	s_delay_alu instid0(VALU_DEP_1) | instskip(NEXT) | instid1(VALU_DEP_1)
	v_add_nc_u32_e32 v2, v2, v23
	v_mul_hi_u32 v2, v32, v2
	s_delay_alu instid0(VALU_DEP_1) | instskip(SKIP_1) | instid1(VALU_DEP_2)
	v_mul_lo_u32 v23, v2, s34
	v_add_nc_u32_e32 v24, 1, v2
	v_sub_nc_u32_e32 v23, v32, v23
	s_delay_alu instid0(VALU_DEP_1) | instskip(SKIP_1) | instid1(VALU_DEP_2)
	v_subrev_nc_u32_e32 v30, s34, v23
	v_cmp_le_u32_e32 vcc_lo, s34, v23
	v_dual_cndmask_b32 v23, v23, v30 :: v_dual_cndmask_b32 v2, v2, v24
	s_delay_alu instid0(VALU_DEP_1) | instskip(NEXT) | instid1(VALU_DEP_2)
	v_cmp_le_u32_e32 vcc_lo, s34, v23
	v_add_nc_u32_e32 v24, 1, v2
	s_delay_alu instid0(VALU_DEP_1)
	v_dual_cndmask_b32 v23, v2, v24 :: v_dual_mov_b32 v24, v1
.LBB51_47:                              ;   in Loop: Header=BB51_3 Depth=1
	s_or_b32 exec_lo, exec_lo, s0
	s_delay_alu instid0(VALU_DEP_1) | instskip(NEXT) | instid1(VALU_DEP_2)
	v_mul_lo_u32 v2, v24, s34
	v_mul_lo_u32 v30, v23, s35
	v_mad_u64_u32 v[36:37], null, v23, s34, 0
	v_mul_lo_u32 v32, v23, s13
	s_mov_b32 s0, exec_lo
	s_delay_alu instid0(VALU_DEP_2) | instskip(NEXT) | instid1(VALU_DEP_3)
	v_add3_u32 v2, v37, v30, v2
	v_sub_co_u32 v17, vcc_lo, v17, v36
	v_mul_lo_u32 v30, v24, s12
	s_delay_alu instid0(VALU_DEP_3) | instskip(NEXT) | instid1(VALU_DEP_3)
	v_sub_co_ci_u32_e32 v2, vcc_lo, v18, v2, vcc_lo
	v_add_co_u32 v34, vcc_lo, v3, v17
	v_mad_u64_u32 v[17:18], null, v23, s12, 0
	s_delay_alu instid0(VALU_DEP_3) | instskip(NEXT) | instid1(VALU_DEP_3)
	v_add_co_ci_u32_e32 v2, vcc_lo, v4, v2, vcc_lo
	v_mul_lo_u32 v36, v34, s15
	v_mad_u64_u32 v[23:24], null, v34, s14, 0
	s_delay_alu instid0(VALU_DEP_3) | instskip(SKIP_1) | instid1(VALU_DEP_1)
	v_mul_lo_u32 v2, v2, s14
	v_add3_u32 v18, v18, v32, v30
	v_lshlrev_b64 v[17:18], 3, v[17:18]
	s_delay_alu instid0(VALU_DEP_3) | instskip(SKIP_1) | instid1(VALU_DEP_3)
	v_add3_u32 v24, v24, v36, v2
	v_or_b32_e32 v2, s35, v35
	v_add_co_u32 v17, vcc_lo, s30, v17
	s_delay_alu instid0(VALU_DEP_3) | instskip(SKIP_1) | instid1(VALU_DEP_2)
	v_lshlrev_b64 v[23:24], 3, v[23:24]
	v_add_co_ci_u32_e32 v18, vcc_lo, s31, v18, vcc_lo
	v_add_co_u32 v17, vcc_lo, v17, v23
	s_delay_alu instid0(VALU_DEP_2)
	v_add_co_ci_u32_e32 v18, vcc_lo, v18, v24, vcc_lo
	global_store_b64 v[17:18], v[21:22], off
                                        ; implicit-def: $vgpr17_vgpr18
	v_cmpx_ne_u64_e32 0, v[1:2]
	s_xor_b32 s53, exec_lo, s0
	s_cbranch_execz .LBB51_49
; %bb.48:                               ;   in Loop: Header=BB51_3 Depth=1
	s_ashr_i32 s54, s35, 31
	s_delay_alu instid0(SALU_CYCLE_1) | instskip(SKIP_2) | instid1(SALU_CYCLE_1)
	s_add_u32 s56, s34, s54
	s_mov_b32 s55, s54
	s_addc_u32 s57, s35, s54
	s_xor_b64 s[56:57], s[56:57], s[54:55]
	s_delay_alu instid0(SALU_CYCLE_1) | instskip(SKIP_3) | instid1(VALU_DEP_1)
	v_cvt_f32_u32_e32 v2, s56
	v_cvt_f32_u32_e32 v17, s57
	s_sub_u32 s0, 0, s56
	s_subb_u32 s55, 0, s57
	v_fmac_f32_e32 v2, 0x4f800000, v17
	s_delay_alu instid0(VALU_DEP_1) | instskip(SKIP_2) | instid1(VALU_DEP_1)
	v_rcp_f32_e32 v2, v2
	s_waitcnt_depctr 0xfff
	v_mul_f32_e32 v2, 0x5f7ffffc, v2
	v_mul_f32_e32 v17, 0x2f800000, v2
	s_delay_alu instid0(VALU_DEP_1) | instskip(NEXT) | instid1(VALU_DEP_1)
	v_trunc_f32_e32 v17, v17
	v_fmac_f32_e32 v2, 0xcf800000, v17
	v_cvt_u32_f32_e32 v17, v17
	s_delay_alu instid0(VALU_DEP_2) | instskip(NEXT) | instid1(VALU_DEP_2)
	v_cvt_u32_f32_e32 v2, v2
	v_mul_lo_u32 v18, s0, v17
	s_delay_alu instid0(VALU_DEP_2) | instskip(SKIP_1) | instid1(VALU_DEP_2)
	v_mul_hi_u32 v21, s0, v2
	v_mul_lo_u32 v22, s55, v2
	v_add_nc_u32_e32 v18, v21, v18
	v_mul_lo_u32 v21, s0, v2
	s_delay_alu instid0(VALU_DEP_2) | instskip(NEXT) | instid1(VALU_DEP_2)
	v_add_nc_u32_e32 v18, v18, v22
	v_mul_hi_u32 v22, v2, v21
	s_delay_alu instid0(VALU_DEP_2)
	v_mul_lo_u32 v23, v2, v18
	v_mul_hi_u32 v24, v2, v18
	v_mul_hi_u32 v30, v17, v21
	v_mul_lo_u32 v21, v17, v21
	v_mul_hi_u32 v32, v17, v18
	v_mul_lo_u32 v18, v17, v18
	v_add_co_u32 v22, vcc_lo, v22, v23
	v_add_co_ci_u32_e32 v23, vcc_lo, 0, v24, vcc_lo
	s_delay_alu instid0(VALU_DEP_2) | instskip(NEXT) | instid1(VALU_DEP_2)
	v_add_co_u32 v21, vcc_lo, v22, v21
	v_add_co_ci_u32_e32 v21, vcc_lo, v23, v30, vcc_lo
	v_add_co_ci_u32_e32 v22, vcc_lo, 0, v32, vcc_lo
	s_delay_alu instid0(VALU_DEP_2) | instskip(NEXT) | instid1(VALU_DEP_2)
	v_add_co_u32 v18, vcc_lo, v21, v18
	v_add_co_ci_u32_e32 v21, vcc_lo, 0, v22, vcc_lo
	s_delay_alu instid0(VALU_DEP_2) | instskip(NEXT) | instid1(VALU_DEP_2)
	v_add_co_u32 v2, vcc_lo, v2, v18
	v_add_co_ci_u32_e32 v17, vcc_lo, v17, v21, vcc_lo
	s_delay_alu instid0(VALU_DEP_2) | instskip(SKIP_1) | instid1(VALU_DEP_3)
	v_mul_hi_u32 v18, s0, v2
	v_mul_lo_u32 v22, s55, v2
	v_mul_lo_u32 v21, s0, v17
	s_delay_alu instid0(VALU_DEP_1) | instskip(SKIP_1) | instid1(VALU_DEP_2)
	v_add_nc_u32_e32 v18, v18, v21
	v_mul_lo_u32 v21, s0, v2
	v_add_nc_u32_e32 v18, v18, v22
	s_delay_alu instid0(VALU_DEP_2) | instskip(NEXT) | instid1(VALU_DEP_2)
	v_mul_hi_u32 v22, v2, v21
	v_mul_lo_u32 v23, v2, v18
	v_mul_hi_u32 v24, v2, v18
	v_mul_hi_u32 v30, v17, v21
	v_mul_lo_u32 v21, v17, v21
	v_mul_hi_u32 v32, v17, v18
	v_mul_lo_u32 v18, v17, v18
	v_add_co_u32 v22, vcc_lo, v22, v23
	v_add_co_ci_u32_e32 v23, vcc_lo, 0, v24, vcc_lo
	s_delay_alu instid0(VALU_DEP_2) | instskip(NEXT) | instid1(VALU_DEP_2)
	v_add_co_u32 v21, vcc_lo, v22, v21
	v_add_co_ci_u32_e32 v21, vcc_lo, v23, v30, vcc_lo
	v_add_co_ci_u32_e32 v22, vcc_lo, 0, v32, vcc_lo
	v_add_co_u32 v23, vcc_lo, v33, v31
	v_add_co_ci_u32_e32 v24, vcc_lo, v35, v31, vcc_lo
	s_delay_alu instid0(VALU_DEP_4) | instskip(NEXT) | instid1(VALU_DEP_4)
	v_add_co_u32 v18, vcc_lo, v21, v18
	v_add_co_ci_u32_e32 v21, vcc_lo, 0, v22, vcc_lo
	s_delay_alu instid0(VALU_DEP_4) | instskip(NEXT) | instid1(VALU_DEP_3)
	v_xor_b32_e32 v30, v23, v31
	v_add_co_u32 v2, vcc_lo, v2, v18
	s_delay_alu instid0(VALU_DEP_3) | instskip(SKIP_1) | instid1(VALU_DEP_3)
	v_add_co_ci_u32_e32 v32, vcc_lo, v17, v21, vcc_lo
	v_xor_b32_e32 v33, v24, v31
	v_mul_hi_u32 v34, v30, v2
	s_delay_alu instid0(VALU_DEP_3) | instskip(NEXT) | instid1(VALU_DEP_3)
	v_mad_u64_u32 v[17:18], null, v30, v32, 0
	v_mad_u64_u32 v[21:22], null, v33, v2, 0
	v_mad_u64_u32 v[23:24], null, v33, v32, 0
	s_delay_alu instid0(VALU_DEP_3) | instskip(NEXT) | instid1(VALU_DEP_4)
	v_add_co_u32 v2, vcc_lo, v34, v17
	v_add_co_ci_u32_e32 v17, vcc_lo, 0, v18, vcc_lo
	s_delay_alu instid0(VALU_DEP_2) | instskip(NEXT) | instid1(VALU_DEP_2)
	v_add_co_u32 v2, vcc_lo, v2, v21
	v_add_co_ci_u32_e32 v2, vcc_lo, v17, v22, vcc_lo
	v_add_co_ci_u32_e32 v17, vcc_lo, 0, v24, vcc_lo
	s_delay_alu instid0(VALU_DEP_2) | instskip(NEXT) | instid1(VALU_DEP_2)
	v_add_co_u32 v2, vcc_lo, v2, v23
	v_add_co_ci_u32_e32 v21, vcc_lo, 0, v17, vcc_lo
	s_delay_alu instid0(VALU_DEP_2) | instskip(SKIP_1) | instid1(VALU_DEP_3)
	v_mul_lo_u32 v22, s57, v2
	v_mad_u64_u32 v[17:18], null, s56, v2, 0
	v_mul_lo_u32 v23, s56, v21
	s_delay_alu instid0(VALU_DEP_2) | instskip(NEXT) | instid1(VALU_DEP_2)
	v_sub_co_u32 v17, vcc_lo, v30, v17
	v_add3_u32 v18, v18, v23, v22
	s_delay_alu instid0(VALU_DEP_1) | instskip(NEXT) | instid1(VALU_DEP_1)
	v_sub_nc_u32_e32 v22, v33, v18
	v_subrev_co_ci_u32_e64 v22, s0, s57, v22, vcc_lo
	v_add_co_u32 v23, s0, v2, 2
	s_delay_alu instid0(VALU_DEP_1) | instskip(SKIP_3) | instid1(VALU_DEP_3)
	v_add_co_ci_u32_e64 v24, s0, 0, v21, s0
	v_sub_co_u32 v30, s0, v17, s56
	v_sub_co_ci_u32_e32 v18, vcc_lo, v33, v18, vcc_lo
	v_subrev_co_ci_u32_e64 v22, s0, 0, v22, s0
	v_cmp_le_u32_e32 vcc_lo, s56, v30
	s_delay_alu instid0(VALU_DEP_3) | instskip(SKIP_1) | instid1(VALU_DEP_4)
	v_cmp_eq_u32_e64 s0, s57, v18
	v_cndmask_b32_e64 v30, 0, -1, vcc_lo
	v_cmp_le_u32_e32 vcc_lo, s57, v22
	v_cndmask_b32_e64 v32, 0, -1, vcc_lo
	v_cmp_le_u32_e32 vcc_lo, s56, v17
	v_cndmask_b32_e64 v17, 0, -1, vcc_lo
	v_cmp_le_u32_e32 vcc_lo, s57, v18
	v_cndmask_b32_e64 v33, 0, -1, vcc_lo
	v_cmp_eq_u32_e32 vcc_lo, s57, v22
	s_delay_alu instid0(VALU_DEP_2) | instskip(SKIP_3) | instid1(VALU_DEP_3)
	v_cndmask_b32_e64 v17, v33, v17, s0
	v_cndmask_b32_e32 v22, v32, v30, vcc_lo
	v_add_co_u32 v30, vcc_lo, v2, 1
	v_add_co_ci_u32_e32 v32, vcc_lo, 0, v21, vcc_lo
	v_cmp_ne_u32_e32 vcc_lo, 0, v22
                                        ; implicit-def: $vgpr33
	s_delay_alu instid0(VALU_DEP_2) | instskip(NEXT) | instid1(VALU_DEP_4)
	v_cndmask_b32_e32 v18, v32, v24, vcc_lo
	v_cndmask_b32_e32 v22, v30, v23, vcc_lo
	v_cmp_ne_u32_e32 vcc_lo, 0, v17
	v_xor_b32_e32 v23, s54, v31
	s_delay_alu instid0(VALU_DEP_3) | instskip(SKIP_1) | instid1(VALU_DEP_2)
	v_cndmask_b32_e32 v2, v2, v22, vcc_lo
	v_cndmask_b32_e32 v17, v21, v18, vcc_lo
	v_xor_b32_e32 v2, v2, v23
	s_delay_alu instid0(VALU_DEP_2) | instskip(NEXT) | instid1(VALU_DEP_2)
	v_xor_b32_e32 v18, v17, v23
	v_sub_co_u32 v17, vcc_lo, v2, v23
	s_delay_alu instid0(VALU_DEP_2)
	v_sub_co_ci_u32_e32 v18, vcc_lo, v18, v23, vcc_lo
.LBB51_49:                              ;   in Loop: Header=BB51_3 Depth=1
	s_and_not1_saveexec_b32 s0, s53
	s_cbranch_execz .LBB51_51
; %bb.50:                               ;   in Loop: Header=BB51_3 Depth=1
	v_rcp_iflag_f32_e32 v2, v28
	s_sub_i32 s53, 0, s34
	s_waitcnt_depctr 0xfff
	v_mul_f32_e32 v2, 0x4f7ffffe, v2
	s_delay_alu instid0(VALU_DEP_1) | instskip(NEXT) | instid1(VALU_DEP_1)
	v_cvt_u32_f32_e32 v2, v2
	v_mul_lo_u32 v17, s53, v2
	s_delay_alu instid0(VALU_DEP_1) | instskip(NEXT) | instid1(VALU_DEP_1)
	v_mul_hi_u32 v17, v2, v17
	v_add_nc_u32_e32 v2, v2, v17
	s_delay_alu instid0(VALU_DEP_1) | instskip(NEXT) | instid1(VALU_DEP_1)
	v_mul_hi_u32 v2, v33, v2
	v_mul_lo_u32 v17, v2, s34
	v_add_nc_u32_e32 v18, 1, v2
	s_delay_alu instid0(VALU_DEP_2) | instskip(NEXT) | instid1(VALU_DEP_1)
	v_sub_nc_u32_e32 v17, v33, v17
	v_subrev_nc_u32_e32 v21, s34, v17
	v_cmp_le_u32_e32 vcc_lo, s34, v17
	s_delay_alu instid0(VALU_DEP_2) | instskip(NEXT) | instid1(VALU_DEP_1)
	v_dual_cndmask_b32 v17, v17, v21 :: v_dual_cndmask_b32 v2, v2, v18
	v_cmp_le_u32_e32 vcc_lo, s34, v17
	s_delay_alu instid0(VALU_DEP_2) | instskip(NEXT) | instid1(VALU_DEP_1)
	v_add_nc_u32_e32 v18, 1, v2
	v_dual_cndmask_b32 v17, v2, v18 :: v_dual_mov_b32 v18, v1
.LBB51_51:                              ;   in Loop: Header=BB51_3 Depth=1
	s_or_b32 exec_lo, exec_lo, s0
	s_delay_alu instid0(VALU_DEP_1) | instskip(NEXT) | instid1(VALU_DEP_2)
	v_mul_lo_u32 v2, v18, s34
	v_mul_lo_u32 v23, v17, s35
	v_mad_u64_u32 v[21:22], null, v17, s34, 0
	s_mov_b32 s0, exec_lo
	s_delay_alu instid0(VALU_DEP_1) | instskip(NEXT) | instid1(VALU_DEP_2)
	v_add3_u32 v2, v22, v23, v2
	v_sub_co_u32 v9, vcc_lo, v9, v21
	v_mul_lo_u32 v22, v18, s12
	v_mul_lo_u32 v21, v17, s13
	s_delay_alu instid0(VALU_DEP_4) | instskip(NEXT) | instid1(VALU_DEP_4)
	v_sub_co_ci_u32_e32 v2, vcc_lo, v10, v2, vcc_lo
	v_add_co_u32 v23, vcc_lo, v3, v9
	v_mad_u64_u32 v[9:10], null, v17, s12, 0
	s_delay_alu instid0(VALU_DEP_3) | instskip(NEXT) | instid1(VALU_DEP_3)
	v_add_co_ci_u32_e32 v2, vcc_lo, v4, v2, vcc_lo
	v_mul_lo_u32 v24, v23, s15
	v_mad_u64_u32 v[17:18], null, v23, s14, 0
	s_delay_alu instid0(VALU_DEP_3) | instskip(SKIP_1) | instid1(VALU_DEP_1)
	v_mul_lo_u32 v2, v2, s14
	v_add3_u32 v10, v10, v21, v22
	v_lshlrev_b64 v[9:10], 3, v[9:10]
	s_delay_alu instid0(VALU_DEP_3) | instskip(SKIP_1) | instid1(VALU_DEP_3)
	v_add3_u32 v18, v18, v24, v2
	v_or_b32_e32 v2, s35, v27
	v_add_co_u32 v9, vcc_lo, s30, v9
	s_delay_alu instid0(VALU_DEP_3) | instskip(SKIP_1) | instid1(VALU_DEP_2)
	v_lshlrev_b64 v[17:18], 3, v[17:18]
	v_add_co_ci_u32_e32 v10, vcc_lo, s31, v10, vcc_lo
	v_add_co_u32 v9, vcc_lo, v9, v17
	s_delay_alu instid0(VALU_DEP_2)
	v_add_co_ci_u32_e32 v10, vcc_lo, v10, v18, vcc_lo
	global_store_b64 v[9:10], v[19:20], off
                                        ; implicit-def: $vgpr9_vgpr10
	v_cmpx_ne_u64_e32 0, v[1:2]
	s_xor_b32 s53, exec_lo, s0
	s_cbranch_execz .LBB51_53
; %bb.52:                               ;   in Loop: Header=BB51_3 Depth=1
	s_ashr_i32 s54, s35, 31
                                        ; implicit-def: $vgpr28
	s_delay_alu instid0(SALU_CYCLE_1) | instskip(SKIP_2) | instid1(SALU_CYCLE_1)
	s_add_u32 s56, s34, s54
	s_mov_b32 s55, s54
	s_addc_u32 s57, s35, s54
	s_xor_b64 s[56:57], s[56:57], s[54:55]
	s_delay_alu instid0(SALU_CYCLE_1) | instskip(SKIP_3) | instid1(VALU_DEP_1)
	v_cvt_f32_u32_e32 v2, s56
	v_cvt_f32_u32_e32 v9, s57
	s_sub_u32 s0, 0, s56
	s_subb_u32 s55, 0, s57
	v_fmac_f32_e32 v2, 0x4f800000, v9
	s_delay_alu instid0(VALU_DEP_1) | instskip(SKIP_2) | instid1(VALU_DEP_1)
	v_rcp_f32_e32 v2, v2
	s_waitcnt_depctr 0xfff
	v_mul_f32_e32 v2, 0x5f7ffffc, v2
	v_mul_f32_e32 v9, 0x2f800000, v2
	s_delay_alu instid0(VALU_DEP_1) | instskip(NEXT) | instid1(VALU_DEP_1)
	v_trunc_f32_e32 v9, v9
	v_fmac_f32_e32 v2, 0xcf800000, v9
	v_cvt_u32_f32_e32 v9, v9
	s_delay_alu instid0(VALU_DEP_2) | instskip(NEXT) | instid1(VALU_DEP_2)
	v_cvt_u32_f32_e32 v2, v2
	v_mul_lo_u32 v10, s0, v9
	s_delay_alu instid0(VALU_DEP_2) | instskip(SKIP_1) | instid1(VALU_DEP_2)
	v_mul_hi_u32 v17, s0, v2
	v_mul_lo_u32 v18, s55, v2
	v_add_nc_u32_e32 v10, v17, v10
	v_mul_lo_u32 v17, s0, v2
	s_delay_alu instid0(VALU_DEP_2) | instskip(NEXT) | instid1(VALU_DEP_2)
	v_add_nc_u32_e32 v10, v10, v18
	v_mul_hi_u32 v18, v2, v17
	s_delay_alu instid0(VALU_DEP_2)
	v_mul_lo_u32 v19, v2, v10
	v_mul_hi_u32 v20, v2, v10
	v_mul_hi_u32 v21, v9, v17
	v_mul_lo_u32 v17, v9, v17
	v_mul_hi_u32 v22, v9, v10
	v_mul_lo_u32 v10, v9, v10
	v_add_co_u32 v18, vcc_lo, v18, v19
	v_add_co_ci_u32_e32 v19, vcc_lo, 0, v20, vcc_lo
	s_delay_alu instid0(VALU_DEP_2) | instskip(NEXT) | instid1(VALU_DEP_2)
	v_add_co_u32 v17, vcc_lo, v18, v17
	v_add_co_ci_u32_e32 v17, vcc_lo, v19, v21, vcc_lo
	v_add_co_ci_u32_e32 v18, vcc_lo, 0, v22, vcc_lo
	s_delay_alu instid0(VALU_DEP_2) | instskip(NEXT) | instid1(VALU_DEP_2)
	v_add_co_u32 v10, vcc_lo, v17, v10
	v_add_co_ci_u32_e32 v17, vcc_lo, 0, v18, vcc_lo
	s_delay_alu instid0(VALU_DEP_2) | instskip(NEXT) | instid1(VALU_DEP_2)
	v_add_co_u32 v2, vcc_lo, v2, v10
	v_add_co_ci_u32_e32 v9, vcc_lo, v9, v17, vcc_lo
	s_delay_alu instid0(VALU_DEP_2) | instskip(SKIP_1) | instid1(VALU_DEP_3)
	v_mul_hi_u32 v10, s0, v2
	v_mul_lo_u32 v18, s55, v2
	v_mul_lo_u32 v17, s0, v9
	s_delay_alu instid0(VALU_DEP_1) | instskip(SKIP_1) | instid1(VALU_DEP_2)
	v_add_nc_u32_e32 v10, v10, v17
	v_mul_lo_u32 v17, s0, v2
	v_add_nc_u32_e32 v10, v10, v18
	s_delay_alu instid0(VALU_DEP_2) | instskip(NEXT) | instid1(VALU_DEP_2)
	v_mul_hi_u32 v18, v2, v17
	v_mul_lo_u32 v19, v2, v10
	v_mul_hi_u32 v20, v2, v10
	v_mul_hi_u32 v21, v9, v17
	v_mul_lo_u32 v17, v9, v17
	v_mul_hi_u32 v22, v9, v10
	v_mul_lo_u32 v10, v9, v10
	v_add_co_u32 v18, vcc_lo, v18, v19
	v_add_co_ci_u32_e32 v19, vcc_lo, 0, v20, vcc_lo
	s_delay_alu instid0(VALU_DEP_2) | instskip(NEXT) | instid1(VALU_DEP_2)
	v_add_co_u32 v17, vcc_lo, v18, v17
	v_add_co_ci_u32_e32 v17, vcc_lo, v19, v21, vcc_lo
	v_add_co_ci_u32_e32 v18, vcc_lo, 0, v22, vcc_lo
	v_add_co_u32 v19, vcc_lo, v26, v25
	v_add_co_ci_u32_e32 v20, vcc_lo, v27, v25, vcc_lo
	s_delay_alu instid0(VALU_DEP_4) | instskip(NEXT) | instid1(VALU_DEP_4)
	v_add_co_u32 v10, vcc_lo, v17, v10
	v_add_co_ci_u32_e32 v17, vcc_lo, 0, v18, vcc_lo
	s_delay_alu instid0(VALU_DEP_4) | instskip(NEXT) | instid1(VALU_DEP_3)
	v_xor_b32_e32 v21, v19, v25
	v_add_co_u32 v2, vcc_lo, v2, v10
	s_delay_alu instid0(VALU_DEP_3) | instskip(SKIP_1) | instid1(VALU_DEP_3)
	v_add_co_ci_u32_e32 v22, vcc_lo, v9, v17, vcc_lo
	v_xor_b32_e32 v23, v20, v25
	v_mul_hi_u32 v24, v21, v2
                                        ; implicit-def: $vgpr26
	s_delay_alu instid0(VALU_DEP_3) | instskip(NEXT) | instid1(VALU_DEP_3)
	v_mad_u64_u32 v[9:10], null, v21, v22, 0
	v_mad_u64_u32 v[17:18], null, v23, v2, 0
	;; [unrolled: 1-line block ×3, first 2 shown]
	s_delay_alu instid0(VALU_DEP_3) | instskip(NEXT) | instid1(VALU_DEP_4)
	v_add_co_u32 v2, vcc_lo, v24, v9
	v_add_co_ci_u32_e32 v9, vcc_lo, 0, v10, vcc_lo
	s_delay_alu instid0(VALU_DEP_2) | instskip(NEXT) | instid1(VALU_DEP_2)
	v_add_co_u32 v2, vcc_lo, v2, v17
	v_add_co_ci_u32_e32 v2, vcc_lo, v9, v18, vcc_lo
	v_add_co_ci_u32_e32 v9, vcc_lo, 0, v20, vcc_lo
	s_delay_alu instid0(VALU_DEP_2) | instskip(NEXT) | instid1(VALU_DEP_2)
	v_add_co_u32 v2, vcc_lo, v2, v19
	v_add_co_ci_u32_e32 v17, vcc_lo, 0, v9, vcc_lo
	s_delay_alu instid0(VALU_DEP_2) | instskip(SKIP_1) | instid1(VALU_DEP_3)
	v_mul_lo_u32 v18, s57, v2
	v_mad_u64_u32 v[9:10], null, s56, v2, 0
	v_mul_lo_u32 v19, s56, v17
	s_delay_alu instid0(VALU_DEP_2) | instskip(NEXT) | instid1(VALU_DEP_2)
	v_sub_co_u32 v9, vcc_lo, v21, v9
	v_add3_u32 v10, v10, v19, v18
	s_delay_alu instid0(VALU_DEP_1) | instskip(NEXT) | instid1(VALU_DEP_1)
	v_sub_nc_u32_e32 v18, v23, v10
	v_subrev_co_ci_u32_e64 v18, s0, s57, v18, vcc_lo
	v_add_co_u32 v19, s0, v2, 2
	s_delay_alu instid0(VALU_DEP_1) | instskip(SKIP_3) | instid1(VALU_DEP_3)
	v_add_co_ci_u32_e64 v20, s0, 0, v17, s0
	v_sub_co_u32 v21, s0, v9, s56
	v_sub_co_ci_u32_e32 v10, vcc_lo, v23, v10, vcc_lo
	v_subrev_co_ci_u32_e64 v18, s0, 0, v18, s0
	v_cmp_le_u32_e32 vcc_lo, s56, v21
	s_delay_alu instid0(VALU_DEP_3) | instskip(SKIP_1) | instid1(VALU_DEP_4)
	v_cmp_eq_u32_e64 s0, s57, v10
	v_cndmask_b32_e64 v21, 0, -1, vcc_lo
	v_cmp_le_u32_e32 vcc_lo, s57, v18
	v_cndmask_b32_e64 v22, 0, -1, vcc_lo
	v_cmp_le_u32_e32 vcc_lo, s56, v9
	;; [unrolled: 2-line block ×3, first 2 shown]
	v_cndmask_b32_e64 v23, 0, -1, vcc_lo
	v_cmp_eq_u32_e32 vcc_lo, s57, v18
	s_delay_alu instid0(VALU_DEP_2) | instskip(SKIP_3) | instid1(VALU_DEP_3)
	v_cndmask_b32_e64 v9, v23, v9, s0
	v_cndmask_b32_e32 v18, v22, v21, vcc_lo
	v_add_co_u32 v21, vcc_lo, v2, 1
	v_add_co_ci_u32_e32 v22, vcc_lo, 0, v17, vcc_lo
	v_cmp_ne_u32_e32 vcc_lo, 0, v18
	s_delay_alu instid0(VALU_DEP_2) | instskip(NEXT) | instid1(VALU_DEP_4)
	v_cndmask_b32_e32 v10, v22, v20, vcc_lo
	v_cndmask_b32_e32 v18, v21, v19, vcc_lo
	v_cmp_ne_u32_e32 vcc_lo, 0, v9
	v_xor_b32_e32 v19, s54, v25
	s_delay_alu instid0(VALU_DEP_3) | instskip(SKIP_1) | instid1(VALU_DEP_2)
	v_cndmask_b32_e32 v2, v2, v18, vcc_lo
	v_cndmask_b32_e32 v9, v17, v10, vcc_lo
	v_xor_b32_e32 v2, v2, v19
	s_delay_alu instid0(VALU_DEP_2) | instskip(NEXT) | instid1(VALU_DEP_2)
	v_xor_b32_e32 v10, v9, v19
	v_sub_co_u32 v9, vcc_lo, v2, v19
	s_delay_alu instid0(VALU_DEP_2)
	v_sub_co_ci_u32_e32 v10, vcc_lo, v10, v19, vcc_lo
.LBB51_53:                              ;   in Loop: Header=BB51_3 Depth=1
	s_and_not1_saveexec_b32 s0, s53
	s_cbranch_execz .LBB51_55
; %bb.54:                               ;   in Loop: Header=BB51_3 Depth=1
	v_rcp_iflag_f32_e32 v2, v28
	s_sub_i32 s53, 0, s34
	s_waitcnt_depctr 0xfff
	v_mul_f32_e32 v2, 0x4f7ffffe, v2
	s_delay_alu instid0(VALU_DEP_1) | instskip(NEXT) | instid1(VALU_DEP_1)
	v_cvt_u32_f32_e32 v2, v2
	v_mul_lo_u32 v9, s53, v2
	s_delay_alu instid0(VALU_DEP_1) | instskip(NEXT) | instid1(VALU_DEP_1)
	v_mul_hi_u32 v9, v2, v9
	v_add_nc_u32_e32 v2, v2, v9
	s_delay_alu instid0(VALU_DEP_1) | instskip(NEXT) | instid1(VALU_DEP_1)
	v_mul_hi_u32 v2, v26, v2
	v_mul_lo_u32 v9, v2, s34
	v_add_nc_u32_e32 v10, 1, v2
	s_delay_alu instid0(VALU_DEP_2) | instskip(NEXT) | instid1(VALU_DEP_1)
	v_sub_nc_u32_e32 v9, v26, v9
	v_subrev_nc_u32_e32 v17, s34, v9
	v_cmp_le_u32_e32 vcc_lo, s34, v9
	s_delay_alu instid0(VALU_DEP_2) | instskip(NEXT) | instid1(VALU_DEP_1)
	v_dual_cndmask_b32 v9, v9, v17 :: v_dual_cndmask_b32 v2, v2, v10
	v_cmp_le_u32_e32 vcc_lo, s34, v9
	s_delay_alu instid0(VALU_DEP_2) | instskip(NEXT) | instid1(VALU_DEP_1)
	v_add_nc_u32_e32 v10, 1, v2
	v_dual_cndmask_b32 v9, v2, v10 :: v_dual_mov_b32 v10, v1
.LBB51_55:                              ;   in Loop: Header=BB51_3 Depth=1
	s_or_b32 exec_lo, exec_lo, s0
	s_delay_alu instid0(VALU_DEP_1) | instskip(NEXT) | instid1(VALU_DEP_2)
	v_mul_lo_u32 v2, v10, s34
	v_mul_lo_u32 v19, v9, s35
	v_mad_u64_u32 v[17:18], null, v9, s34, 0
	v_mul_f64 v[5:6], v[5:6], v[13:14]
	v_mad_u64_u32 v[13:14], null, v9, s12, 0
	s_mov_b32 s0, exec_lo
	s_delay_alu instid0(VALU_DEP_3) | instskip(SKIP_3) | instid1(VALU_DEP_4)
	v_add3_u32 v2, v18, v19, v2
	v_mul_lo_u32 v18, v10, s12
	v_sub_co_u32 v10, vcc_lo, v15, v17
	v_mul_lo_u32 v15, v9, s13
	v_sub_co_ci_u32_e32 v2, vcc_lo, v16, v2, vcc_lo
	s_delay_alu instid0(VALU_DEP_3) | instskip(NEXT) | instid1(VALU_DEP_2)
	v_add_co_u32 v16, vcc_lo, v3, v10
	v_add_co_ci_u32_e32 v2, vcc_lo, v4, v2, vcc_lo
	s_delay_alu instid0(VALU_DEP_2) | instskip(SKIP_1) | instid1(VALU_DEP_3)
	v_mul_lo_u32 v17, v16, s15
	v_mad_u64_u32 v[9:10], null, v16, s14, 0
	v_mul_lo_u32 v2, v2, s14
	v_add3_u32 v14, v14, v15, v18
	s_delay_alu instid0(VALU_DEP_1) | instskip(NEXT) | instid1(VALU_DEP_3)
	v_lshlrev_b64 v[13:14], 3, v[13:14]
	v_add3_u32 v10, v10, v17, v2
	v_or_b32_e32 v2, s43, v4
	s_delay_alu instid0(VALU_DEP_3) | instskip(NEXT) | instid1(VALU_DEP_3)
	v_add_co_u32 v13, vcc_lo, s30, v13
	v_lshlrev_b64 v[9:10], 3, v[9:10]
	v_add_co_ci_u32_e32 v14, vcc_lo, s31, v14, vcc_lo
	s_delay_alu instid0(VALU_DEP_2) | instskip(NEXT) | instid1(VALU_DEP_2)
	v_add_co_u32 v9, vcc_lo, v13, v9
	v_add_co_ci_u32_e32 v10, vcc_lo, v14, v10, vcc_lo
	global_store_b64 v[9:10], v[5:6], off
                                        ; implicit-def: $vgpr5_vgpr6
	v_cmpx_ne_u64_e32 0, v[1:2]
	s_xor_b32 s53, exec_lo, s0
	s_cbranch_execz .LBB51_57
; %bb.56:                               ;   in Loop: Header=BB51_3 Depth=1
	s_ashr_i32 s54, s43, 31
	s_delay_alu instid0(SALU_CYCLE_1) | instskip(SKIP_2) | instid1(SALU_CYCLE_1)
	s_add_u32 s56, s42, s54
	s_mov_b32 s55, s54
	s_addc_u32 s57, s43, s54
	s_xor_b64 s[56:57], s[56:57], s[54:55]
	s_delay_alu instid0(SALU_CYCLE_1) | instskip(SKIP_3) | instid1(VALU_DEP_1)
	v_cvt_f32_u32_e32 v2, s56
	v_cvt_f32_u32_e32 v5, s57
	s_sub_u32 s0, 0, s56
	s_subb_u32 s55, 0, s57
	v_fmac_f32_e32 v2, 0x4f800000, v5
	s_delay_alu instid0(VALU_DEP_1) | instskip(SKIP_2) | instid1(VALU_DEP_1)
	v_rcp_f32_e32 v2, v2
	s_waitcnt_depctr 0xfff
	v_mul_f32_e32 v2, 0x5f7ffffc, v2
	v_mul_f32_e32 v5, 0x2f800000, v2
	s_delay_alu instid0(VALU_DEP_1) | instskip(NEXT) | instid1(VALU_DEP_1)
	v_trunc_f32_e32 v5, v5
	v_fmac_f32_e32 v2, 0xcf800000, v5
	v_cvt_u32_f32_e32 v5, v5
	s_delay_alu instid0(VALU_DEP_2) | instskip(NEXT) | instid1(VALU_DEP_2)
	v_cvt_u32_f32_e32 v2, v2
	v_mul_lo_u32 v6, s0, v5
	s_delay_alu instid0(VALU_DEP_2) | instskip(SKIP_1) | instid1(VALU_DEP_2)
	v_mul_hi_u32 v9, s0, v2
	v_mul_lo_u32 v10, s55, v2
	v_add_nc_u32_e32 v6, v9, v6
	v_mul_lo_u32 v9, s0, v2
	s_delay_alu instid0(VALU_DEP_2) | instskip(NEXT) | instid1(VALU_DEP_2)
	v_add_nc_u32_e32 v6, v6, v10
	v_mul_hi_u32 v10, v2, v9
	s_delay_alu instid0(VALU_DEP_2)
	v_mul_lo_u32 v13, v2, v6
	v_mul_hi_u32 v14, v2, v6
	v_mul_hi_u32 v15, v5, v9
	v_mul_lo_u32 v9, v5, v9
	v_mul_hi_u32 v16, v5, v6
	v_mul_lo_u32 v6, v5, v6
	v_add_co_u32 v10, vcc_lo, v10, v13
	v_add_co_ci_u32_e32 v13, vcc_lo, 0, v14, vcc_lo
	s_delay_alu instid0(VALU_DEP_2) | instskip(NEXT) | instid1(VALU_DEP_2)
	v_add_co_u32 v9, vcc_lo, v10, v9
	v_add_co_ci_u32_e32 v9, vcc_lo, v13, v15, vcc_lo
	v_add_co_ci_u32_e32 v10, vcc_lo, 0, v16, vcc_lo
	s_delay_alu instid0(VALU_DEP_2) | instskip(NEXT) | instid1(VALU_DEP_2)
	v_add_co_u32 v6, vcc_lo, v9, v6
	v_add_co_ci_u32_e32 v9, vcc_lo, 0, v10, vcc_lo
	s_delay_alu instid0(VALU_DEP_2) | instskip(NEXT) | instid1(VALU_DEP_2)
	v_add_co_u32 v2, vcc_lo, v2, v6
	v_add_co_ci_u32_e32 v5, vcc_lo, v5, v9, vcc_lo
	s_delay_alu instid0(VALU_DEP_2) | instskip(SKIP_1) | instid1(VALU_DEP_3)
	v_mul_hi_u32 v6, s0, v2
	v_mul_lo_u32 v10, s55, v2
	v_mul_lo_u32 v9, s0, v5
	s_delay_alu instid0(VALU_DEP_1) | instskip(SKIP_1) | instid1(VALU_DEP_2)
	v_add_nc_u32_e32 v6, v6, v9
	v_mul_lo_u32 v9, s0, v2
	v_add_nc_u32_e32 v6, v6, v10
	s_delay_alu instid0(VALU_DEP_2) | instskip(NEXT) | instid1(VALU_DEP_2)
	v_mul_hi_u32 v10, v2, v9
	v_mul_lo_u32 v13, v2, v6
	v_mul_hi_u32 v14, v2, v6
	v_mul_hi_u32 v15, v5, v9
	v_mul_lo_u32 v9, v5, v9
	v_mul_hi_u32 v16, v5, v6
	v_mul_lo_u32 v6, v5, v6
	v_add_co_u32 v10, vcc_lo, v10, v13
	v_add_co_ci_u32_e32 v13, vcc_lo, 0, v14, vcc_lo
	s_delay_alu instid0(VALU_DEP_2) | instskip(NEXT) | instid1(VALU_DEP_2)
	v_add_co_u32 v9, vcc_lo, v10, v9
	v_add_co_ci_u32_e32 v9, vcc_lo, v13, v15, vcc_lo
	v_add_co_ci_u32_e32 v10, vcc_lo, 0, v16, vcc_lo
	v_add_co_u32 v13, vcc_lo, v3, v29
	v_add_co_ci_u32_e32 v14, vcc_lo, v4, v29, vcc_lo
	s_delay_alu instid0(VALU_DEP_4) | instskip(NEXT) | instid1(VALU_DEP_4)
	v_add_co_u32 v6, vcc_lo, v9, v6
	v_add_co_ci_u32_e32 v9, vcc_lo, 0, v10, vcc_lo
	s_delay_alu instid0(VALU_DEP_4) | instskip(NEXT) | instid1(VALU_DEP_3)
	v_xor_b32_e32 v15, v13, v29
	v_add_co_u32 v2, vcc_lo, v2, v6
	s_delay_alu instid0(VALU_DEP_3) | instskip(SKIP_1) | instid1(VALU_DEP_3)
	v_add_co_ci_u32_e32 v16, vcc_lo, v5, v9, vcc_lo
	v_xor_b32_e32 v17, v14, v29
	v_mul_hi_u32 v18, v15, v2
	s_delay_alu instid0(VALU_DEP_3) | instskip(NEXT) | instid1(VALU_DEP_3)
	v_mad_u64_u32 v[5:6], null, v15, v16, 0
	v_mad_u64_u32 v[9:10], null, v17, v2, 0
	v_mad_u64_u32 v[13:14], null, v17, v16, 0
	s_delay_alu instid0(VALU_DEP_3) | instskip(NEXT) | instid1(VALU_DEP_4)
	v_add_co_u32 v2, vcc_lo, v18, v5
	v_add_co_ci_u32_e32 v5, vcc_lo, 0, v6, vcc_lo
	s_delay_alu instid0(VALU_DEP_2) | instskip(NEXT) | instid1(VALU_DEP_2)
	v_add_co_u32 v2, vcc_lo, v2, v9
	v_add_co_ci_u32_e32 v2, vcc_lo, v5, v10, vcc_lo
	v_add_co_ci_u32_e32 v5, vcc_lo, 0, v14, vcc_lo
	s_delay_alu instid0(VALU_DEP_2) | instskip(NEXT) | instid1(VALU_DEP_2)
	v_add_co_u32 v2, vcc_lo, v2, v13
	v_add_co_ci_u32_e32 v9, vcc_lo, 0, v5, vcc_lo
	s_delay_alu instid0(VALU_DEP_2) | instskip(SKIP_1) | instid1(VALU_DEP_3)
	v_mul_lo_u32 v10, s57, v2
	v_mad_u64_u32 v[5:6], null, s56, v2, 0
	v_mul_lo_u32 v13, s56, v9
	s_delay_alu instid0(VALU_DEP_2) | instskip(NEXT) | instid1(VALU_DEP_2)
	v_sub_co_u32 v5, vcc_lo, v15, v5
	v_add3_u32 v6, v6, v13, v10
	s_delay_alu instid0(VALU_DEP_1) | instskip(NEXT) | instid1(VALU_DEP_1)
	v_sub_nc_u32_e32 v10, v17, v6
	v_subrev_co_ci_u32_e64 v10, s0, s57, v10, vcc_lo
	v_add_co_u32 v13, s0, v2, 2
	s_delay_alu instid0(VALU_DEP_1) | instskip(SKIP_3) | instid1(VALU_DEP_3)
	v_add_co_ci_u32_e64 v14, s0, 0, v9, s0
	v_sub_co_u32 v15, s0, v5, s56
	v_sub_co_ci_u32_e32 v6, vcc_lo, v17, v6, vcc_lo
	v_subrev_co_ci_u32_e64 v10, s0, 0, v10, s0
	v_cmp_le_u32_e32 vcc_lo, s56, v15
	s_delay_alu instid0(VALU_DEP_3) | instskip(SKIP_1) | instid1(VALU_DEP_4)
	v_cmp_eq_u32_e64 s0, s57, v6
	v_cndmask_b32_e64 v15, 0, -1, vcc_lo
	v_cmp_le_u32_e32 vcc_lo, s57, v10
	v_cndmask_b32_e64 v16, 0, -1, vcc_lo
	v_cmp_le_u32_e32 vcc_lo, s56, v5
	;; [unrolled: 2-line block ×3, first 2 shown]
	v_cndmask_b32_e64 v17, 0, -1, vcc_lo
	v_cmp_eq_u32_e32 vcc_lo, s57, v10
	s_delay_alu instid0(VALU_DEP_2) | instskip(SKIP_3) | instid1(VALU_DEP_3)
	v_cndmask_b32_e64 v5, v17, v5, s0
	v_cndmask_b32_e32 v10, v16, v15, vcc_lo
	v_add_co_u32 v15, vcc_lo, v2, 1
	v_add_co_ci_u32_e32 v16, vcc_lo, 0, v9, vcc_lo
	v_cmp_ne_u32_e32 vcc_lo, 0, v10
	s_delay_alu instid0(VALU_DEP_2) | instskip(NEXT) | instid1(VALU_DEP_4)
	v_cndmask_b32_e32 v6, v16, v14, vcc_lo
	v_cndmask_b32_e32 v10, v15, v13, vcc_lo
	v_cmp_ne_u32_e32 vcc_lo, 0, v5
	v_xor_b32_e32 v13, s54, v29
	s_delay_alu instid0(VALU_DEP_3) | instskip(SKIP_1) | instid1(VALU_DEP_2)
	v_cndmask_b32_e32 v2, v2, v10, vcc_lo
	v_cndmask_b32_e32 v5, v9, v6, vcc_lo
	v_xor_b32_e32 v2, v2, v13
	s_delay_alu instid0(VALU_DEP_2) | instskip(NEXT) | instid1(VALU_DEP_2)
	v_xor_b32_e32 v6, v5, v13
	v_sub_co_u32 v5, vcc_lo, v2, v13
	s_delay_alu instid0(VALU_DEP_2)
	v_sub_co_ci_u32_e32 v6, vcc_lo, v6, v13, vcc_lo
.LBB51_57:                              ;   in Loop: Header=BB51_3 Depth=1
	s_and_not1_saveexec_b32 s0, s53
	s_cbranch_execz .LBB51_2
; %bb.58:                               ;   in Loop: Header=BB51_3 Depth=1
	v_cvt_f32_u32_e32 v2, s42
	s_sub_i32 s53, 0, s42
	s_delay_alu instid0(VALU_DEP_1) | instskip(SKIP_2) | instid1(VALU_DEP_1)
	v_rcp_iflag_f32_e32 v2, v2
	s_waitcnt_depctr 0xfff
	v_mul_f32_e32 v2, 0x4f7ffffe, v2
	v_cvt_u32_f32_e32 v2, v2
	s_delay_alu instid0(VALU_DEP_1) | instskip(NEXT) | instid1(VALU_DEP_1)
	v_mul_lo_u32 v5, s53, v2
	v_mul_hi_u32 v5, v2, v5
	s_delay_alu instid0(VALU_DEP_1) | instskip(NEXT) | instid1(VALU_DEP_1)
	v_add_nc_u32_e32 v2, v2, v5
	v_mul_hi_u32 v2, v3, v2
	s_delay_alu instid0(VALU_DEP_1) | instskip(SKIP_1) | instid1(VALU_DEP_2)
	v_mul_lo_u32 v5, v2, s42
	v_add_nc_u32_e32 v6, 1, v2
	v_sub_nc_u32_e32 v5, v3, v5
	s_delay_alu instid0(VALU_DEP_1) | instskip(SKIP_1) | instid1(VALU_DEP_2)
	v_subrev_nc_u32_e32 v9, s42, v5
	v_cmp_le_u32_e32 vcc_lo, s42, v5
	v_dual_cndmask_b32 v5, v5, v9 :: v_dual_cndmask_b32 v2, v2, v6
	s_delay_alu instid0(VALU_DEP_1) | instskip(NEXT) | instid1(VALU_DEP_2)
	v_cmp_le_u32_e32 vcc_lo, s42, v5
	v_add_nc_u32_e32 v6, 1, v2
	s_delay_alu instid0(VALU_DEP_1)
	v_dual_cndmask_b32 v5, v2, v6 :: v_dual_mov_b32 v6, v1
	s_branch .LBB51_2
.LBB51_59:
	s_nop 0
	s_sendmsg sendmsg(MSG_DEALLOC_VGPRS)
	s_endpgm
	.section	.rodata,"a",@progbits
	.p2align	6, 0x0
	.amdhsa_kernel _ZN2at6native12_GLOBAL__N_16kernel17gru_cell_backwardIddlLi2EEEvNS_4cuda6detail10TensorInfoIT_T1_EES9_S9_S9_S9_S8_S8_
		.amdhsa_group_segment_fixed_size 0
		.amdhsa_private_segment_fixed_size 0
		.amdhsa_kernarg_size 2352
		.amdhsa_user_sgpr_count 15
		.amdhsa_user_sgpr_dispatch_ptr 0
		.amdhsa_user_sgpr_queue_ptr 0
		.amdhsa_user_sgpr_kernarg_segment_ptr 1
		.amdhsa_user_sgpr_dispatch_id 0
		.amdhsa_user_sgpr_private_segment_size 0
		.amdhsa_wavefront_size32 1
		.amdhsa_uses_dynamic_stack 0
		.amdhsa_enable_private_segment 0
		.amdhsa_system_sgpr_workgroup_id_x 1
		.amdhsa_system_sgpr_workgroup_id_y 0
		.amdhsa_system_sgpr_workgroup_id_z 0
		.amdhsa_system_sgpr_workgroup_info 0
		.amdhsa_system_vgpr_workitem_id 0
		.amdhsa_next_free_vgpr 45
		.amdhsa_next_free_sgpr 62
		.amdhsa_reserve_vcc 1
		.amdhsa_float_round_mode_32 0
		.amdhsa_float_round_mode_16_64 0
		.amdhsa_float_denorm_mode_32 3
		.amdhsa_float_denorm_mode_16_64 3
		.amdhsa_dx10_clamp 1
		.amdhsa_ieee_mode 1
		.amdhsa_fp16_overflow 0
		.amdhsa_workgroup_processor_mode 1
		.amdhsa_memory_ordered 1
		.amdhsa_forward_progress 0
		.amdhsa_shared_vgpr_count 0
		.amdhsa_exception_fp_ieee_invalid_op 0
		.amdhsa_exception_fp_denorm_src 0
		.amdhsa_exception_fp_ieee_div_zero 0
		.amdhsa_exception_fp_ieee_overflow 0
		.amdhsa_exception_fp_ieee_underflow 0
		.amdhsa_exception_fp_ieee_inexact 0
		.amdhsa_exception_int_div_zero 0
	.end_amdhsa_kernel
	.section	.text._ZN2at6native12_GLOBAL__N_16kernel17gru_cell_backwardIddlLi2EEEvNS_4cuda6detail10TensorInfoIT_T1_EES9_S9_S9_S9_S8_S8_,"axG",@progbits,_ZN2at6native12_GLOBAL__N_16kernel17gru_cell_backwardIddlLi2EEEvNS_4cuda6detail10TensorInfoIT_T1_EES9_S9_S9_S9_S8_S8_,comdat
.Lfunc_end51:
	.size	_ZN2at6native12_GLOBAL__N_16kernel17gru_cell_backwardIddlLi2EEEvNS_4cuda6detail10TensorInfoIT_T1_EES9_S9_S9_S9_S8_S8_, .Lfunc_end51-_ZN2at6native12_GLOBAL__N_16kernel17gru_cell_backwardIddlLi2EEEvNS_4cuda6detail10TensorInfoIT_T1_EES9_S9_S9_S9_S8_S8_
                                        ; -- End function
	.section	.AMDGPU.csdata,"",@progbits
; Kernel info:
; codeLenInByte = 17280
; NumSgprs: 64
; NumVgprs: 45
; ScratchSize: 0
; MemoryBound: 0
; FloatMode: 240
; IeeeMode: 1
; LDSByteSize: 0 bytes/workgroup (compile time only)
; SGPRBlocks: 7
; VGPRBlocks: 5
; NumSGPRsForWavesPerEU: 64
; NumVGPRsForWavesPerEU: 45
; Occupancy: 16
; WaveLimiterHint : 1
; COMPUTE_PGM_RSRC2:SCRATCH_EN: 0
; COMPUTE_PGM_RSRC2:USER_SGPR: 15
; COMPUTE_PGM_RSRC2:TRAP_HANDLER: 0
; COMPUTE_PGM_RSRC2:TGID_X_EN: 1
; COMPUTE_PGM_RSRC2:TGID_Y_EN: 0
; COMPUTE_PGM_RSRC2:TGID_Z_EN: 0
; COMPUTE_PGM_RSRC2:TIDIG_COMP_CNT: 0
	.section	.text._ZN2at6native12_GLOBAL__N_16kernel17gru_cell_backwardIffiLi1EEEvNS_4cuda6detail10TensorInfoIT_T1_EES9_S9_S9_S9_S8_S8_,"axG",@progbits,_ZN2at6native12_GLOBAL__N_16kernel17gru_cell_backwardIffiLi1EEEvNS_4cuda6detail10TensorInfoIT_T1_EES9_S9_S9_S9_S8_S8_,comdat
	.globl	_ZN2at6native12_GLOBAL__N_16kernel17gru_cell_backwardIffiLi1EEEvNS_4cuda6detail10TensorInfoIT_T1_EES9_S9_S9_S9_S8_S8_ ; -- Begin function _ZN2at6native12_GLOBAL__N_16kernel17gru_cell_backwardIffiLi1EEEvNS_4cuda6detail10TensorInfoIT_T1_EES9_S9_S9_S9_S8_S8_
	.p2align	8
	.type	_ZN2at6native12_GLOBAL__N_16kernel17gru_cell_backwardIffiLi1EEEvNS_4cuda6detail10TensorInfoIT_T1_EES9_S9_S9_S9_S8_S8_,@function
_ZN2at6native12_GLOBAL__N_16kernel17gru_cell_backwardIffiLi1EEEvNS_4cuda6detail10TensorInfoIT_T1_EES9_S9_S9_S9_S8_S8_: ; @_ZN2at6native12_GLOBAL__N_16kernel17gru_cell_backwardIffiLi1EEEvNS_4cuda6detail10TensorInfoIT_T1_EES9_S9_S9_S9_S8_S8_
; %bb.0:
	s_clause 0x1
	s_load_b32 s4, s[0:1], 0x44c
	s_load_b64 s[2:3], s[0:1], 0x438
	s_add_u32 s8, s0, 0x440
	s_addc_u32 s9, s1, 0
	s_waitcnt lgkmcnt(0)
	s_and_b32 s18, s4, 0xffff
	s_mov_b32 s4, exec_lo
	v_mad_u64_u32 v[1:2], null, s15, s18, v[0:1]
	s_delay_alu instid0(VALU_DEP_1)
	v_cmpx_gt_i32_e64 s3, v1
	s_cbranch_execz .LBB52_3
; %bb.1:
	s_abs_i32 s14, s2
	s_clause 0x3
	s_load_b64 s[4:5], s[0:1], 0x1b0
	s_load_b32 s21, s[0:1], 0x21c
	s_load_b64 s[6:7], s[0:1], 0x288
	s_load_b32 s22, s[0:1], 0x2f4
	s_load_b32 s19, s[8:9], 0x0
	v_cvt_f32_u32_e32 v0, s14
	s_sub_i32 s12, 0, s14
	s_clause 0x3
	s_load_b64 s[8:9], s[0:1], 0x0
	s_load_b32 s15, s[0:1], 0x6c
	s_load_b64 s[10:11], s[0:1], 0xd8
	s_load_b32 s16, s[0:1], 0x144
	s_mov_b32 s17, 0
	s_lshl_b32 s20, s2, 1
	v_rcp_iflag_f32_e32 v0, v0
	s_waitcnt_depctr 0xfff
	v_mul_f32_e32 v0, 0x4f7ffffe, v0
	s_waitcnt lgkmcnt(0)
	v_mul_lo_u32 v4, v1, s22
	s_mul_i32 s18, s19, s18
	s_delay_alu instid0(VALU_DEP_2) | instskip(SKIP_2) | instid1(VALU_DEP_1)
	v_cvt_u32_f32_e32 v0, v0
	s_lshl_b32 s19, s2, 2
	s_mul_i32 s22, s18, s22
	v_mul_lo_u32 v2, s12, v0
	s_clause 0x1
	s_load_b64 s[12:13], s[0:1], 0x360
	s_load_b32 s0, s[0:1], 0x3cc
	s_ashr_i32 s1, s2, 31
	s_delay_alu instid0(VALU_DEP_1) | instskip(SKIP_2) | instid1(VALU_DEP_2)
	v_mul_hi_u32 v3, v0, v2
	v_mul_lo_u32 v2, v1, s21
	s_mul_i32 s21, s18, s21
	v_add_nc_u32_e32 v0, v0, v3
.LBB52_2:                               ; =>This Inner Loop Header: Depth=1
	v_sub_nc_u32_e32 v5, 0, v1
	v_ashrrev_i32_e32 v6, 31, v1
	s_delay_alu instid0(VALU_DEP_4) | instskip(NEXT) | instid1(VALU_DEP_3)
	v_ashrrev_i32_e32 v3, 31, v2
	v_max_i32_e32 v7, v1, v5
	s_delay_alu instid0(VALU_DEP_3) | instskip(NEXT) | instid1(VALU_DEP_3)
	v_xor_b32_e32 v15, s1, v6
	v_lshlrev_b64 v[5:6], 2, v[2:3]
	s_delay_alu instid0(VALU_DEP_3) | instskip(NEXT) | instid1(VALU_DEP_2)
	v_mul_hi_u32 v3, v7, v0
	v_add_co_u32 v5, vcc_lo, s4, v5
	s_delay_alu instid0(VALU_DEP_3) | instskip(SKIP_3) | instid1(VALU_DEP_2)
	v_add_co_ci_u32_e32 v6, vcc_lo, s5, v6, vcc_lo
	global_load_b32 v20, v[5:6], off
	v_mul_lo_u32 v5, v3, s14
	v_add_nc_u32_e32 v6, 1, v3
	v_sub_nc_u32_e32 v5, v7, v5
	s_delay_alu instid0(VALU_DEP_1) | instskip(SKIP_1) | instid1(VALU_DEP_4)
	v_subrev_nc_u32_e32 v7, s14, v5
	v_cmp_le_u32_e32 vcc_lo, s14, v5
	v_dual_cndmask_b32 v3, v3, v6 :: v_dual_lshlrev_b32 v8, 2, v15
	s_delay_alu instid0(VALU_DEP_3) | instskip(NEXT) | instid1(VALU_DEP_2)
	v_cndmask_b32_e32 v5, v5, v7, vcc_lo
	v_add_nc_u32_e32 v6, 1, v3
	s_delay_alu instid0(VALU_DEP_2) | instskip(NEXT) | instid1(VALU_DEP_2)
	v_cmp_le_u32_e32 vcc_lo, s14, v5
	v_cndmask_b32_e32 v3, v3, v6, vcc_lo
	s_delay_alu instid0(VALU_DEP_1) | instskip(NEXT) | instid1(VALU_DEP_1)
	v_xor_b32_e32 v3, v3, v15
	v_lshlrev_b32_e32 v5, 2, v3
	v_sub_nc_u32_e32 v16, v3, v15
	v_lshlrev_b32_e32 v3, 1, v3
	s_delay_alu instid0(VALU_DEP_3) | instskip(NEXT) | instid1(VALU_DEP_3)
	v_sub_nc_u32_e32 v7, v5, v8
	v_mad_u64_u32 v[5:6], null, s19, v16, v[1:2]
	s_delay_alu instid0(VALU_DEP_2)
	v_or_b32_e32 v6, 1, v7
	v_or_b32_e32 v10, 2, v7
	;; [unrolled: 1-line block ×3, first 2 shown]
	v_add_nc_u32_e32 v12, 4, v7
	s_waitcnt lgkmcnt(0)
	v_mul_lo_u32 v5, v5, s0
	v_mad_u64_u32 v[7:8], null, s2, v6, v[1:2]
	v_mad_u64_u32 v[8:9], null, s2, v10, v[1:2]
	v_mad_u64_u32 v[9:10], null, s2, v11, v[1:2]
	v_mad_u64_u32 v[10:11], null, s2, v12, v[1:2]
	s_delay_alu instid0(VALU_DEP_4) | instskip(SKIP_4) | instid1(VALU_DEP_4)
	v_mul_lo_u32 v7, v7, s0
	v_ashrrev_i32_e32 v6, 31, v5
	v_mul_lo_u32 v11, v8, s0
	v_add_nc_u32_e32 v2, s21, v2
	v_mul_lo_u32 v9, v9, s0
	v_lshlrev_b64 v[5:6], 2, v[5:6]
	v_mul_lo_u32 v13, v10, s0
	v_ashrrev_i32_e32 v8, 31, v7
	v_ashrrev_i32_e32 v12, 31, v11
	s_delay_alu instid0(VALU_DEP_4) | instskip(NEXT) | instid1(VALU_DEP_3)
	v_add_co_u32 v5, vcc_lo, s12, v5
	v_lshlrev_b64 v[7:8], 2, v[7:8]
	v_ashrrev_i32_e32 v10, 31, v9
	v_add_co_ci_u32_e32 v6, vcc_lo, s13, v6, vcc_lo
	v_lshlrev_b64 v[11:12], 2, v[11:12]
	v_ashrrev_i32_e32 v14, 31, v13
	s_delay_alu instid0(VALU_DEP_4)
	v_lshlrev_b64 v[9:10], 2, v[9:10]
	global_load_b32 v21, v[5:6], off
	v_add_co_u32 v5, vcc_lo, s12, v7
	v_add_co_ci_u32_e32 v6, vcc_lo, s13, v8, vcc_lo
	v_lshlrev_b64 v[13:14], 2, v[13:14]
	v_add_co_u32 v7, vcc_lo, s12, v11
	v_add_co_ci_u32_e32 v8, vcc_lo, s13, v12, vcc_lo
	v_add_co_u32 v9, vcc_lo, s12, v9
	v_add_co_ci_u32_e32 v10, vcc_lo, s13, v10, vcc_lo
	;; [unrolled: 2-line block ×3, first 2 shown]
	s_clause 0x3
	global_load_b32 v22, v[5:6], off
	global_load_b32 v23, v[7:8], off
	;; [unrolled: 1-line block ×4, first 2 shown]
	v_mad_u64_u32 v[7:8], null, s20, v16, v[1:2]
	v_ashrrev_i32_e32 v5, 31, v4
	s_delay_alu instid0(VALU_DEP_1) | instskip(NEXT) | instid1(VALU_DEP_3)
	v_lshlrev_b64 v[5:6], 2, v[4:5]
	v_mul_lo_u32 v8, v7, s15
	v_mul_lo_u32 v10, v7, s16
	s_delay_alu instid0(VALU_DEP_3) | instskip(NEXT) | instid1(VALU_DEP_4)
	v_add_co_u32 v5, vcc_lo, s6, v5
	v_add_co_ci_u32_e32 v6, vcc_lo, s7, v6, vcc_lo
	s_delay_alu instid0(VALU_DEP_3)
	v_ashrrev_i32_e32 v11, 31, v10
	s_waitcnt vmcnt(3)
	v_mul_f32_e32 v26, v22, v20
	s_waitcnt vmcnt(1)
	v_sub_f32_e32 v24, v24, v23
	v_lshlrev_b32_e32 v9, 1, v15
	v_fma_f32 v23, -v23, v23, 1.0
	s_delay_alu instid0(VALU_DEP_2) | instskip(NEXT) | instid1(VALU_DEP_1)
	v_sub_nc_u32_e32 v3, v3, v9
	v_or_b32_e32 v9, 1, v3
	v_add_nc_u32_e32 v3, 2, v3
	s_delay_alu instid0(VALU_DEP_2) | instskip(NEXT) | instid1(VALU_DEP_2)
	v_mad_u64_u32 v[12:13], null, s2, v9, v[1:2]
	v_mad_u64_u32 v[13:14], null, s2, v3, v[1:2]
	v_ashrrev_i32_e32 v9, 31, v8
	v_add_nc_u32_e32 v1, s18, v1
	v_sub_f32_e32 v3, 1.0, v21
	v_mul_lo_u32 v7, v12, s15
	v_mul_lo_u32 v12, v12, s16
	;; [unrolled: 1-line block ×3, first 2 shown]
	v_lshlrev_b64 v[18:19], 2, v[8:9]
	v_cmp_le_i32_e32 vcc_lo, s3, v1
	v_mul_lo_u32 v16, v13, s16
	v_lshlrev_b64 v[9:10], 2, v[10:11]
	v_ashrrev_i32_e32 v8, 31, v7
	s_or_b32 s17, vcc_lo, s17
	v_ashrrev_i32_e32 v15, 31, v14
	v_add_co_u32 v18, vcc_lo, s8, v18
	s_delay_alu instid0(VALU_DEP_3)
	v_lshlrev_b64 v[7:8], 2, v[7:8]
	v_ashrrev_i32_e32 v13, 31, v12
	v_add_co_ci_u32_e32 v19, vcc_lo, s9, v19, vcc_lo
	v_add_co_u32 v9, vcc_lo, s10, v9
	v_lshlrev_b64 v[14:15], 2, v[14:15]
	v_ashrrev_i32_e32 v17, 31, v16
	v_add_co_ci_u32_e32 v10, vcc_lo, s11, v10, vcc_lo
	v_lshlrev_b64 v[11:12], 2, v[12:13]
	v_add_co_u32 v7, vcc_lo, s8, v7
	v_add_co_ci_u32_e32 v8, vcc_lo, s9, v8, vcc_lo
	v_lshlrev_b64 v[16:17], 2, v[16:17]
	v_add_co_u32 v13, vcc_lo, s8, v14
	v_add_co_ci_u32_e32 v14, vcc_lo, s9, v15, vcc_lo
	v_add_co_u32 v11, vcc_lo, s10, v11
	v_add_co_ci_u32_e32 v12, vcc_lo, s11, v12, vcc_lo
	;; [unrolled: 2-line block ×3, first 2 shown]
	v_sub_f32_e32 v17, 1.0, v22
	s_delay_alu instid0(VALU_DEP_1) | instskip(SKIP_1) | instid1(VALU_DEP_2)
	v_mul_f32_e32 v27, v17, v20
	v_add_nc_u32_e32 v4, s22, v4
	v_dual_mul_f32 v20, v24, v20 :: v_dual_mul_f32 v23, v23, v27
	s_delay_alu instid0(VALU_DEP_1) | instskip(SKIP_1) | instid1(VALU_DEP_1)
	v_mul_f32_e32 v17, v17, v20
	s_waitcnt vmcnt(0)
	v_dual_mul_f32 v20, v25, v23 :: v_dual_mul_f32 v17, v22, v17
	s_delay_alu instid0(VALU_DEP_1) | instskip(NEXT) | instid1(VALU_DEP_1)
	v_dual_mul_f32 v22, v21, v23 :: v_dual_mul_f32 v3, v3, v20
	v_mul_f32_e32 v3, v21, v3
	s_clause 0x2
	global_store_b32 v[18:19], v3, off
	global_store_b32 v[7:8], v17, off
	;; [unrolled: 1-line block ×3, first 2 shown]
	s_clause 0x2
	global_store_b32 v[9:10], v3, off
	global_store_b32 v[11:12], v17, off
	;; [unrolled: 1-line block ×4, first 2 shown]
	s_and_not1_b32 exec_lo, exec_lo, s17
	s_cbranch_execnz .LBB52_2
.LBB52_3:
	s_nop 0
	s_sendmsg sendmsg(MSG_DEALLOC_VGPRS)
	s_endpgm
	.section	.rodata,"a",@progbits
	.p2align	6, 0x0
	.amdhsa_kernel _ZN2at6native12_GLOBAL__N_16kernel17gru_cell_backwardIffiLi1EEEvNS_4cuda6detail10TensorInfoIT_T1_EES9_S9_S9_S9_S8_S8_
		.amdhsa_group_segment_fixed_size 0
		.amdhsa_private_segment_fixed_size 0
		.amdhsa_kernarg_size 1344
		.amdhsa_user_sgpr_count 15
		.amdhsa_user_sgpr_dispatch_ptr 0
		.amdhsa_user_sgpr_queue_ptr 0
		.amdhsa_user_sgpr_kernarg_segment_ptr 1
		.amdhsa_user_sgpr_dispatch_id 0
		.amdhsa_user_sgpr_private_segment_size 0
		.amdhsa_wavefront_size32 1
		.amdhsa_uses_dynamic_stack 0
		.amdhsa_enable_private_segment 0
		.amdhsa_system_sgpr_workgroup_id_x 1
		.amdhsa_system_sgpr_workgroup_id_y 0
		.amdhsa_system_sgpr_workgroup_id_z 0
		.amdhsa_system_sgpr_workgroup_info 0
		.amdhsa_system_vgpr_workitem_id 0
		.amdhsa_next_free_vgpr 28
		.amdhsa_next_free_sgpr 23
		.amdhsa_reserve_vcc 1
		.amdhsa_float_round_mode_32 0
		.amdhsa_float_round_mode_16_64 0
		.amdhsa_float_denorm_mode_32 3
		.amdhsa_float_denorm_mode_16_64 3
		.amdhsa_dx10_clamp 1
		.amdhsa_ieee_mode 1
		.amdhsa_fp16_overflow 0
		.amdhsa_workgroup_processor_mode 1
		.amdhsa_memory_ordered 1
		.amdhsa_forward_progress 0
		.amdhsa_shared_vgpr_count 0
		.amdhsa_exception_fp_ieee_invalid_op 0
		.amdhsa_exception_fp_denorm_src 0
		.amdhsa_exception_fp_ieee_div_zero 0
		.amdhsa_exception_fp_ieee_overflow 0
		.amdhsa_exception_fp_ieee_underflow 0
		.amdhsa_exception_fp_ieee_inexact 0
		.amdhsa_exception_int_div_zero 0
	.end_amdhsa_kernel
	.section	.text._ZN2at6native12_GLOBAL__N_16kernel17gru_cell_backwardIffiLi1EEEvNS_4cuda6detail10TensorInfoIT_T1_EES9_S9_S9_S9_S8_S8_,"axG",@progbits,_ZN2at6native12_GLOBAL__N_16kernel17gru_cell_backwardIffiLi1EEEvNS_4cuda6detail10TensorInfoIT_T1_EES9_S9_S9_S9_S8_S8_,comdat
.Lfunc_end52:
	.size	_ZN2at6native12_GLOBAL__N_16kernel17gru_cell_backwardIffiLi1EEEvNS_4cuda6detail10TensorInfoIT_T1_EES9_S9_S9_S9_S8_S8_, .Lfunc_end52-_ZN2at6native12_GLOBAL__N_16kernel17gru_cell_backwardIffiLi1EEEvNS_4cuda6detail10TensorInfoIT_T1_EES9_S9_S9_S9_S8_S8_
                                        ; -- End function
	.section	.AMDGPU.csdata,"",@progbits
; Kernel info:
; codeLenInByte = 1188
; NumSgprs: 25
; NumVgprs: 28
; ScratchSize: 0
; MemoryBound: 0
; FloatMode: 240
; IeeeMode: 1
; LDSByteSize: 0 bytes/workgroup (compile time only)
; SGPRBlocks: 3
; VGPRBlocks: 3
; NumSGPRsForWavesPerEU: 25
; NumVGPRsForWavesPerEU: 28
; Occupancy: 16
; WaveLimiterHint : 1
; COMPUTE_PGM_RSRC2:SCRATCH_EN: 0
; COMPUTE_PGM_RSRC2:USER_SGPR: 15
; COMPUTE_PGM_RSRC2:TRAP_HANDLER: 0
; COMPUTE_PGM_RSRC2:TGID_X_EN: 1
; COMPUTE_PGM_RSRC2:TGID_Y_EN: 0
; COMPUTE_PGM_RSRC2:TGID_Z_EN: 0
; COMPUTE_PGM_RSRC2:TIDIG_COMP_CNT: 0
	.section	.text._ZN2at6native12_GLOBAL__N_16kernel17gru_cell_backwardIffiLi2EEEvNS_4cuda6detail10TensorInfoIT_T1_EES9_S9_S9_S9_S8_S8_,"axG",@progbits,_ZN2at6native12_GLOBAL__N_16kernel17gru_cell_backwardIffiLi2EEEvNS_4cuda6detail10TensorInfoIT_T1_EES9_S9_S9_S9_S8_S8_,comdat
	.globl	_ZN2at6native12_GLOBAL__N_16kernel17gru_cell_backwardIffiLi2EEEvNS_4cuda6detail10TensorInfoIT_T1_EES9_S9_S9_S9_S8_S8_ ; -- Begin function _ZN2at6native12_GLOBAL__N_16kernel17gru_cell_backwardIffiLi2EEEvNS_4cuda6detail10TensorInfoIT_T1_EES9_S9_S9_S9_S8_S8_
	.p2align	8
	.type	_ZN2at6native12_GLOBAL__N_16kernel17gru_cell_backwardIffiLi2EEEvNS_4cuda6detail10TensorInfoIT_T1_EES9_S9_S9_S9_S8_S8_,@function
_ZN2at6native12_GLOBAL__N_16kernel17gru_cell_backwardIffiLi2EEEvNS_4cuda6detail10TensorInfoIT_T1_EES9_S9_S9_S9_S8_S8_: ; @_ZN2at6native12_GLOBAL__N_16kernel17gru_cell_backwardIffiLi2EEEvNS_4cuda6detail10TensorInfoIT_T1_EES9_S9_S9_S9_S8_S8_
; %bb.0:
	s_clause 0x1
	s_load_b32 s6, s[0:1], 0x44c
	s_load_b64 s[4:5], s[0:1], 0x438
	s_add_u32 s2, s0, 0x440
	s_addc_u32 s3, s1, 0
	s_waitcnt lgkmcnt(0)
	s_and_b32 s31, s6, 0xffff
	s_mov_b32 s6, exec_lo
	v_mad_u64_u32 v[1:2], null, s15, s31, v[0:1]
	s_delay_alu instid0(VALU_DEP_1)
	v_cmpx_gt_i32_e64 s5, v1
	s_cbranch_execz .LBB53_3
; %bb.1:
	s_clause 0x1
	s_load_b32 s26, s[0:1], 0x36c
	s_load_b32 s45, s[0:1], 0x1bc
	;; [unrolled: 1-line block ×3, first 2 shown]
	s_clause 0x5
	s_load_b64 s[6:7], s[0:1], 0x0
	s_load_b32 s27, s[0:1], 0xc
	s_load_b32 s28, s[0:1], 0xe4
	s_load_b64 s[8:9], s[0:1], 0x144
	s_load_b64 s[10:11], s[0:1], 0x1b0
	s_load_b32 s46, s[0:1], 0x294
	s_abs_i32 s3, s4
	s_clause 0x6
	s_load_b64 s[12:13], s[0:1], 0x21c
	s_load_b64 s[14:15], s[0:1], 0x288
	;; [unrolled: 1-line block ×7, first 2 shown]
	v_cvt_f32_u32_e32 v0, s3
	s_sub_i32 s0, 0, s3
	s_ashr_i32 s36, s4, 31
	s_mov_b32 s37, 0
	s_lshl_b32 s43, s4, 2
	v_rcp_iflag_f32_e32 v0, v0
	s_lshl_b32 s44, s4, 1
	s_waitcnt lgkmcnt(0)
	s_abs_i32 s29, s26
	s_abs_i32 s30, s45
	v_cvt_f32_u32_e32 v2, s29
	v_cvt_f32_u32_e32 v3, s30
	s_abs_i32 s34, s28
	s_abs_i32 s33, s27
	v_cvt_f32_u32_e32 v5, s34
	v_rcp_iflag_f32_e32 v2, v2
	v_cvt_f32_u32_e32 v4, s33
	s_abs_i32 s35, s46
	v_rcp_iflag_f32_e32 v3, v3
	v_cvt_f32_u32_e32 v7, s35
	v_rcp_iflag_f32_e32 v5, v5
	v_rcp_iflag_f32_e32 v4, v4
	v_mul_f32_e32 v0, 0x4f7ffffe, v0
	s_sub_i32 s1, 0, s30
	v_rcp_iflag_f32_e32 v7, v7
	v_mul_f32_e32 v2, 0x4f7ffffe, v2
	s_mul_i32 s31, s2, s31
	s_ashr_i32 s38, s26, 31
	v_mul_f32_e32 v3, 0x4f7ffffe, v3
	v_cvt_u32_f32_e32 v0, v0
	v_mul_f32_e32 v5, 0x4f7ffffe, v5
	v_cvt_u32_f32_e32 v2, v2
	;; [unrolled: 2-line block ×3, first 2 shown]
	v_mul_f32_e32 v7, 0x4f7ffffe, v7
	v_mul_lo_u32 v6, s0, v0
	s_sub_i32 s0, 0, s29
	v_cvt_u32_f32_e32 v4, v4
	v_mul_lo_u32 v8, s0, v2
	v_cvt_u32_f32_e32 v5, v5
	v_cvt_u32_f32_e32 v7, v7
	s_sub_i32 s0, 0, s33
	v_mul_lo_u32 v9, s1, v3
	s_sub_i32 s1, 0, s34
	v_mul_lo_u32 v10, s0, v4
	s_sub_i32 s0, 0, s35
	v_mul_hi_u32 v6, v0, v6
	v_mul_lo_u32 v11, s1, v5
	v_mul_hi_u32 v8, v2, v8
	v_mul_lo_u32 v12, s0, v7
	v_mul_hi_u32 v9, v3, v9
	s_ashr_i32 s39, s45, 31
	s_ashr_i32 s40, s27, 31
	;; [unrolled: 1-line block ×3, first 2 shown]
	v_add_nc_u32_e32 v0, v0, v6
	v_mul_hi_u32 v6, v4, v10
	v_mul_hi_u32 v10, v5, v11
	v_add_nc_u32_e32 v2, v2, v8
	v_mul_hi_u32 v8, v7, v12
	v_add_nc_u32_e32 v3, v3, v9
	s_ashr_i32 s42, s46, 31
	s_sub_i32 s45, 0, s45
	s_sub_i32 s46, 0, s46
	v_add_nc_u32_e32 v4, v4, v6
	v_add_nc_u32_e32 v5, v5, v10
	s_delay_alu instid0(VALU_DEP_4)
	v_add_nc_u32_e32 v6, v7, v8
.LBB53_2:                               ; =>This Inner Loop Header: Depth=1
	v_sub_nc_u32_e32 v7, 0, v1
	v_ashrrev_i32_e32 v8, 31, v1
	s_delay_alu instid0(VALU_DEP_2) | instskip(NEXT) | instid1(VALU_DEP_2)
	v_max_i32_e32 v7, v1, v7
	v_xor_b32_e32 v9, s36, v8
	v_xor_b32_e32 v10, s39, v8
	;; [unrolled: 1-line block ×3, first 2 shown]
	s_delay_alu instid0(VALU_DEP_4) | instskip(SKIP_1) | instid1(VALU_DEP_2)
	v_mul_hi_u32 v11, v7, v0
	v_mul_hi_u32 v12, v7, v3
	v_mul_lo_u32 v14, v11, s3
	s_delay_alu instid0(VALU_DEP_2) | instskip(SKIP_2) | instid1(VALU_DEP_4)
	v_mul_lo_u32 v15, v12, s30
	v_add_nc_u32_e32 v16, 1, v11
	v_add_nc_u32_e32 v17, 1, v12
	v_sub_nc_u32_e32 v14, v7, v14
	s_delay_alu instid0(VALU_DEP_4) | instskip(NEXT) | instid1(VALU_DEP_2)
	v_sub_nc_u32_e32 v15, v7, v15
	v_subrev_nc_u32_e32 v18, s3, v14
	v_cmp_le_u32_e32 vcc_lo, s3, v14
	s_delay_alu instid0(VALU_DEP_3) | instskip(NEXT) | instid1(VALU_DEP_3)
	v_cmp_le_u32_e64 s0, s30, v15
	v_dual_cndmask_b32 v14, v14, v18 :: v_dual_lshlrev_b32 v13, 2, v9
	v_cndmask_b32_e32 v11, v11, v16, vcc_lo
	v_subrev_nc_u32_e32 v16, s30, v15
	s_delay_alu instid0(VALU_DEP_4) | instskip(NEXT) | instid1(VALU_DEP_4)
	v_cndmask_b32_e64 v12, v12, v17, s0
	v_cmp_le_u32_e32 vcc_lo, s3, v14
	s_delay_alu instid0(VALU_DEP_3) | instskip(NEXT) | instid1(VALU_DEP_3)
	v_cndmask_b32_e64 v15, v15, v16, s0
	v_add_nc_u32_e32 v16, 1, v12
	v_add_nc_u32_e32 v17, 1, v11
	s_delay_alu instid0(VALU_DEP_1) | instskip(NEXT) | instid1(VALU_DEP_4)
	v_cndmask_b32_e32 v11, v11, v17, vcc_lo
	v_cmp_le_u32_e32 vcc_lo, s30, v15
	s_delay_alu instid0(VALU_DEP_2) | instskip(SKIP_1) | instid1(VALU_DEP_2)
	v_xor_b32_e32 v23, v11, v9
	v_cndmask_b32_e32 v12, v12, v16, vcc_lo
	v_sub_nc_u32_e32 v24, v23, v9
	s_delay_alu instid0(VALU_DEP_2) | instskip(SKIP_1) | instid1(VALU_DEP_3)
	v_xor_b32_e32 v11, v12, v10
	v_lshlrev_b32_e32 v12, 2, v23
	v_mul_lo_u32 v15, s43, v24
	s_delay_alu instid0(VALU_DEP_3) | instskip(NEXT) | instid1(VALU_DEP_3)
	v_sub_nc_u32_e32 v14, v11, v10
	v_sub_nc_u32_e32 v12, v12, v13
	s_delay_alu instid0(VALU_DEP_2) | instskip(NEXT) | instid1(VALU_DEP_2)
	v_mad_u64_u32 v[10:11], null, s45, v14, v[1:2]
	v_or_b32_e32 v11, 1, v12
	v_add_nc_u32_e32 v17, v1, v15
	v_or_b32_e32 v13, 2, v12
	v_or_b32_e32 v16, 3, v12
	v_add_nc_u32_e32 v12, 4, v12
	v_mul_lo_u32 v18, s4, v11
	v_mul_lo_u32 v10, v10, s13
	v_ashrrev_i32_e32 v17, 31, v17
	v_mul_lo_u32 v13, s4, v13
	v_mul_lo_u32 v19, s4, v12
	;; [unrolled: 1-line block ×3, first 2 shown]
	v_mad_u64_u32 v[11:12], null, v14, s12, v[10:11]
	v_add3_u32 v10, v17, v15, v1
	v_add_nc_u32_e32 v12, v1, v18
	v_xor_b32_e32 v14, s38, v17
	v_add_nc_u32_e32 v20, v1, v13
	v_add_nc_u32_e32 v22, v1, v19
	v_xor_b32_e32 v17, v10, v17
	v_ashrrev_i32_e32 v25, 31, v12
	v_ashrrev_i32_e32 v12, 31, v11
	;; [unrolled: 1-line block ×4, first 2 shown]
	v_mul_hi_u32 v26, v17, v2
	v_add3_u32 v28, v25, v18, v1
	v_lshlrev_b64 v[10:11], 2, v[11:12]
	v_xor_b32_e32 v27, s38, v25
	v_add3_u32 v30, v20, v13, v1
	v_xor_b32_e32 v29, s38, v20
	v_xor_b32_e32 v12, v28, v25
	v_add3_u32 v34, v22, v19, v1
	v_mul_lo_u32 v25, v26, s29
	v_add_co_u32 v10, vcc_lo, s10, v10
	v_add_co_ci_u32_e32 v11, vcc_lo, s11, v11, vcc_lo
	v_xor_b32_e32 v20, v30, v20
	v_mul_hi_u32 v30, v12, v2
	v_add_nc_u32_e32 v28, 1, v26
	global_load_b32 v10, v[10:11], off
	v_sub_nc_u32_e32 v11, v17, v25
	v_xor_b32_e32 v33, s38, v22
	v_xor_b32_e32 v22, v34, v22
	s_delay_alu instid0(VALU_DEP_3) | instskip(SKIP_2) | instid1(VALU_DEP_4)
	v_subrev_nc_u32_e32 v42, s29, v11
	v_cmp_le_u32_e32 vcc_lo, s29, v11
	v_mul_lo_u32 v17, v30, s29
	v_mul_hi_u32 v35, v22, v2
	s_delay_alu instid0(VALU_DEP_4) | instskip(NEXT) | instid1(VALU_DEP_3)
	v_dual_cndmask_b32 v26, v26, v28 :: v_dual_cndmask_b32 v11, v11, v42
	v_sub_nc_u32_e32 v12, v12, v17
	s_delay_alu instid0(VALU_DEP_2) | instskip(NEXT) | instid1(VALU_DEP_3)
	v_add_nc_u32_e32 v28, 1, v26
	v_cmp_le_u32_e32 vcc_lo, s29, v11
	v_mul_lo_u32 v40, v35, s29
	v_add_nc_u32_e32 v41, 1, v35
	s_delay_alu instid0(VALU_DEP_4) | instskip(SKIP_2) | instid1(VALU_DEP_3)
	v_cndmask_b32_e32 v11, v26, v28, vcc_lo
	v_cmp_le_u32_e32 vcc_lo, s29, v12
	v_add_nc_u32_e32 v21, v1, v16
	v_xor_b32_e32 v11, v11, v14
	s_delay_alu instid0(VALU_DEP_2) | instskip(NEXT) | instid1(VALU_DEP_2)
	v_ashrrev_i32_e32 v21, 31, v21
	v_sub_nc_u32_e32 v14, v11, v14
	s_delay_alu instid0(VALU_DEP_2) | instskip(SKIP_1) | instid1(VALU_DEP_2)
	v_add3_u32 v32, v21, v16, v1
	v_xor_b32_e32 v31, s38, v21
	v_xor_b32_e32 v21, v32, v21
	v_mul_hi_u32 v32, v20, v2
	s_delay_alu instid0(VALU_DEP_2) | instskip(NEXT) | instid1(VALU_DEP_2)
	v_mul_hi_u32 v34, v21, v2
	v_mul_lo_u32 v36, v32, s29
	v_add_nc_u32_e32 v37, 1, v32
	s_delay_alu instid0(VALU_DEP_3) | instskip(SKIP_1) | instid1(VALU_DEP_4)
	v_mul_lo_u32 v38, v34, s29
	v_add_nc_u32_e32 v39, 1, v34
	v_sub_nc_u32_e32 v17, v20, v36
	s_delay_alu instid0(VALU_DEP_3) | instskip(NEXT) | instid1(VALU_DEP_2)
	v_sub_nc_u32_e32 v20, v21, v38
	v_cmp_le_u32_e64 s0, s29, v17
	v_subrev_nc_u32_e32 v28, s29, v17
	v_sub_nc_u32_e32 v21, v22, v40
	s_delay_alu instid0(VALU_DEP_4) | instskip(NEXT) | instid1(VALU_DEP_4)
	v_cmp_le_u32_e64 s1, s29, v20
	v_cndmask_b32_e64 v26, v32, v37, s0
	s_delay_alu instid0(VALU_DEP_4) | instskip(SKIP_2) | instid1(VALU_DEP_4)
	v_cndmask_b32_e64 v17, v17, v28, s0
	v_subrev_nc_u32_e32 v32, s29, v20
	v_cmp_le_u32_e64 s2, s29, v21
	v_add_nc_u32_e32 v28, 1, v26
	v_add_nc_u32_e32 v25, 1, v30
	s_delay_alu instid0(VALU_DEP_4) | instskip(NEXT) | instid1(VALU_DEP_2)
	v_cndmask_b32_e64 v20, v20, v32, s1
	v_cndmask_b32_e32 v22, v30, v25, vcc_lo
	v_subrev_nc_u32_e32 v25, s29, v12
	v_cndmask_b32_e64 v30, v34, v39, s1
	v_cndmask_b32_e64 v34, v35, v41, s2
	v_subrev_nc_u32_e32 v35, s29, v21
	s_delay_alu instid0(VALU_DEP_4) | instskip(NEXT) | instid1(VALU_DEP_4)
	v_dual_cndmask_b32 v12, v12, v25 :: v_dual_add_nc_u32 v25, 1, v22
	v_add_nc_u32_e32 v32, 1, v30
	s_delay_alu instid0(VALU_DEP_3) | instskip(SKIP_1) | instid1(VALU_DEP_4)
	v_cndmask_b32_e64 v21, v21, v35, s2
	v_add_nc_u32_e32 v35, 1, v34
	v_cmp_le_u32_e32 vcc_lo, s29, v12
	v_cndmask_b32_e32 v11, v22, v25, vcc_lo
	v_cmp_le_u32_e32 vcc_lo, s29, v17
	s_delay_alu instid0(VALU_DEP_2) | instskip(SKIP_2) | instid1(VALU_DEP_3)
	v_xor_b32_e32 v11, v11, v27
	v_cndmask_b32_e32 v12, v26, v28, vcc_lo
	v_cmp_le_u32_e32 vcc_lo, s29, v20
	v_sub_nc_u32_e32 v22, v11, v27
	s_delay_alu instid0(VALU_DEP_3) | instskip(SKIP_3) | instid1(VALU_DEP_4)
	v_xor_b32_e32 v12, v12, v29
	v_cndmask_b32_e32 v17, v30, v32, vcc_lo
	v_cmp_le_u32_e32 vcc_lo, s29, v21
	v_mul_lo_u32 v21, v14, s26
	v_sub_nc_u32_e32 v25, v12, v29
	s_delay_alu instid0(VALU_DEP_4) | instskip(SKIP_2) | instid1(VALU_DEP_3)
	v_xor_b32_e32 v17, v17, v31
	v_cndmask_b32_e32 v20, v34, v35, vcc_lo
	v_mul_lo_u32 v12, v22, s26
	v_sub_nc_u32_e32 v26, v17, v31
	s_delay_alu instid0(VALU_DEP_3) | instskip(SKIP_2) | instid1(VALU_DEP_4)
	v_xor_b32_e32 v20, v20, v33
	v_sub_nc_u32_e32 v11, v15, v21
	v_mul_lo_u32 v15, v25, s26
	v_mul_lo_u32 v17, v26, s26
	s_delay_alu instid0(VALU_DEP_4) | instskip(NEXT) | instid1(VALU_DEP_4)
	v_sub_nc_u32_e32 v27, v20, v33
	v_add_nc_u32_e32 v11, v1, v11
	v_sub_nc_u32_e32 v12, v18, v12
	s_delay_alu instid0(VALU_DEP_3) | instskip(NEXT) | instid1(VALU_DEP_3)
	v_mul_lo_u32 v20, v27, s26
	v_mul_lo_u32 v11, v11, s25
	v_sub_nc_u32_e32 v13, v13, v15
	v_sub_nc_u32_e32 v15, v16, v17
	v_add_nc_u32_e32 v17, v1, v12
	s_delay_alu instid0(VALU_DEP_3) | instskip(SKIP_1) | instid1(VALU_DEP_4)
	v_add_nc_u32_e32 v18, v1, v13
	v_sub_nc_u32_e32 v16, v19, v20
	v_add_nc_u32_e32 v15, v1, v15
	v_mad_u64_u32 v[12:13], null, v14, s24, v[11:12]
	v_mul_lo_u32 v11, v17, s25
	s_delay_alu instid0(VALU_DEP_4) | instskip(SKIP_2) | instid1(VALU_DEP_3)
	v_add_nc_u32_e32 v16, v1, v16
	v_mul_lo_u32 v14, v18, s25
	v_mul_lo_u32 v15, v15, s25
	;; [unrolled: 1-line block ×3, first 2 shown]
	v_ashrrev_i32_e32 v13, 31, v12
	v_mad_u64_u32 v[17:18], null, v22, s24, v[11:12]
	s_delay_alu instid0(VALU_DEP_4) | instskip(NEXT) | instid1(VALU_DEP_3)
	v_mad_u64_u32 v[19:20], null, v25, s24, v[14:15]
	v_lshlrev_b64 v[11:12], 2, v[12:13]
	v_mad_u64_u32 v[21:22], null, v26, s24, v[15:16]
	s_delay_alu instid0(VALU_DEP_4) | instskip(SKIP_3) | instid1(VALU_DEP_4)
	v_ashrrev_i32_e32 v18, 31, v17
	v_mad_u64_u32 v[14:15], null, v27, s24, v[16:17]
	v_ashrrev_i32_e32 v20, 31, v19
	v_add_co_u32 v11, vcc_lo, s16, v11
	v_lshlrev_b64 v[16:17], 2, v[17:18]
	v_ashrrev_i32_e32 v22, 31, v21
	v_add_co_ci_u32_e32 v12, vcc_lo, s17, v12, vcc_lo
	v_lshlrev_b64 v[18:19], 2, v[19:20]
	v_ashrrev_i32_e32 v15, 31, v14
	s_delay_alu instid0(VALU_DEP_4)
	v_lshlrev_b64 v[20:21], 2, v[21:22]
	global_load_b32 v26, v[11:12], off
	v_add_co_u32 v11, vcc_lo, s16, v16
	v_add_co_ci_u32_e32 v12, vcc_lo, s17, v17, vcc_lo
	v_lshlrev_b64 v[13:14], 2, v[14:15]
	v_add_co_u32 v15, vcc_lo, s16, v18
	v_add_co_ci_u32_e32 v16, vcc_lo, s17, v19, vcc_lo
	v_add_co_u32 v17, vcc_lo, s16, v20
	v_add_co_ci_u32_e32 v18, vcc_lo, s17, v21, vcc_lo
	;; [unrolled: 2-line block ×3, first 2 shown]
	s_clause 0x3
	global_load_b32 v27, v[11:12], off
	global_load_b32 v28, v[15:16], off
	;; [unrolled: 1-line block ×4, first 2 shown]
	v_mul_hi_u32 v11, v7, v6
	v_lshlrev_b32_e32 v9, 1, v9
	s_delay_alu instid0(VALU_DEP_2) | instskip(SKIP_1) | instid1(VALU_DEP_2)
	v_mul_lo_u32 v12, v11, s35
	v_add_nc_u32_e32 v13, 1, v11
	v_sub_nc_u32_e32 v7, v7, v12
	s_delay_alu instid0(VALU_DEP_1) | instskip(SKIP_1) | instid1(VALU_DEP_4)
	v_subrev_nc_u32_e32 v12, s35, v7
	v_cmp_le_u32_e32 vcc_lo, s35, v7
	v_cndmask_b32_e32 v11, v11, v13, vcc_lo
	s_delay_alu instid0(VALU_DEP_3) | instskip(SKIP_1) | instid1(VALU_DEP_3)
	v_cndmask_b32_e32 v7, v7, v12, vcc_lo
	v_mul_lo_u32 v13, s44, v24
	v_add_nc_u32_e32 v12, 1, v11
	s_delay_alu instid0(VALU_DEP_3) | instskip(NEXT) | instid1(VALU_DEP_2)
	v_cmp_le_u32_e32 vcc_lo, s35, v7
	v_cndmask_b32_e32 v7, v11, v12, vcc_lo
	v_lshlrev_b32_e32 v11, 1, v23
	s_delay_alu instid0(VALU_DEP_2) | instskip(NEXT) | instid1(VALU_DEP_2)
	v_xor_b32_e32 v7, v7, v8
	v_sub_nc_u32_e32 v9, v11, v9
	v_add_nc_u32_e32 v11, v1, v13
	s_delay_alu instid0(VALU_DEP_3) | instskip(NEXT) | instid1(VALU_DEP_2)
	v_sub_nc_u32_e32 v12, v7, v8
	v_ashrrev_i32_e32 v11, 31, v11
	s_delay_alu instid0(VALU_DEP_2) | instskip(SKIP_2) | instid1(VALU_DEP_4)
	v_mad_u64_u32 v[7:8], null, s46, v12, v[1:2]
	v_or_b32_e32 v8, 1, v9
	v_add_nc_u32_e32 v9, 2, v9
	v_xor_b32_e32 v17, s41, v11
	s_delay_alu instid0(VALU_DEP_3) | instskip(SKIP_1) | instid1(VALU_DEP_4)
	v_mul_lo_u32 v14, s4, v8
	v_mul_lo_u32 v7, v7, s23
	;; [unrolled: 1-line block ×3, first 2 shown]
	s_delay_alu instid0(VALU_DEP_2) | instskip(SKIP_2) | instid1(VALU_DEP_4)
	v_mad_u64_u32 v[8:9], null, v12, s22, v[7:8]
	v_add3_u32 v7, v11, v13, v1
	v_add_nc_u32_e32 v9, v1, v14
	v_add_nc_u32_e32 v16, v1, v15
	v_xor_b32_e32 v12, s40, v11
	s_delay_alu instid0(VALU_DEP_4) | instskip(NEXT) | instid1(VALU_DEP_4)
	v_xor_b32_e32 v11, v7, v11
	v_ashrrev_i32_e32 v18, 31, v9
	s_delay_alu instid0(VALU_DEP_4) | instskip(SKIP_1) | instid1(VALU_DEP_4)
	v_ashrrev_i32_e32 v16, 31, v16
	v_ashrrev_i32_e32 v9, 31, v8
	v_mul_hi_u32 v19, v11, v4
	v_mul_hi_u32 v24, v11, v5
	v_add3_u32 v21, v18, v14, v1
	v_add3_u32 v23, v16, v15, v1
	v_xor_b32_e32 v20, s40, v18
	v_xor_b32_e32 v22, s40, v16
	;; [unrolled: 1-line block ×4, first 2 shown]
	v_lshlrev_b64 v[7:8], 2, v[8:9]
	v_xor_b32_e32 v9, v21, v18
	v_xor_b32_e32 v16, v23, v16
	v_mul_lo_u32 v18, v19, s33
	v_mul_lo_u32 v23, v24, s34
	v_add_nc_u32_e32 v21, 1, v19
	v_add_co_u32 v7, vcc_lo, s14, v7
	v_add_co_ci_u32_e32 v8, vcc_lo, s15, v8, vcc_lo
	v_mul_hi_u32 v33, v9, v4
	v_sub_nc_u32_e32 v18, v11, v18
	v_sub_nc_u32_e32 v11, v11, v23
	v_mul_hi_u32 v35, v9, v5
	v_add_nc_u32_e32 v32, 1, v24
	v_mul_hi_u32 v34, v16, v4
	v_cmp_le_u32_e32 vcc_lo, s33, v18
	v_cmp_le_u32_e64 s0, s34, v11
	v_mul_lo_u32 v23, v33, s33
	v_subrev_nc_u32_e32 v44, s33, v18
	v_mul_hi_u32 v36, v16, v5
	v_cndmask_b32_e32 v19, v19, v21, vcc_lo
	v_cndmask_b32_e64 v21, v24, v32, s0
	v_subrev_nc_u32_e32 v24, s34, v11
	v_mul_lo_u32 v40, v35, s34
	v_add_nc_u32_e32 v41, 1, v35
	v_sub_nc_u32_e32 v23, v9, v23
	v_mul_lo_u32 v38, v34, s33
	v_cndmask_b32_e64 v11, v11, v24, s0
	v_add_nc_u32_e32 v24, 1, v21
	v_cndmask_b32_e32 v18, v18, v44, vcc_lo
	v_mul_lo_u32 v42, v36, s34
	v_sub_nc_u32_e32 v9, v9, v40
	v_cmp_le_u32_e64 s1, s34, v11
	v_add_nc_u32_e32 v37, 1, v33
	v_sub_nc_u32_e32 v38, v16, v38
	v_cmp_le_u32_e32 vcc_lo, s33, v18
	v_add_nc_u32_e32 v39, 1, v34
	v_cndmask_b32_e64 v11, v21, v24, s1
	v_cmp_le_u32_e64 s1, s34, v9
	v_subrev_nc_u32_e32 v24, s34, v9
	v_cmp_le_u32_e64 s0, s33, v38
	v_sub_nc_u32_e32 v16, v16, v42
	v_add_nc_u32_e32 v43, 1, v36
	v_cndmask_b32_e64 v21, v35, v41, s1
	v_cndmask_b32_e64 v9, v9, v24, s1
	v_xor_b32_e32 v11, v11, v17
	v_cmp_le_u32_e64 s2, s34, v16
	s_delay_alu instid0(VALU_DEP_4) | instskip(SKIP_1) | instid1(VALU_DEP_4)
	v_add_nc_u32_e32 v24, 1, v21
	v_add_nc_u32_e32 v32, 1, v19
	v_sub_nc_u32_e32 v17, v11, v17
	s_delay_alu instid0(VALU_DEP_4) | instskip(SKIP_1) | instid1(VALU_DEP_4)
	v_cndmask_b32_e64 v35, v36, v43, s2
	v_subrev_nc_u32_e32 v36, s34, v16
	v_cndmask_b32_e32 v18, v19, v32, vcc_lo
	v_cmp_le_u32_e32 vcc_lo, s33, v23
	v_subrev_nc_u32_e32 v32, s33, v23
	s_delay_alu instid0(VALU_DEP_4)
	v_cndmask_b32_e64 v16, v16, v36, s2
	v_add_nc_u32_e32 v36, 1, v35
	v_xor_b32_e32 v18, v18, v12
	v_cndmask_b32_e32 v19, v33, v37, vcc_lo
	v_cndmask_b32_e64 v33, v34, v39, s0
	v_subrev_nc_u32_e32 v34, s33, v38
	v_cndmask_b32_e32 v23, v23, v32, vcc_lo
	v_sub_nc_u32_e32 v18, v18, v12
	v_add_nc_u32_e32 v32, 1, v19
	v_add_nc_u32_e32 v37, 1, v33
	v_cndmask_b32_e64 v34, v38, v34, s0
	v_cmp_le_u32_e32 vcc_lo, s33, v23
	s_delay_alu instid0(VALU_DEP_4) | instskip(NEXT) | instid1(VALU_DEP_3)
	v_cndmask_b32_e32 v12, v19, v32, vcc_lo
	v_cmp_le_u32_e32 vcc_lo, s33, v34
	s_delay_alu instid0(VALU_DEP_2) | instskip(SKIP_2) | instid1(VALU_DEP_3)
	v_xor_b32_e32 v12, v12, v20
	v_cndmask_b32_e32 v19, v33, v37, vcc_lo
	v_cmp_le_u32_e32 vcc_lo, s34, v9
	v_sub_nc_u32_e32 v20, v12, v20
	s_delay_alu instid0(VALU_DEP_3)
	v_xor_b32_e32 v19, v19, v22
	v_cndmask_b32_e32 v9, v21, v24, vcc_lo
	v_cmp_le_u32_e32 vcc_lo, s34, v16
	v_mul_lo_u32 v16, v18, s27
	v_mul_lo_u32 v21, v17, s28
	v_sub_nc_u32_e32 v22, v19, v22
	v_xor_b32_e32 v9, v9, v25
	v_cndmask_b32_e32 v11, v35, v36, vcc_lo
	v_mul_lo_u32 v12, v20, s27
	s_delay_alu instid0(VALU_DEP_3) | instskip(NEXT) | instid1(VALU_DEP_3)
	v_sub_nc_u32_e32 v24, v9, v25
	v_xor_b32_e32 v11, v11, v31
	v_sub_nc_u32_e32 v9, v13, v16
	s_delay_alu instid0(VALU_DEP_3) | instskip(NEXT) | instid1(VALU_DEP_3)
	v_mul_lo_u32 v16, v24, s28
	v_sub_nc_u32_e32 v31, v11, v31
	v_sub_nc_u32_e32 v11, v13, v21
	v_mul_lo_u32 v13, v22, s27
	v_add_nc_u32_e32 v9, v1, v9
	v_sub_nc_u32_e32 v12, v14, v12
	v_mul_lo_u32 v19, v31, s28
	v_add_nc_u32_e32 v11, v1, v11
	;; [unrolled: 3-line block ×4, first 2 shown]
	v_sub_nc_u32_e32 v15, v15, v19
	s_delay_alu instid0(VALU_DEP_4) | instskip(SKIP_2) | instid1(VALU_DEP_3)
	v_add_nc_u32_e32 v19, v1, v13
	s_waitcnt vmcnt(5)
	v_mad_u64_u32 v[12:13], null, v18, s18, v[9:10]
	v_add_nc_u32_e32 v23, v1, v15
	v_mul_lo_u32 v9, v16, s19
	v_mul_lo_u32 v16, v21, s9
	v_add_nc_u32_e32 v1, s31, v1
	v_mad_u64_u32 v[14:15], null, v17, s8, v[11:12]
	v_mul_lo_u32 v11, v19, s19
	v_mul_lo_u32 v17, v23, s9
	v_mad_u64_u32 v[18:19], null, v20, s18, v[9:10]
	v_ashrrev_i32_e32 v13, 31, v12
	v_cmp_le_i32_e32 vcc_lo, s5, v1
	v_ashrrev_i32_e32 v15, 31, v14
	v_mad_u64_u32 v[20:21], null, v22, s18, v[11:12]
	v_mad_u64_u32 v[22:23], null, v24, s8, v[16:17]
	;; [unrolled: 1-line block ×3, first 2 shown]
	v_ashrrev_i32_e32 v19, 31, v18
	v_lshlrev_b64 v[11:12], 2, v[12:13]
	v_ashrrev_i32_e32 v21, 31, v20
	v_lshlrev_b64 v[13:14], 2, v[14:15]
	;; [unrolled: 2-line block ×4, first 2 shown]
	s_or_b32 s37, vcc_lo, s37
	v_lshlrev_b64 v[19:20], 2, v[22:23]
	v_add_co_u32 v11, vcc_lo, s6, v11
	v_lshlrev_b64 v[21:22], 2, v[24:25]
	v_add_co_ci_u32_e32 v12, vcc_lo, s7, v12, vcc_lo
	v_add_co_u32 v13, vcc_lo, s20, v13
	v_add_co_ci_u32_e32 v14, vcc_lo, s21, v14, vcc_lo
	v_add_co_u32 v15, vcc_lo, s6, v15
	;; [unrolled: 2-line block ×5, first 2 shown]
	v_add_co_ci_u32_e32 v22, vcc_lo, s21, v22, vcc_lo
	s_waitcnt vmcnt(4)
	v_sub_f32_e32 v9, 1.0, v26
	s_waitcnt vmcnt(3)
	v_sub_f32_e32 v23, 1.0, v27
	s_waitcnt vmcnt(1)
	v_dual_mul_f32 v25, v27, v10 :: v_dual_sub_f32 v24, v29, v28
	v_fma_f32 v28, -v28, v28, 1.0
	s_delay_alu instid0(VALU_DEP_3) | instskip(NEXT) | instid1(VALU_DEP_3)
	v_mul_f32_e32 v29, v23, v10
	v_mul_f32_e32 v10, v24, v10
	s_delay_alu instid0(VALU_DEP_2) | instskip(SKIP_1) | instid1(VALU_DEP_1)
	v_mul_f32_e32 v24, v28, v29
	s_waitcnt vmcnt(0)
	v_dual_mul_f32 v10, v23, v10 :: v_dual_mul_f32 v23, v30, v24
	s_delay_alu instid0(VALU_DEP_1) | instskip(NEXT) | instid1(VALU_DEP_2)
	v_dual_mul_f32 v10, v27, v10 :: v_dual_mul_f32 v27, v26, v24
	v_mul_f32_e32 v9, v9, v23
	s_delay_alu instid0(VALU_DEP_1)
	v_mul_f32_e32 v9, v26, v9
	s_clause 0x2
	global_store_b32 v[11:12], v9, off
	global_store_b32 v[15:16], v10, off
	;; [unrolled: 1-line block ×3, first 2 shown]
	s_clause 0x2
	global_store_b32 v[13:14], v9, off
	global_store_b32 v[19:20], v10, off
	;; [unrolled: 1-line block ×4, first 2 shown]
	s_and_not1_b32 exec_lo, exec_lo, s37
	s_cbranch_execnz .LBB53_2
.LBB53_3:
	s_nop 0
	s_sendmsg sendmsg(MSG_DEALLOC_VGPRS)
	s_endpgm
	.section	.rodata,"a",@progbits
	.p2align	6, 0x0
	.amdhsa_kernel _ZN2at6native12_GLOBAL__N_16kernel17gru_cell_backwardIffiLi2EEEvNS_4cuda6detail10TensorInfoIT_T1_EES9_S9_S9_S9_S8_S8_
		.amdhsa_group_segment_fixed_size 0
		.amdhsa_private_segment_fixed_size 0
		.amdhsa_kernarg_size 1344
		.amdhsa_user_sgpr_count 15
		.amdhsa_user_sgpr_dispatch_ptr 0
		.amdhsa_user_sgpr_queue_ptr 0
		.amdhsa_user_sgpr_kernarg_segment_ptr 1
		.amdhsa_user_sgpr_dispatch_id 0
		.amdhsa_user_sgpr_private_segment_size 0
		.amdhsa_wavefront_size32 1
		.amdhsa_uses_dynamic_stack 0
		.amdhsa_enable_private_segment 0
		.amdhsa_system_sgpr_workgroup_id_x 1
		.amdhsa_system_sgpr_workgroup_id_y 0
		.amdhsa_system_sgpr_workgroup_id_z 0
		.amdhsa_system_sgpr_workgroup_info 0
		.amdhsa_system_vgpr_workitem_id 0
		.amdhsa_next_free_vgpr 45
		.amdhsa_next_free_sgpr 47
		.amdhsa_reserve_vcc 1
		.amdhsa_float_round_mode_32 0
		.amdhsa_float_round_mode_16_64 0
		.amdhsa_float_denorm_mode_32 3
		.amdhsa_float_denorm_mode_16_64 3
		.amdhsa_dx10_clamp 1
		.amdhsa_ieee_mode 1
		.amdhsa_fp16_overflow 0
		.amdhsa_workgroup_processor_mode 1
		.amdhsa_memory_ordered 1
		.amdhsa_forward_progress 0
		.amdhsa_shared_vgpr_count 0
		.amdhsa_exception_fp_ieee_invalid_op 0
		.amdhsa_exception_fp_denorm_src 0
		.amdhsa_exception_fp_ieee_div_zero 0
		.amdhsa_exception_fp_ieee_overflow 0
		.amdhsa_exception_fp_ieee_underflow 0
		.amdhsa_exception_fp_ieee_inexact 0
		.amdhsa_exception_int_div_zero 0
	.end_amdhsa_kernel
	.section	.text._ZN2at6native12_GLOBAL__N_16kernel17gru_cell_backwardIffiLi2EEEvNS_4cuda6detail10TensorInfoIT_T1_EES9_S9_S9_S9_S8_S8_,"axG",@progbits,_ZN2at6native12_GLOBAL__N_16kernel17gru_cell_backwardIffiLi2EEEvNS_4cuda6detail10TensorInfoIT_T1_EES9_S9_S9_S9_S8_S8_,comdat
.Lfunc_end53:
	.size	_ZN2at6native12_GLOBAL__N_16kernel17gru_cell_backwardIffiLi2EEEvNS_4cuda6detail10TensorInfoIT_T1_EES9_S9_S9_S9_S8_S8_, .Lfunc_end53-_ZN2at6native12_GLOBAL__N_16kernel17gru_cell_backwardIffiLi2EEEvNS_4cuda6detail10TensorInfoIT_T1_EES9_S9_S9_S9_S8_S8_
                                        ; -- End function
	.section	.AMDGPU.csdata,"",@progbits
; Kernel info:
; codeLenInByte = 3024
; NumSgprs: 49
; NumVgprs: 45
; ScratchSize: 0
; MemoryBound: 0
; FloatMode: 240
; IeeeMode: 1
; LDSByteSize: 0 bytes/workgroup (compile time only)
; SGPRBlocks: 6
; VGPRBlocks: 5
; NumSGPRsForWavesPerEU: 49
; NumVGPRsForWavesPerEU: 45
; Occupancy: 16
; WaveLimiterHint : 1
; COMPUTE_PGM_RSRC2:SCRATCH_EN: 0
; COMPUTE_PGM_RSRC2:USER_SGPR: 15
; COMPUTE_PGM_RSRC2:TRAP_HANDLER: 0
; COMPUTE_PGM_RSRC2:TGID_X_EN: 1
; COMPUTE_PGM_RSRC2:TGID_Y_EN: 0
; COMPUTE_PGM_RSRC2:TGID_Z_EN: 0
; COMPUTE_PGM_RSRC2:TIDIG_COMP_CNT: 0
	.section	.text._ZN2at6native12_GLOBAL__N_16kernel17gru_cell_backwardIfflLi1EEEvNS_4cuda6detail10TensorInfoIT_T1_EES9_S9_S9_S9_S8_S8_,"axG",@progbits,_ZN2at6native12_GLOBAL__N_16kernel17gru_cell_backwardIfflLi1EEEvNS_4cuda6detail10TensorInfoIT_T1_EES9_S9_S9_S9_S8_S8_,comdat
	.globl	_ZN2at6native12_GLOBAL__N_16kernel17gru_cell_backwardIfflLi1EEEvNS_4cuda6detail10TensorInfoIT_T1_EES9_S9_S9_S9_S8_S8_ ; -- Begin function _ZN2at6native12_GLOBAL__N_16kernel17gru_cell_backwardIfflLi1EEEvNS_4cuda6detail10TensorInfoIT_T1_EES9_S9_S9_S9_S8_S8_
	.p2align	8
	.type	_ZN2at6native12_GLOBAL__N_16kernel17gru_cell_backwardIfflLi1EEEvNS_4cuda6detail10TensorInfoIT_T1_EES9_S9_S9_S9_S8_S8_,@function
_ZN2at6native12_GLOBAL__N_16kernel17gru_cell_backwardIfflLi1EEEvNS_4cuda6detail10TensorInfoIT_T1_EES9_S9_S9_S9_S8_S8_: ; @_ZN2at6native12_GLOBAL__N_16kernel17gru_cell_backwardIfflLi1EEEvNS_4cuda6detail10TensorInfoIT_T1_EES9_S9_S9_S9_S8_S8_
; %bb.0:
	s_clause 0x1
	s_load_b32 s8, s[0:1], 0x83c
	s_load_b128 s[4:7], s[0:1], 0x820
	v_mov_b32_e32 v1, 0
	s_add_u32 s2, s0, 0x830
	s_addc_u32 s3, s1, 0
	s_waitcnt lgkmcnt(0)
	s_and_b32 s22, s8, 0xffff
	s_mov_b32 s8, exec_lo
	v_mad_u64_u32 v[3:4], null, s15, s22, v[0:1]
	v_mov_b32_e32 v4, v1
	s_delay_alu instid0(VALU_DEP_1)
	v_cmpx_gt_i64_e64 s[6:7], v[3:4]
	s_cbranch_execz .LBB54_7
; %bb.1:
	s_clause 0x1
	s_load_b64 s[24:25], s[0:1], 0x410
	s_load_b64 s[26:27], s[0:1], 0x5b0
	v_cvt_f32_u32_e32 v0, s4
	s_load_b32 s23, s[2:3], 0x0
	s_clause 0x7
	s_load_b64 s[34:35], s[0:1], 0x4e0
	s_load_b64 s[2:3], s[0:1], 0x0
	;; [unrolled: 1-line block ×8, first 2 shown]
	s_mov_b32 s1, 0
	s_lshl_b64 s[18:19], s[4:5], 2
	v_rcp_iflag_f32_e32 v0, v0
	s_lshl_b64 s[20:21], s[4:5], 1
	s_waitcnt lgkmcnt(0)
	s_mul_i32 s30, s23, s22
	s_waitcnt_depctr 0xfff
	v_mul_f32_e32 v0, 0x4f7ffffe, v0
	v_mul_lo_u32 v2, 0, s24
	v_mul_lo_u32 v9, v3, s25
	v_mad_u64_u32 v[5:6], null, v3, s24, 0
	v_mul_lo_u32 v10, 0, s26
	v_mul_lo_u32 v11, v3, s27
	v_mad_u64_u32 v[7:8], null, v3, s26, 0
	v_cvt_u32_f32_e32 v0, v0
	s_mul_i32 s0, s30, s25
	s_sub_i32 s25, 0, s4
	v_add3_u32 v6, v6, v9, v2
	s_mul_hi_u32 s22, s30, s24
	v_mul_lo_u32 v2, s25, v0
	s_delay_alu instid0(VALU_DEP_4)
	v_add3_u32 v8, v8, v11, v10
	s_add_i32 s23, s22, s0
	v_lshlrev_b64 v[5:6], 2, v[5:6]
	s_mul_i32 s22, s30, s24
	s_mul_i32 s0, s30, s27
	v_lshlrev_b64 v[7:8], 2, v[7:8]
	s_mul_hi_u32 s24, s30, s26
	v_mul_hi_u32 v2, v0, v2
	v_add_co_u32 v5, vcc_lo, s28, v5
	v_add_co_ci_u32_e32 v6, vcc_lo, s29, v6, vcc_lo
	s_delay_alu instid0(VALU_DEP_4)
	v_add_co_u32 v7, vcc_lo, s34, v7
	v_add_co_ci_u32_e32 v8, vcc_lo, s35, v8, vcc_lo
	v_add_nc_u32_e32 v0, v0, v2
	s_add_i32 s25, s24, s0
	s_mul_i32 s24, s30, s26
	s_lshl_b64 s[22:23], s[22:23], 2
	s_lshl_b64 s[24:25], s[24:25], 2
	s_ashr_i32 s26, s5, 31
	s_branch .LBB54_3
.LBB54_2:                               ;   in Loop: Header=BB54_3 Depth=1
	s_or_b32 exec_lo, exec_lo, s0
	s_delay_alu instid0(VALU_DEP_1) | instskip(SKIP_3) | instid1(VALU_DEP_4)
	v_lshlrev_b64 v[11:12], 2, v[9:10]
	v_mad_u64_u32 v[13:14], null, s18, v9, v[3:4]
	v_mul_lo_u32 v17, s18, v10
	v_mul_lo_u32 v18, s19, v9
	v_or_b32_e32 v2, 1, v11
	v_mul_lo_u32 v23, s4, v12
	v_or_b32_e32 v19, 2, v11
	v_mul_lo_u32 v25, v13, s17
	s_delay_alu instid0(VALU_DEP_4)
	v_mul_lo_u32 v20, s5, v2
	v_mad_u64_u32 v[15:16], null, s4, v2, v[3:4]
	v_add3_u32 v24, v18, v14, v17
	v_mul_lo_u32 v21, s5, v19
	v_mad_u64_u32 v[17:18], null, s4, v19, v[3:4]
	v_or_b32_e32 v2, 3, v11
	v_add3_u32 v14, v20, v16, v23
	v_mul_lo_u32 v16, v15, s17
	v_mad_u64_u32 v[19:20], null, v15, s16, 0
	s_delay_alu instid0(VALU_DEP_3)
	v_mul_lo_u32 v26, v14, s16
	v_mad_u64_u32 v[14:15], null, v13, s16, 0
	v_add3_u32 v13, v21, v18, v23
	v_mul_lo_u32 v18, s5, v2
	v_mad_u64_u32 v[21:22], null, s4, v2, v[3:4]
	v_mul_lo_u32 v2, v24, s16
	v_add_co_u32 v24, vcc_lo, v11, 4
	v_add3_u32 v20, v20, v16, v26
	v_add_co_ci_u32_e32 v16, vcc_lo, 0, v12, vcc_lo
	v_mul_lo_u32 v13, v13, s16
	v_mul_lo_u32 v26, v17, s17
	v_mad_u64_u32 v[11:12], null, v17, s16, 0
	v_add3_u32 v22, v18, v22, v23
	v_mul_lo_u32 v27, s4, v16
	v_mul_lo_u32 v28, s5, v24
	v_mad_u64_u32 v[16:17], null, s4, v24, v[3:4]
	v_add3_u32 v15, v15, v25, v2
	v_lshlrev_b64 v[18:19], 2, v[19:20]
	v_mul_lo_u32 v2, v22, s16
	v_mul_lo_u32 v20, v21, s17
	v_mad_u64_u32 v[22:23], null, v21, s16, 0
	v_add3_u32 v12, v12, v26, v13
	v_add3_u32 v13, v28, v17, v27
	v_add_co_u32 v17, vcc_lo, s14, v18
	v_add_co_ci_u32_e32 v18, vcc_lo, s15, v19, vcc_lo
	s_delay_alu instid0(VALU_DEP_4)
	v_lshlrev_b64 v[11:12], 2, v[11:12]
	v_add3_u32 v23, v23, v20, v2
	v_mul_lo_u32 v2, v13, s16
	v_mul_lo_u32 v24, v16, s17
	v_mad_u64_u32 v[19:20], null, v16, s16, 0
	v_add_co_u32 v11, vcc_lo, s14, v11
	v_lshlrev_b64 v[21:22], 2, v[22:23]
	v_add_co_ci_u32_e32 v12, vcc_lo, s15, v12, vcc_lo
	v_lshlrev_b64 v[13:14], 2, v[14:15]
	v_add3_u32 v20, v20, v24, v2
	s_clause 0x1
	global_load_b32 v25, v[17:18], off
	global_load_b32 v26, v[11:12], off
	v_add_co_u32 v11, vcc_lo, s14, v21
	v_add_co_ci_u32_e32 v12, vcc_lo, s15, v22, vcc_lo
	v_lshlrev_b64 v[15:16], 2, v[19:20]
	v_add_co_u32 v13, vcc_lo, s14, v13
	v_add_co_ci_u32_e32 v14, vcc_lo, s15, v14, vcc_lo
	global_load_b32 v2, v[5:6], off
	global_load_b32 v24, v[11:12], off
	v_add_co_u32 v11, vcc_lo, s14, v15
	v_add_co_ci_u32_e32 v12, vcc_lo, s15, v16, vcc_lo
	s_clause 0x1
	global_load_b32 v27, v[13:14], off
	global_load_b32 v28, v[11:12], off
	v_lshlrev_b64 v[13:14], 1, v[9:10]
	v_add_co_u32 v5, vcc_lo, v5, s22
	v_mad_u64_u32 v[11:12], null, s20, v9, v[3:4]
	v_mul_lo_u32 v15, s20, v10
	v_mul_lo_u32 v9, s21, v9
	v_add_co_ci_u32_e32 v6, vcc_lo, s23, v6, vcc_lo
	v_add_co_u32 v19, vcc_lo, v13, 2
	v_or_b32_e32 v16, 1, v13
	v_add_co_ci_u32_e32 v20, vcc_lo, 0, v14, vcc_lo
	v_mul_lo_u32 v18, s4, v14
	v_add3_u32 v21, v9, v12, v15
	v_mul_lo_u32 v29, v11, s9
	v_mad_u64_u32 v[9:10], null, v11, s8, 0
	v_mul_lo_u32 v30, v11, s13
	v_mad_u64_u32 v[12:13], null, v11, s12, 0
	v_mul_lo_u32 v11, s5, v16
	v_mad_u64_u32 v[14:15], null, s4, v16, v[3:4]
	v_mad_u64_u32 v[16:17], null, s4, v19, v[3:4]
	v_mul_lo_u32 v20, s4, v20
	v_mul_lo_u32 v22, s5, v19
	;; [unrolled: 1-line block ×4, first 2 shown]
	v_add3_u32 v11, v11, v15, v18
	v_mul_lo_u32 v33, v14, s9
	v_mad_u64_u32 v[18:19], null, v14, s8, 0
	v_mul_lo_u32 v34, v16, s9
	v_add3_u32 v17, v22, v17, v20
	v_mad_u64_u32 v[20:21], null, v16, s8, 0
	v_mul_lo_u32 v35, v14, s13
	v_mad_u64_u32 v[22:23], null, v14, s12, 0
	v_mul_lo_u32 v36, v16, s13
	v_add3_u32 v10, v10, v29, v31
	v_mad_u64_u32 v[14:15], null, v16, s12, 0
	v_add3_u32 v13, v13, v30, v32
	v_mul_lo_u32 v16, v11, s8
	v_mul_lo_u32 v29, v17, s8
	;; [unrolled: 1-line block ×4, first 2 shown]
	v_lshlrev_b64 v[9:10], 2, v[9:10]
	v_lshlrev_b64 v[11:12], 2, v[12:13]
	v_add_co_u32 v3, vcc_lo, v3, s30
	v_add3_u32 v19, v19, v33, v16
	v_add3_u32 v21, v21, v34, v29
	;; [unrolled: 1-line block ×4, first 2 shown]
	v_add_co_u32 v9, s0, s2, v9
	v_lshlrev_b64 v[16:17], 2, v[18:19]
	v_lshlrev_b64 v[18:19], 2, v[20:21]
	v_lshlrev_b64 v[20:21], 2, v[22:23]
	v_add_co_ci_u32_e64 v10, s0, s3, v10, s0
	v_add_co_u32 v11, s0, s10, v11
	s_delay_alu instid0(VALU_DEP_1) | instskip(SKIP_2) | instid1(VALU_DEP_1)
	v_add_co_ci_u32_e64 v12, s0, s11, v12, s0
	v_lshlrev_b64 v[13:14], 2, v[14:15]
	v_add_co_u32 v15, s0, s2, v16
	v_add_co_ci_u32_e64 v16, s0, s3, v17, s0
	v_add_co_u32 v17, s0, s2, v18
	s_delay_alu instid0(VALU_DEP_1) | instskip(SKIP_1) | instid1(VALU_DEP_1)
	v_add_co_ci_u32_e64 v18, s0, s3, v19, s0
	v_add_co_u32 v19, s0, s10, v20
	v_add_co_ci_u32_e64 v20, s0, s11, v21, s0
	v_add_co_ci_u32_e32 v4, vcc_lo, 0, v4, vcc_lo
	v_add_co_u32 v13, s0, s10, v13
	s_delay_alu instid0(VALU_DEP_1) | instskip(NEXT) | instid1(VALU_DEP_3)
	v_add_co_ci_u32_e64 v14, s0, s11, v14, s0
	v_cmp_le_i64_e32 vcc_lo, s[6:7], v[3:4]
	s_or_b32 s1, vcc_lo, s1
	s_waitcnt vmcnt(5)
	v_sub_f32_e32 v29, 1.0, v25
	s_waitcnt vmcnt(4)
	v_fma_f32 v30, -v26, v26, 1.0
	s_waitcnt vmcnt(2)
	v_sub_f32_e32 v22, v24, v26
	v_mul_f32_e32 v31, v29, v2
	s_delay_alu instid0(VALU_DEP_2) | instskip(SKIP_2) | instid1(VALU_DEP_3)
	v_mul_f32_e32 v22, v22, v2
	s_waitcnt vmcnt(1)
	v_sub_f32_e32 v24, 1.0, v27
	v_dual_mul_f32 v23, v30, v31 :: v_dual_mul_f32 v2, v25, v2
	s_delay_alu instid0(VALU_DEP_3) | instskip(SKIP_1) | instid1(VALU_DEP_1)
	v_mul_f32_e32 v22, v29, v22
	s_waitcnt vmcnt(0)
	v_dual_mul_f32 v26, v28, v23 :: v_dual_mul_f32 v21, v25, v22
	s_delay_alu instid0(VALU_DEP_1) | instskip(NEXT) | instid1(VALU_DEP_1)
	v_mul_f32_e32 v24, v24, v26
	v_mul_f32_e32 v22, v27, v24
	;; [unrolled: 1-line block ×3, first 2 shown]
	s_clause 0x2
	global_store_b32 v[9:10], v22, off
	global_store_b32 v[15:16], v21, off
	;; [unrolled: 1-line block ×3, first 2 shown]
	s_clause 0x2
	global_store_b32 v[11:12], v22, off
	global_store_b32 v[19:20], v21, off
	global_store_b32 v[13:14], v24, off
	global_store_b32 v[7:8], v2, off
	v_add_co_u32 v7, s0, v7, s24
	s_delay_alu instid0(VALU_DEP_1)
	v_add_co_ci_u32_e64 v8, s0, s25, v8, s0
	s_and_not1_b32 exec_lo, exec_lo, s1
	s_cbranch_execz .LBB54_7
.LBB54_3:                               ; =>This Inner Loop Header: Depth=1
	v_or_b32_e32 v2, s5, v4
                                        ; implicit-def: $vgpr9_vgpr10
	s_mov_b32 s0, exec_lo
	s_delay_alu instid0(VALU_DEP_1)
	v_cmpx_ne_u64_e32 0, v[1:2]
	s_xor_b32 s31, exec_lo, s0
	s_cbranch_execz .LBB54_5
; %bb.4:                                ;   in Loop: Header=BB54_3 Depth=1
	s_add_u32 s28, s4, s26
	s_mov_b32 s27, s26
	s_addc_u32 s29, s5, s26
	s_delay_alu instid0(SALU_CYCLE_1) | instskip(NEXT) | instid1(SALU_CYCLE_1)
	s_xor_b64 s[28:29], s[28:29], s[26:27]
	v_cvt_f32_u32_e32 v2, s28
	v_cvt_f32_u32_e32 v9, s29
	s_sub_u32 s0, 0, s28
	s_subb_u32 s27, 0, s29
	s_delay_alu instid0(VALU_DEP_1) | instskip(NEXT) | instid1(VALU_DEP_1)
	v_fmac_f32_e32 v2, 0x4f800000, v9
	v_rcp_f32_e32 v2, v2
	s_waitcnt_depctr 0xfff
	v_mul_f32_e32 v2, 0x5f7ffffc, v2
	s_delay_alu instid0(VALU_DEP_1) | instskip(NEXT) | instid1(VALU_DEP_1)
	v_mul_f32_e32 v9, 0x2f800000, v2
	v_trunc_f32_e32 v9, v9
	s_delay_alu instid0(VALU_DEP_1) | instskip(SKIP_1) | instid1(VALU_DEP_2)
	v_fmac_f32_e32 v2, 0xcf800000, v9
	v_cvt_u32_f32_e32 v9, v9
	v_cvt_u32_f32_e32 v2, v2
	s_delay_alu instid0(VALU_DEP_2) | instskip(NEXT) | instid1(VALU_DEP_2)
	v_mul_lo_u32 v10, s0, v9
	v_mul_hi_u32 v11, s0, v2
	v_mul_lo_u32 v12, s27, v2
	s_delay_alu instid0(VALU_DEP_2) | instskip(SKIP_1) | instid1(VALU_DEP_2)
	v_add_nc_u32_e32 v10, v11, v10
	v_mul_lo_u32 v11, s0, v2
	v_add_nc_u32_e32 v10, v10, v12
	s_delay_alu instid0(VALU_DEP_2) | instskip(NEXT) | instid1(VALU_DEP_2)
	v_mul_hi_u32 v12, v2, v11
	v_mul_lo_u32 v13, v2, v10
	v_mul_hi_u32 v14, v2, v10
	v_mul_hi_u32 v15, v9, v11
	v_mul_lo_u32 v11, v9, v11
	v_mul_hi_u32 v16, v9, v10
	v_mul_lo_u32 v10, v9, v10
	v_add_co_u32 v12, vcc_lo, v12, v13
	v_add_co_ci_u32_e32 v13, vcc_lo, 0, v14, vcc_lo
	s_delay_alu instid0(VALU_DEP_2) | instskip(NEXT) | instid1(VALU_DEP_2)
	v_add_co_u32 v11, vcc_lo, v12, v11
	v_add_co_ci_u32_e32 v11, vcc_lo, v13, v15, vcc_lo
	v_add_co_ci_u32_e32 v12, vcc_lo, 0, v16, vcc_lo
	v_ashrrev_i32_e32 v15, 31, v4
	s_delay_alu instid0(VALU_DEP_3) | instskip(NEXT) | instid1(VALU_DEP_3)
	v_add_co_u32 v10, vcc_lo, v11, v10
	v_add_co_ci_u32_e32 v11, vcc_lo, 0, v12, vcc_lo
	s_delay_alu instid0(VALU_DEP_2) | instskip(NEXT) | instid1(VALU_DEP_2)
	v_add_co_u32 v2, vcc_lo, v2, v10
	v_add_co_ci_u32_e32 v9, vcc_lo, v9, v11, vcc_lo
	s_delay_alu instid0(VALU_DEP_2) | instskip(SKIP_1) | instid1(VALU_DEP_3)
	v_mul_hi_u32 v10, s0, v2
	v_mul_lo_u32 v12, s27, v2
	v_mul_lo_u32 v11, s0, v9
	s_delay_alu instid0(VALU_DEP_1) | instskip(SKIP_1) | instid1(VALU_DEP_2)
	v_add_nc_u32_e32 v10, v10, v11
	v_mul_lo_u32 v11, s0, v2
	v_add_nc_u32_e32 v10, v10, v12
	s_delay_alu instid0(VALU_DEP_2) | instskip(NEXT) | instid1(VALU_DEP_2)
	v_mul_hi_u32 v12, v2, v11
	v_mul_lo_u32 v13, v2, v10
	v_mul_hi_u32 v14, v2, v10
	v_mul_hi_u32 v16, v9, v11
	v_mul_lo_u32 v11, v9, v11
	v_mul_hi_u32 v17, v9, v10
	v_mul_lo_u32 v10, v9, v10
	v_add_co_u32 v12, vcc_lo, v12, v13
	v_add_co_ci_u32_e32 v13, vcc_lo, 0, v14, vcc_lo
	s_delay_alu instid0(VALU_DEP_2) | instskip(NEXT) | instid1(VALU_DEP_2)
	v_add_co_u32 v11, vcc_lo, v12, v11
	v_add_co_ci_u32_e32 v11, vcc_lo, v13, v16, vcc_lo
	v_add_co_ci_u32_e32 v12, vcc_lo, 0, v17, vcc_lo
	v_add_co_u32 v13, vcc_lo, v3, v15
	v_add_co_ci_u32_e32 v14, vcc_lo, v4, v15, vcc_lo
	s_delay_alu instid0(VALU_DEP_4) | instskip(NEXT) | instid1(VALU_DEP_4)
	v_add_co_u32 v10, vcc_lo, v11, v10
	v_add_co_ci_u32_e32 v11, vcc_lo, 0, v12, vcc_lo
	s_delay_alu instid0(VALU_DEP_4) | instskip(NEXT) | instid1(VALU_DEP_3)
	v_xor_b32_e32 v16, v13, v15
	v_add_co_u32 v2, vcc_lo, v2, v10
	s_delay_alu instid0(VALU_DEP_3) | instskip(SKIP_1) | instid1(VALU_DEP_3)
	v_add_co_ci_u32_e32 v17, vcc_lo, v9, v11, vcc_lo
	v_xor_b32_e32 v18, v14, v15
	v_mul_hi_u32 v19, v16, v2
	s_delay_alu instid0(VALU_DEP_3) | instskip(NEXT) | instid1(VALU_DEP_3)
	v_mad_u64_u32 v[9:10], null, v16, v17, 0
	v_mad_u64_u32 v[11:12], null, v18, v2, 0
	;; [unrolled: 1-line block ×3, first 2 shown]
	s_delay_alu instid0(VALU_DEP_3) | instskip(NEXT) | instid1(VALU_DEP_4)
	v_add_co_u32 v2, vcc_lo, v19, v9
	v_add_co_ci_u32_e32 v9, vcc_lo, 0, v10, vcc_lo
	s_delay_alu instid0(VALU_DEP_2) | instskip(NEXT) | instid1(VALU_DEP_2)
	v_add_co_u32 v2, vcc_lo, v2, v11
	v_add_co_ci_u32_e32 v2, vcc_lo, v9, v12, vcc_lo
	v_add_co_ci_u32_e32 v9, vcc_lo, 0, v14, vcc_lo
	s_delay_alu instid0(VALU_DEP_2) | instskip(NEXT) | instid1(VALU_DEP_2)
	v_add_co_u32 v2, vcc_lo, v2, v13
	v_add_co_ci_u32_e32 v11, vcc_lo, 0, v9, vcc_lo
	s_delay_alu instid0(VALU_DEP_2) | instskip(SKIP_1) | instid1(VALU_DEP_3)
	v_mul_lo_u32 v12, s29, v2
	v_mad_u64_u32 v[9:10], null, s28, v2, 0
	v_mul_lo_u32 v13, s28, v11
	s_delay_alu instid0(VALU_DEP_2) | instskip(NEXT) | instid1(VALU_DEP_2)
	v_sub_co_u32 v9, vcc_lo, v16, v9
	v_add3_u32 v10, v10, v13, v12
	s_delay_alu instid0(VALU_DEP_1) | instskip(NEXT) | instid1(VALU_DEP_1)
	v_sub_nc_u32_e32 v12, v18, v10
	v_subrev_co_ci_u32_e64 v12, s0, s29, v12, vcc_lo
	v_add_co_u32 v13, s0, v2, 2
	s_delay_alu instid0(VALU_DEP_1) | instskip(SKIP_3) | instid1(VALU_DEP_3)
	v_add_co_ci_u32_e64 v14, s0, 0, v11, s0
	v_sub_co_u32 v16, s0, v9, s28
	v_sub_co_ci_u32_e32 v10, vcc_lo, v18, v10, vcc_lo
	v_subrev_co_ci_u32_e64 v12, s0, 0, v12, s0
	v_cmp_le_u32_e32 vcc_lo, s28, v16
	s_delay_alu instid0(VALU_DEP_3) | instskip(SKIP_1) | instid1(VALU_DEP_4)
	v_cmp_eq_u32_e64 s0, s29, v10
	v_cndmask_b32_e64 v16, 0, -1, vcc_lo
	v_cmp_le_u32_e32 vcc_lo, s29, v12
	v_cndmask_b32_e64 v17, 0, -1, vcc_lo
	v_cmp_le_u32_e32 vcc_lo, s28, v9
	;; [unrolled: 2-line block ×3, first 2 shown]
	v_cndmask_b32_e64 v18, 0, -1, vcc_lo
	v_cmp_eq_u32_e32 vcc_lo, s29, v12
	s_delay_alu instid0(VALU_DEP_2) | instskip(SKIP_3) | instid1(VALU_DEP_3)
	v_cndmask_b32_e64 v9, v18, v9, s0
	v_cndmask_b32_e32 v12, v17, v16, vcc_lo
	v_add_co_u32 v16, vcc_lo, v2, 1
	v_add_co_ci_u32_e32 v17, vcc_lo, 0, v11, vcc_lo
	v_cmp_ne_u32_e32 vcc_lo, 0, v12
	s_delay_alu instid0(VALU_DEP_2) | instskip(NEXT) | instid1(VALU_DEP_4)
	v_cndmask_b32_e32 v10, v17, v14, vcc_lo
	v_cndmask_b32_e32 v12, v16, v13, vcc_lo
	v_cmp_ne_u32_e32 vcc_lo, 0, v9
	v_xor_b32_e32 v13, s26, v15
	s_delay_alu instid0(VALU_DEP_3) | instskip(NEXT) | instid1(VALU_DEP_1)
	v_dual_cndmask_b32 v2, v2, v12 :: v_dual_cndmask_b32 v9, v11, v10
	v_xor_b32_e32 v2, v2, v13
	s_delay_alu instid0(VALU_DEP_2) | instskip(NEXT) | instid1(VALU_DEP_2)
	v_xor_b32_e32 v10, v9, v13
	v_sub_co_u32 v9, vcc_lo, v2, v13
	s_delay_alu instid0(VALU_DEP_2)
	v_sub_co_ci_u32_e32 v10, vcc_lo, v10, v13, vcc_lo
.LBB54_5:                               ;   in Loop: Header=BB54_3 Depth=1
	s_and_not1_saveexec_b32 s0, s31
	s_cbranch_execz .LBB54_2
; %bb.6:                                ;   in Loop: Header=BB54_3 Depth=1
	v_mul_hi_u32 v2, v3, v0
	s_delay_alu instid0(VALU_DEP_1) | instskip(NEXT) | instid1(VALU_DEP_1)
	v_mul_lo_u32 v9, v2, s4
	v_sub_nc_u32_e32 v9, v3, v9
	s_delay_alu instid0(VALU_DEP_1) | instskip(SKIP_1) | instid1(VALU_DEP_2)
	v_subrev_nc_u32_e32 v11, s4, v9
	v_cmp_le_u32_e32 vcc_lo, s4, v9
	v_dual_cndmask_b32 v9, v9, v11 :: v_dual_add_nc_u32 v10, 1, v2
	s_delay_alu instid0(VALU_DEP_1) | instskip(NEXT) | instid1(VALU_DEP_2)
	v_cndmask_b32_e32 v2, v2, v10, vcc_lo
	v_cmp_le_u32_e32 vcc_lo, s4, v9
	s_delay_alu instid0(VALU_DEP_2) | instskip(NEXT) | instid1(VALU_DEP_1)
	v_add_nc_u32_e32 v10, 1, v2
	v_dual_cndmask_b32 v9, v2, v10 :: v_dual_mov_b32 v10, v1
	s_branch .LBB54_2
.LBB54_7:
	s_nop 0
	s_sendmsg sendmsg(MSG_DEALLOC_VGPRS)
	s_endpgm
	.section	.rodata,"a",@progbits
	.p2align	6, 0x0
	.amdhsa_kernel _ZN2at6native12_GLOBAL__N_16kernel17gru_cell_backwardIfflLi1EEEvNS_4cuda6detail10TensorInfoIT_T1_EES9_S9_S9_S9_S8_S8_
		.amdhsa_group_segment_fixed_size 0
		.amdhsa_private_segment_fixed_size 0
		.amdhsa_kernarg_size 2352
		.amdhsa_user_sgpr_count 15
		.amdhsa_user_sgpr_dispatch_ptr 0
		.amdhsa_user_sgpr_queue_ptr 0
		.amdhsa_user_sgpr_kernarg_segment_ptr 1
		.amdhsa_user_sgpr_dispatch_id 0
		.amdhsa_user_sgpr_private_segment_size 0
		.amdhsa_wavefront_size32 1
		.amdhsa_uses_dynamic_stack 0
		.amdhsa_enable_private_segment 0
		.amdhsa_system_sgpr_workgroup_id_x 1
		.amdhsa_system_sgpr_workgroup_id_y 0
		.amdhsa_system_sgpr_workgroup_id_z 0
		.amdhsa_system_sgpr_workgroup_info 0
		.amdhsa_system_vgpr_workitem_id 0
		.amdhsa_next_free_vgpr 37
		.amdhsa_next_free_sgpr 36
		.amdhsa_reserve_vcc 1
		.amdhsa_float_round_mode_32 0
		.amdhsa_float_round_mode_16_64 0
		.amdhsa_float_denorm_mode_32 3
		.amdhsa_float_denorm_mode_16_64 3
		.amdhsa_dx10_clamp 1
		.amdhsa_ieee_mode 1
		.amdhsa_fp16_overflow 0
		.amdhsa_workgroup_processor_mode 1
		.amdhsa_memory_ordered 1
		.amdhsa_forward_progress 0
		.amdhsa_shared_vgpr_count 0
		.amdhsa_exception_fp_ieee_invalid_op 0
		.amdhsa_exception_fp_denorm_src 0
		.amdhsa_exception_fp_ieee_div_zero 0
		.amdhsa_exception_fp_ieee_overflow 0
		.amdhsa_exception_fp_ieee_underflow 0
		.amdhsa_exception_fp_ieee_inexact 0
		.amdhsa_exception_int_div_zero 0
	.end_amdhsa_kernel
	.section	.text._ZN2at6native12_GLOBAL__N_16kernel17gru_cell_backwardIfflLi1EEEvNS_4cuda6detail10TensorInfoIT_T1_EES9_S9_S9_S9_S8_S8_,"axG",@progbits,_ZN2at6native12_GLOBAL__N_16kernel17gru_cell_backwardIfflLi1EEEvNS_4cuda6detail10TensorInfoIT_T1_EES9_S9_S9_S9_S8_S8_,comdat
.Lfunc_end54:
	.size	_ZN2at6native12_GLOBAL__N_16kernel17gru_cell_backwardIfflLi1EEEvNS_4cuda6detail10TensorInfoIT_T1_EES9_S9_S9_S9_S8_S8_, .Lfunc_end54-_ZN2at6native12_GLOBAL__N_16kernel17gru_cell_backwardIfflLi1EEEvNS_4cuda6detail10TensorInfoIT_T1_EES9_S9_S9_S9_S8_S8_
                                        ; -- End function
	.section	.AMDGPU.csdata,"",@progbits
; Kernel info:
; codeLenInByte = 2540
; NumSgprs: 38
; NumVgprs: 37
; ScratchSize: 0
; MemoryBound: 0
; FloatMode: 240
; IeeeMode: 1
; LDSByteSize: 0 bytes/workgroup (compile time only)
; SGPRBlocks: 4
; VGPRBlocks: 4
; NumSGPRsForWavesPerEU: 38
; NumVGPRsForWavesPerEU: 37
; Occupancy: 16
; WaveLimiterHint : 1
; COMPUTE_PGM_RSRC2:SCRATCH_EN: 0
; COMPUTE_PGM_RSRC2:USER_SGPR: 15
; COMPUTE_PGM_RSRC2:TRAP_HANDLER: 0
; COMPUTE_PGM_RSRC2:TGID_X_EN: 1
; COMPUTE_PGM_RSRC2:TGID_Y_EN: 0
; COMPUTE_PGM_RSRC2:TGID_Z_EN: 0
; COMPUTE_PGM_RSRC2:TIDIG_COMP_CNT: 0
	.section	.text._ZN2at6native12_GLOBAL__N_16kernel17gru_cell_backwardIfflLi2EEEvNS_4cuda6detail10TensorInfoIT_T1_EES9_S9_S9_S9_S8_S8_,"axG",@progbits,_ZN2at6native12_GLOBAL__N_16kernel17gru_cell_backwardIfflLi2EEEvNS_4cuda6detail10TensorInfoIT_T1_EES9_S9_S9_S9_S8_S8_,comdat
	.globl	_ZN2at6native12_GLOBAL__N_16kernel17gru_cell_backwardIfflLi2EEEvNS_4cuda6detail10TensorInfoIT_T1_EES9_S9_S9_S9_S8_S8_ ; -- Begin function _ZN2at6native12_GLOBAL__N_16kernel17gru_cell_backwardIfflLi2EEEvNS_4cuda6detail10TensorInfoIT_T1_EES9_S9_S9_S9_S8_S8_
	.p2align	8
	.type	_ZN2at6native12_GLOBAL__N_16kernel17gru_cell_backwardIfflLi2EEEvNS_4cuda6detail10TensorInfoIT_T1_EES9_S9_S9_S9_S8_S8_,@function
_ZN2at6native12_GLOBAL__N_16kernel17gru_cell_backwardIfflLi2EEEvNS_4cuda6detail10TensorInfoIT_T1_EES9_S9_S9_S9_S8_S8_: ; @_ZN2at6native12_GLOBAL__N_16kernel17gru_cell_backwardIfflLi2EEEvNS_4cuda6detail10TensorInfoIT_T1_EES9_S9_S9_S9_S8_S8_
; %bb.0:
	s_clause 0x1
	s_load_b32 s2, s[0:1], 0x83c
	s_load_b128 s[4:7], s[0:1], 0x820
	v_mov_b32_e32 v1, 0
	s_add_u32 s16, s0, 0x830
	s_addc_u32 s17, s1, 0
	s_waitcnt lgkmcnt(0)
	s_and_b32 s33, s2, 0xffff
	s_mov_b32 s2, exec_lo
	v_mad_u64_u32 v[3:4], null, s15, s33, v[0:1]
	v_mov_b32_e32 v4, v1
	s_delay_alu instid0(VALU_DEP_1)
	v_cmpx_gt_i64_e64 s[6:7], v[3:4]
	s_cbranch_execz .LBB55_59
; %bb.1:
	v_cvt_f32_u32_e32 v0, s4
	s_clause 0x5
	s_load_b64 s[2:3], s[0:1], 0x0
	s_load_b64 s[28:29], s[0:1], 0x10
	s_load_b128 s[8:11], s[0:1], 0xd0
	s_load_b64 s[30:31], s[0:1], 0x1a0
	s_load_b64 s[34:35], s[0:1], 0x1b0
	s_load_b128 s[12:15], s[0:1], 0x270
	s_load_b32 s48, s[16:17], 0x0
	s_clause 0x8
	s_load_b64 s[36:37], s[0:1], 0x340
	s_load_b64 s[38:39], s[0:1], 0x350
	s_load_b128 s[16:19], s[0:1], 0x410
	s_load_b64 s[40:41], s[0:1], 0x4e0
	s_load_b64 s[42:43], s[0:1], 0x4f0
	s_load_b128 s[20:23], s[0:1], 0x5b0
	;; [unrolled: 3-line block ×3, first 2 shown]
	s_lshl_b64 s[50:51], s[4:5], 1
	v_rcp_iflag_f32_e32 v0, v0
	s_mov_b32 s1, 0
	s_waitcnt_depctr 0xfff
	v_mul_f32_e32 v0, 0x4f7ffffe, v0
	s_waitcnt lgkmcnt(0)
	s_mul_i32 s33, s48, s33
	s_lshl_b64 s[48:49], s[4:5], 2
	s_sub_u32 s58, 0, s38
	v_cvt_u32_f32_e32 v0, v0
	s_subb_u32 s59, 0, s39
	s_sub_u32 s60, 0, s42
	s_subb_u32 s61, 0, s43
	s_ashr_i32 s52, s5, 31
	s_branch .LBB55_3
.LBB55_2:                               ;   in Loop: Header=BB55_3 Depth=1
	s_or_b32 exec_lo, exec_lo, s0
	s_delay_alu instid0(VALU_DEP_1) | instskip(NEXT) | instid1(VALU_DEP_2)
	v_mad_u64_u32 v[7:8], null, s60, v5, v[3:4]
	v_mul_lo_u32 v2, s60, v6
	v_mul_lo_u32 v11, s61, v5
	v_mul_lo_u32 v12, v6, s20
	v_mul_lo_u32 v13, v5, s21
	v_mad_u64_u32 v[9:10], null, v5, s20, 0
	v_mad_u64_u32 v[5:6], null, v7, s22, 0
	v_add_co_u32 v3, vcc_lo, v3, s33
	v_add3_u32 v2, v11, v8, v2
	v_mul_lo_u32 v11, v7, s23
	v_add3_u32 v10, v10, v13, v12
	v_add_co_ci_u32_e32 v4, vcc_lo, 0, v4, vcc_lo
	s_delay_alu instid0(VALU_DEP_4) | instskip(SKIP_1) | instid1(VALU_DEP_4)
	v_mul_lo_u32 v2, v2, s22
	v_mul_f32_e32 v12, v15, v16
	v_lshlrev_b64 v[7:8], 2, v[9:10]
	s_delay_alu instid0(VALU_DEP_3) | instskip(NEXT) | instid1(VALU_DEP_2)
	v_add3_u32 v6, v6, v11, v2
	v_add_co_u32 v2, vcc_lo, s40, v7
	s_delay_alu instid0(VALU_DEP_3) | instskip(NEXT) | instid1(VALU_DEP_3)
	v_add_co_ci_u32_e32 v7, vcc_lo, s41, v8, vcc_lo
	v_lshlrev_b64 v[5:6], 2, v[5:6]
	v_cmp_le_i64_e32 vcc_lo, s[6:7], v[3:4]
	s_delay_alu instid0(VALU_DEP_2) | instskip(NEXT) | instid1(VALU_DEP_1)
	v_add_co_u32 v5, s0, v2, v5
	v_add_co_ci_u32_e64 v6, s0, v7, v6, s0
	s_or_b32 s1, vcc_lo, s1
	global_store_b32 v[5:6], v12, off
	s_and_not1_b32 exec_lo, exec_lo, s1
	s_cbranch_execz .LBB55_59
.LBB55_3:                               ; =>This Inner Loop Header: Depth=1
	v_or_b32_e32 v2, s5, v4
	v_ashrrev_i32_e32 v13, 31, v4
                                        ; implicit-def: $vgpr5_vgpr6
	s_mov_b32 s0, exec_lo
	s_delay_alu instid0(VALU_DEP_2)
	v_cmpx_ne_u64_e32 0, v[1:2]
	s_xor_b32 s56, exec_lo, s0
	s_cbranch_execz .LBB55_5
; %bb.4:                                ;   in Loop: Header=BB55_3 Depth=1
	s_add_u32 s54, s4, s52
	s_mov_b32 s53, s52
	s_addc_u32 s55, s5, s52
	s_delay_alu instid0(SALU_CYCLE_1) | instskip(NEXT) | instid1(SALU_CYCLE_1)
	s_xor_b64 s[54:55], s[54:55], s[52:53]
	v_cvt_f32_u32_e32 v2, s54
	v_cvt_f32_u32_e32 v5, s55
	s_sub_u32 s0, 0, s54
	s_subb_u32 s53, 0, s55
	s_delay_alu instid0(VALU_DEP_1) | instskip(NEXT) | instid1(VALU_DEP_1)
	v_fmac_f32_e32 v2, 0x4f800000, v5
	v_rcp_f32_e32 v2, v2
	s_waitcnt_depctr 0xfff
	v_mul_f32_e32 v2, 0x5f7ffffc, v2
	s_delay_alu instid0(VALU_DEP_1) | instskip(NEXT) | instid1(VALU_DEP_1)
	v_mul_f32_e32 v5, 0x2f800000, v2
	v_trunc_f32_e32 v5, v5
	s_delay_alu instid0(VALU_DEP_1) | instskip(SKIP_1) | instid1(VALU_DEP_2)
	v_fmac_f32_e32 v2, 0xcf800000, v5
	v_cvt_u32_f32_e32 v5, v5
	v_cvt_u32_f32_e32 v2, v2
	s_delay_alu instid0(VALU_DEP_2) | instskip(NEXT) | instid1(VALU_DEP_2)
	v_mul_lo_u32 v6, s0, v5
	v_mul_hi_u32 v7, s0, v2
	v_mul_lo_u32 v8, s53, v2
	s_delay_alu instid0(VALU_DEP_2) | instskip(SKIP_1) | instid1(VALU_DEP_2)
	v_add_nc_u32_e32 v6, v7, v6
	v_mul_lo_u32 v7, s0, v2
	v_add_nc_u32_e32 v6, v6, v8
	s_delay_alu instid0(VALU_DEP_2) | instskip(NEXT) | instid1(VALU_DEP_2)
	v_mul_hi_u32 v8, v2, v7
	v_mul_lo_u32 v9, v2, v6
	v_mul_hi_u32 v10, v2, v6
	v_mul_hi_u32 v11, v5, v7
	v_mul_lo_u32 v7, v5, v7
	v_mul_hi_u32 v12, v5, v6
	v_mul_lo_u32 v6, v5, v6
	v_add_co_u32 v8, vcc_lo, v8, v9
	v_add_co_ci_u32_e32 v9, vcc_lo, 0, v10, vcc_lo
	s_delay_alu instid0(VALU_DEP_2) | instskip(NEXT) | instid1(VALU_DEP_2)
	v_add_co_u32 v7, vcc_lo, v8, v7
	v_add_co_ci_u32_e32 v7, vcc_lo, v9, v11, vcc_lo
	v_add_co_ci_u32_e32 v8, vcc_lo, 0, v12, vcc_lo
	s_delay_alu instid0(VALU_DEP_2) | instskip(NEXT) | instid1(VALU_DEP_2)
	v_add_co_u32 v6, vcc_lo, v7, v6
	v_add_co_ci_u32_e32 v7, vcc_lo, 0, v8, vcc_lo
	s_delay_alu instid0(VALU_DEP_2) | instskip(NEXT) | instid1(VALU_DEP_2)
	v_add_co_u32 v2, vcc_lo, v2, v6
	v_add_co_ci_u32_e32 v5, vcc_lo, v5, v7, vcc_lo
	s_delay_alu instid0(VALU_DEP_2) | instskip(SKIP_1) | instid1(VALU_DEP_3)
	v_mul_hi_u32 v6, s0, v2
	v_mul_lo_u32 v8, s53, v2
	v_mul_lo_u32 v7, s0, v5
	s_delay_alu instid0(VALU_DEP_1) | instskip(SKIP_1) | instid1(VALU_DEP_2)
	v_add_nc_u32_e32 v6, v6, v7
	v_mul_lo_u32 v7, s0, v2
	v_add_nc_u32_e32 v6, v6, v8
	s_delay_alu instid0(VALU_DEP_2) | instskip(NEXT) | instid1(VALU_DEP_2)
	v_mul_hi_u32 v8, v2, v7
	v_mul_lo_u32 v9, v2, v6
	v_mul_hi_u32 v10, v2, v6
	v_mul_hi_u32 v11, v5, v7
	v_mul_lo_u32 v7, v5, v7
	v_mul_hi_u32 v12, v5, v6
	v_mul_lo_u32 v6, v5, v6
	v_add_co_u32 v8, vcc_lo, v8, v9
	v_add_co_ci_u32_e32 v9, vcc_lo, 0, v10, vcc_lo
	s_delay_alu instid0(VALU_DEP_2) | instskip(NEXT) | instid1(VALU_DEP_2)
	v_add_co_u32 v7, vcc_lo, v8, v7
	v_add_co_ci_u32_e32 v7, vcc_lo, v9, v11, vcc_lo
	v_add_co_ci_u32_e32 v8, vcc_lo, 0, v12, vcc_lo
	v_add_co_u32 v9, vcc_lo, v3, v13
	v_add_co_ci_u32_e32 v10, vcc_lo, v4, v13, vcc_lo
	s_delay_alu instid0(VALU_DEP_4) | instskip(NEXT) | instid1(VALU_DEP_4)
	v_add_co_u32 v6, vcc_lo, v7, v6
	v_add_co_ci_u32_e32 v7, vcc_lo, 0, v8, vcc_lo
	s_delay_alu instid0(VALU_DEP_4) | instskip(NEXT) | instid1(VALU_DEP_3)
	v_xor_b32_e32 v11, v9, v13
	v_add_co_u32 v2, vcc_lo, v2, v6
	s_delay_alu instid0(VALU_DEP_3) | instskip(SKIP_1) | instid1(VALU_DEP_3)
	v_add_co_ci_u32_e32 v12, vcc_lo, v5, v7, vcc_lo
	v_xor_b32_e32 v14, v10, v13
	v_mul_hi_u32 v15, v11, v2
	s_delay_alu instid0(VALU_DEP_3) | instskip(NEXT) | instid1(VALU_DEP_3)
	v_mad_u64_u32 v[5:6], null, v11, v12, 0
	v_mad_u64_u32 v[7:8], null, v14, v2, 0
	;; [unrolled: 1-line block ×3, first 2 shown]
	s_delay_alu instid0(VALU_DEP_3) | instskip(NEXT) | instid1(VALU_DEP_4)
	v_add_co_u32 v2, vcc_lo, v15, v5
	v_add_co_ci_u32_e32 v5, vcc_lo, 0, v6, vcc_lo
	s_delay_alu instid0(VALU_DEP_2) | instskip(NEXT) | instid1(VALU_DEP_2)
	v_add_co_u32 v2, vcc_lo, v2, v7
	v_add_co_ci_u32_e32 v2, vcc_lo, v5, v8, vcc_lo
	v_add_co_ci_u32_e32 v5, vcc_lo, 0, v10, vcc_lo
	s_delay_alu instid0(VALU_DEP_2) | instskip(NEXT) | instid1(VALU_DEP_2)
	v_add_co_u32 v2, vcc_lo, v2, v9
	v_add_co_ci_u32_e32 v7, vcc_lo, 0, v5, vcc_lo
	s_delay_alu instid0(VALU_DEP_2) | instskip(SKIP_1) | instid1(VALU_DEP_3)
	v_mul_lo_u32 v8, s55, v2
	v_mad_u64_u32 v[5:6], null, s54, v2, 0
	v_mul_lo_u32 v9, s54, v7
	s_delay_alu instid0(VALU_DEP_2) | instskip(NEXT) | instid1(VALU_DEP_2)
	v_sub_co_u32 v5, vcc_lo, v11, v5
	v_add3_u32 v6, v6, v9, v8
	s_delay_alu instid0(VALU_DEP_1) | instskip(NEXT) | instid1(VALU_DEP_1)
	v_sub_nc_u32_e32 v8, v14, v6
	v_subrev_co_ci_u32_e64 v8, s0, s55, v8, vcc_lo
	v_add_co_u32 v9, s0, v2, 2
	s_delay_alu instid0(VALU_DEP_1) | instskip(SKIP_3) | instid1(VALU_DEP_3)
	v_add_co_ci_u32_e64 v10, s0, 0, v7, s0
	v_sub_co_u32 v11, s0, v5, s54
	v_sub_co_ci_u32_e32 v6, vcc_lo, v14, v6, vcc_lo
	v_subrev_co_ci_u32_e64 v8, s0, 0, v8, s0
	v_cmp_le_u32_e32 vcc_lo, s54, v11
	s_delay_alu instid0(VALU_DEP_3) | instskip(SKIP_1) | instid1(VALU_DEP_4)
	v_cmp_eq_u32_e64 s0, s55, v6
	v_cndmask_b32_e64 v11, 0, -1, vcc_lo
	v_cmp_le_u32_e32 vcc_lo, s55, v8
	v_cndmask_b32_e64 v12, 0, -1, vcc_lo
	v_cmp_le_u32_e32 vcc_lo, s54, v5
	;; [unrolled: 2-line block ×3, first 2 shown]
	v_cndmask_b32_e64 v14, 0, -1, vcc_lo
	v_cmp_eq_u32_e32 vcc_lo, s55, v8
	s_delay_alu instid0(VALU_DEP_2) | instskip(SKIP_3) | instid1(VALU_DEP_3)
	v_cndmask_b32_e64 v5, v14, v5, s0
	v_cndmask_b32_e32 v8, v12, v11, vcc_lo
	v_add_co_u32 v11, vcc_lo, v2, 1
	v_add_co_ci_u32_e32 v12, vcc_lo, 0, v7, vcc_lo
	v_cmp_ne_u32_e32 vcc_lo, 0, v8
	s_delay_alu instid0(VALU_DEP_2) | instskip(NEXT) | instid1(VALU_DEP_4)
	v_cndmask_b32_e32 v6, v12, v10, vcc_lo
	v_cndmask_b32_e32 v8, v11, v9, vcc_lo
	v_cmp_ne_u32_e32 vcc_lo, 0, v5
	v_xor_b32_e32 v9, s52, v13
	s_delay_alu instid0(VALU_DEP_3) | instskip(NEXT) | instid1(VALU_DEP_1)
	v_dual_cndmask_b32 v2, v2, v8 :: v_dual_cndmask_b32 v5, v7, v6
	v_xor_b32_e32 v2, v2, v9
	s_delay_alu instid0(VALU_DEP_2) | instskip(NEXT) | instid1(VALU_DEP_2)
	v_xor_b32_e32 v6, v5, v9
	v_sub_co_u32 v5, vcc_lo, v2, v9
	s_delay_alu instid0(VALU_DEP_2)
	v_sub_co_ci_u32_e32 v6, vcc_lo, v6, v9, vcc_lo
.LBB55_5:                               ;   in Loop: Header=BB55_3 Depth=1
	s_and_not1_saveexec_b32 s0, s56
	s_cbranch_execz .LBB55_7
; %bb.6:                                ;   in Loop: Header=BB55_3 Depth=1
	s_sub_i32 s53, 0, s4
	s_delay_alu instid0(SALU_CYCLE_1) | instskip(NEXT) | instid1(VALU_DEP_1)
	v_mul_lo_u32 v2, s53, v0
	v_mul_hi_u32 v2, v0, v2
	s_delay_alu instid0(VALU_DEP_1) | instskip(NEXT) | instid1(VALU_DEP_1)
	v_add_nc_u32_e32 v2, v0, v2
	v_mul_hi_u32 v2, v3, v2
	s_delay_alu instid0(VALU_DEP_1) | instskip(SKIP_1) | instid1(VALU_DEP_2)
	v_mul_lo_u32 v5, v2, s4
	v_add_nc_u32_e32 v6, 1, v2
	v_sub_nc_u32_e32 v5, v3, v5
	s_delay_alu instid0(VALU_DEP_1) | instskip(SKIP_1) | instid1(VALU_DEP_2)
	v_subrev_nc_u32_e32 v7, s4, v5
	v_cmp_le_u32_e32 vcc_lo, s4, v5
	v_dual_cndmask_b32 v5, v5, v7 :: v_dual_cndmask_b32 v2, v2, v6
	s_delay_alu instid0(VALU_DEP_1) | instskip(NEXT) | instid1(VALU_DEP_2)
	v_cmp_le_u32_e32 vcc_lo, s4, v5
	v_add_nc_u32_e32 v6, 1, v2
	s_delay_alu instid0(VALU_DEP_1)
	v_dual_cndmask_b32 v5, v2, v6 :: v_dual_mov_b32 v6, v1
.LBB55_7:                               ;   in Loop: Header=BB55_3 Depth=1
	s_or_b32 exec_lo, exec_lo, s0
	s_delay_alu instid0(VALU_DEP_1) | instskip(NEXT) | instid1(VALU_DEP_2)
	v_mul_lo_u32 v2, s49, v5
	v_mul_lo_u32 v9, s48, v6
	v_mad_u64_u32 v[7:8], null, s48, v5, 0
	s_mov_b32 s0, exec_lo
	s_delay_alu instid0(VALU_DEP_1) | instskip(NEXT) | instid1(VALU_DEP_2)
	v_add3_u32 v8, v8, v9, v2
	v_add_co_u32 v11, vcc_lo, v3, v7
                                        ; implicit-def: $vgpr9_vgpr10
	s_delay_alu instid0(VALU_DEP_2) | instskip(NEXT) | instid1(VALU_DEP_1)
	v_add_co_ci_u32_e32 v12, vcc_lo, v4, v8, vcc_lo
	v_or_b32_e32 v2, s47, v12
	s_delay_alu instid0(VALU_DEP_1)
	v_cmpx_ne_u64_e32 0, v[1:2]
	s_xor_b32 s53, exec_lo, s0
	s_cbranch_execz .LBB55_9
; %bb.8:                                ;   in Loop: Header=BB55_3 Depth=1
	s_ashr_i32 s54, s47, 31
	s_delay_alu instid0(SALU_CYCLE_1) | instskip(SKIP_2) | instid1(SALU_CYCLE_1)
	s_add_u32 s56, s46, s54
	s_mov_b32 s55, s54
	s_addc_u32 s57, s47, s54
	s_xor_b64 s[56:57], s[56:57], s[54:55]
	s_delay_alu instid0(SALU_CYCLE_1) | instskip(SKIP_3) | instid1(VALU_DEP_1)
	v_cvt_f32_u32_e32 v2, s56
	v_cvt_f32_u32_e32 v9, s57
	s_sub_u32 s0, 0, s56
	s_subb_u32 s55, 0, s57
	v_fmac_f32_e32 v2, 0x4f800000, v9
	s_delay_alu instid0(VALU_DEP_1) | instskip(SKIP_2) | instid1(VALU_DEP_1)
	v_rcp_f32_e32 v2, v2
	s_waitcnt_depctr 0xfff
	v_mul_f32_e32 v2, 0x5f7ffffc, v2
	v_mul_f32_e32 v9, 0x2f800000, v2
	s_delay_alu instid0(VALU_DEP_1) | instskip(NEXT) | instid1(VALU_DEP_1)
	v_trunc_f32_e32 v9, v9
	v_fmac_f32_e32 v2, 0xcf800000, v9
	v_cvt_u32_f32_e32 v9, v9
	s_delay_alu instid0(VALU_DEP_2) | instskip(NEXT) | instid1(VALU_DEP_2)
	v_cvt_u32_f32_e32 v2, v2
	v_mul_lo_u32 v10, s0, v9
	s_delay_alu instid0(VALU_DEP_2) | instskip(SKIP_1) | instid1(VALU_DEP_2)
	v_mul_hi_u32 v14, s0, v2
	v_mul_lo_u32 v15, s55, v2
	v_add_nc_u32_e32 v10, v14, v10
	v_mul_lo_u32 v14, s0, v2
	s_delay_alu instid0(VALU_DEP_2) | instskip(NEXT) | instid1(VALU_DEP_2)
	v_add_nc_u32_e32 v10, v10, v15
	v_mul_hi_u32 v15, v2, v14
	s_delay_alu instid0(VALU_DEP_2)
	v_mul_lo_u32 v16, v2, v10
	v_mul_hi_u32 v17, v2, v10
	v_mul_hi_u32 v18, v9, v14
	v_mul_lo_u32 v14, v9, v14
	v_mul_hi_u32 v19, v9, v10
	v_mul_lo_u32 v10, v9, v10
	v_add_co_u32 v15, vcc_lo, v15, v16
	v_add_co_ci_u32_e32 v16, vcc_lo, 0, v17, vcc_lo
	s_delay_alu instid0(VALU_DEP_2) | instskip(NEXT) | instid1(VALU_DEP_2)
	v_add_co_u32 v14, vcc_lo, v15, v14
	v_add_co_ci_u32_e32 v14, vcc_lo, v16, v18, vcc_lo
	v_add_co_ci_u32_e32 v15, vcc_lo, 0, v19, vcc_lo
	v_ashrrev_i32_e32 v18, 31, v12
	s_delay_alu instid0(VALU_DEP_3) | instskip(NEXT) | instid1(VALU_DEP_3)
	v_add_co_u32 v10, vcc_lo, v14, v10
	v_add_co_ci_u32_e32 v14, vcc_lo, 0, v15, vcc_lo
	s_delay_alu instid0(VALU_DEP_2) | instskip(NEXT) | instid1(VALU_DEP_2)
	v_add_co_u32 v2, vcc_lo, v2, v10
	v_add_co_ci_u32_e32 v9, vcc_lo, v9, v14, vcc_lo
	s_delay_alu instid0(VALU_DEP_2) | instskip(SKIP_1) | instid1(VALU_DEP_3)
	v_mul_hi_u32 v10, s0, v2
	v_mul_lo_u32 v15, s55, v2
	v_mul_lo_u32 v14, s0, v9
	s_delay_alu instid0(VALU_DEP_1) | instskip(SKIP_1) | instid1(VALU_DEP_2)
	v_add_nc_u32_e32 v10, v10, v14
	v_mul_lo_u32 v14, s0, v2
	v_add_nc_u32_e32 v10, v10, v15
	s_delay_alu instid0(VALU_DEP_2) | instskip(NEXT) | instid1(VALU_DEP_2)
	v_mul_hi_u32 v15, v2, v14
	v_mul_lo_u32 v16, v2, v10
	v_mul_hi_u32 v17, v2, v10
	v_mul_hi_u32 v19, v9, v14
	v_mul_lo_u32 v14, v9, v14
	v_mul_hi_u32 v20, v9, v10
	v_mul_lo_u32 v10, v9, v10
	v_add_co_u32 v15, vcc_lo, v15, v16
	v_add_co_ci_u32_e32 v16, vcc_lo, 0, v17, vcc_lo
	s_delay_alu instid0(VALU_DEP_2) | instskip(NEXT) | instid1(VALU_DEP_2)
	v_add_co_u32 v14, vcc_lo, v15, v14
	v_add_co_ci_u32_e32 v14, vcc_lo, v16, v19, vcc_lo
	v_add_co_ci_u32_e32 v15, vcc_lo, 0, v20, vcc_lo
	v_add_co_u32 v11, vcc_lo, v11, v18
	v_add_co_ci_u32_e32 v12, vcc_lo, v12, v18, vcc_lo
	s_delay_alu instid0(VALU_DEP_4) | instskip(NEXT) | instid1(VALU_DEP_4)
	v_add_co_u32 v10, vcc_lo, v14, v10
	v_add_co_ci_u32_e32 v14, vcc_lo, 0, v15, vcc_lo
	s_delay_alu instid0(VALU_DEP_4) | instskip(NEXT) | instid1(VALU_DEP_3)
	v_xor_b32_e32 v16, v11, v18
	v_add_co_u32 v2, vcc_lo, v2, v10
	s_delay_alu instid0(VALU_DEP_3) | instskip(SKIP_1) | instid1(VALU_DEP_3)
	v_add_co_ci_u32_e32 v17, vcc_lo, v9, v14, vcc_lo
	v_xor_b32_e32 v19, v12, v18
	v_mul_hi_u32 v20, v16, v2
	s_delay_alu instid0(VALU_DEP_3) | instskip(NEXT) | instid1(VALU_DEP_3)
	v_mad_u64_u32 v[9:10], null, v16, v17, 0
	v_mad_u64_u32 v[11:12], null, v19, v2, 0
	;; [unrolled: 1-line block ×3, first 2 shown]
	s_delay_alu instid0(VALU_DEP_3) | instskip(NEXT) | instid1(VALU_DEP_4)
	v_add_co_u32 v2, vcc_lo, v20, v9
	v_add_co_ci_u32_e32 v9, vcc_lo, 0, v10, vcc_lo
	s_delay_alu instid0(VALU_DEP_2) | instskip(NEXT) | instid1(VALU_DEP_2)
	v_add_co_u32 v2, vcc_lo, v2, v11
	v_add_co_ci_u32_e32 v2, vcc_lo, v9, v12, vcc_lo
	v_add_co_ci_u32_e32 v9, vcc_lo, 0, v15, vcc_lo
	s_delay_alu instid0(VALU_DEP_2) | instskip(NEXT) | instid1(VALU_DEP_2)
	v_add_co_u32 v2, vcc_lo, v2, v14
	v_add_co_ci_u32_e32 v11, vcc_lo, 0, v9, vcc_lo
	s_delay_alu instid0(VALU_DEP_2) | instskip(SKIP_1) | instid1(VALU_DEP_3)
	v_mul_lo_u32 v12, s57, v2
	v_mad_u64_u32 v[9:10], null, s56, v2, 0
	v_mul_lo_u32 v14, s56, v11
	s_delay_alu instid0(VALU_DEP_2) | instskip(NEXT) | instid1(VALU_DEP_2)
	v_sub_co_u32 v9, vcc_lo, v16, v9
	v_add3_u32 v10, v10, v14, v12
	s_delay_alu instid0(VALU_DEP_1) | instskip(NEXT) | instid1(VALU_DEP_1)
	v_sub_nc_u32_e32 v12, v19, v10
	v_subrev_co_ci_u32_e64 v12, s0, s57, v12, vcc_lo
	v_add_co_u32 v14, s0, v2, 2
	s_delay_alu instid0(VALU_DEP_1) | instskip(SKIP_3) | instid1(VALU_DEP_3)
	v_add_co_ci_u32_e64 v15, s0, 0, v11, s0
	v_sub_co_u32 v16, s0, v9, s56
	v_sub_co_ci_u32_e32 v10, vcc_lo, v19, v10, vcc_lo
	v_subrev_co_ci_u32_e64 v12, s0, 0, v12, s0
	v_cmp_le_u32_e32 vcc_lo, s56, v16
	s_delay_alu instid0(VALU_DEP_3) | instskip(SKIP_1) | instid1(VALU_DEP_4)
	v_cmp_eq_u32_e64 s0, s57, v10
	v_cndmask_b32_e64 v16, 0, -1, vcc_lo
	v_cmp_le_u32_e32 vcc_lo, s57, v12
	v_cndmask_b32_e64 v17, 0, -1, vcc_lo
	v_cmp_le_u32_e32 vcc_lo, s56, v9
	v_cndmask_b32_e64 v9, 0, -1, vcc_lo
	v_cmp_le_u32_e32 vcc_lo, s57, v10
	v_cndmask_b32_e64 v19, 0, -1, vcc_lo
	v_cmp_eq_u32_e32 vcc_lo, s57, v12
	s_delay_alu instid0(VALU_DEP_2) | instskip(SKIP_3) | instid1(VALU_DEP_3)
	v_cndmask_b32_e64 v9, v19, v9, s0
	v_cndmask_b32_e32 v12, v17, v16, vcc_lo
	v_add_co_u32 v16, vcc_lo, v2, 1
	v_add_co_ci_u32_e32 v17, vcc_lo, 0, v11, vcc_lo
	v_cmp_ne_u32_e32 vcc_lo, 0, v12
	s_delay_alu instid0(VALU_DEP_2) | instskip(NEXT) | instid1(VALU_DEP_4)
	v_cndmask_b32_e32 v10, v17, v15, vcc_lo
	v_cndmask_b32_e32 v12, v16, v14, vcc_lo
	v_cmp_ne_u32_e32 vcc_lo, 0, v9
	v_xor_b32_e32 v14, s54, v18
	s_delay_alu instid0(VALU_DEP_3) | instskip(NEXT) | instid1(VALU_DEP_1)
	v_dual_cndmask_b32 v2, v2, v12 :: v_dual_cndmask_b32 v9, v11, v10
                                        ; implicit-def: $vgpr11
	v_xor_b32_e32 v2, v2, v14
	s_delay_alu instid0(VALU_DEP_2) | instskip(NEXT) | instid1(VALU_DEP_2)
	v_xor_b32_e32 v10, v9, v14
	v_sub_co_u32 v9, vcc_lo, v2, v14
	s_delay_alu instid0(VALU_DEP_2)
	v_sub_co_ci_u32_e32 v10, vcc_lo, v10, v14, vcc_lo
.LBB55_9:                               ;   in Loop: Header=BB55_3 Depth=1
	s_or_saveexec_b32 s0, s53
	v_cvt_f32_u32_e32 v16, s46
	s_xor_b32 exec_lo, exec_lo, s0
	s_cbranch_execz .LBB55_11
; %bb.10:                               ;   in Loop: Header=BB55_3 Depth=1
	s_delay_alu instid0(VALU_DEP_1) | instskip(SKIP_3) | instid1(VALU_DEP_1)
	v_rcp_iflag_f32_e32 v2, v16
	s_sub_i32 s53, 0, s46
	s_waitcnt_depctr 0xfff
	v_mul_f32_e32 v2, 0x4f7ffffe, v2
	v_cvt_u32_f32_e32 v2, v2
	s_delay_alu instid0(VALU_DEP_1) | instskip(NEXT) | instid1(VALU_DEP_1)
	v_mul_lo_u32 v9, s53, v2
	v_mul_hi_u32 v9, v2, v9
	s_delay_alu instid0(VALU_DEP_1) | instskip(NEXT) | instid1(VALU_DEP_1)
	v_add_nc_u32_e32 v2, v2, v9
	v_mul_hi_u32 v2, v11, v2
	s_delay_alu instid0(VALU_DEP_1) | instskip(SKIP_1) | instid1(VALU_DEP_2)
	v_mul_lo_u32 v9, v2, s46
	v_add_nc_u32_e32 v10, 1, v2
	v_sub_nc_u32_e32 v9, v11, v9
	s_delay_alu instid0(VALU_DEP_1) | instskip(SKIP_1) | instid1(VALU_DEP_2)
	v_subrev_nc_u32_e32 v11, s46, v9
	v_cmp_le_u32_e32 vcc_lo, s46, v9
	v_dual_cndmask_b32 v9, v9, v11 :: v_dual_cndmask_b32 v2, v2, v10
	s_delay_alu instid0(VALU_DEP_1) | instskip(NEXT) | instid1(VALU_DEP_2)
	v_cmp_le_u32_e32 vcc_lo, s46, v9
	v_add_nc_u32_e32 v10, 1, v2
	s_delay_alu instid0(VALU_DEP_1)
	v_dual_cndmask_b32 v9, v2, v10 :: v_dual_mov_b32 v10, v1
.LBB55_11:                              ;   in Loop: Header=BB55_3 Depth=1
	s_or_b32 exec_lo, exec_lo, s0
	s_delay_alu instid0(VALU_DEP_1) | instskip(NEXT) | instid1(VALU_DEP_2)
	v_mul_lo_u32 v2, v10, s46
	v_mul_lo_u32 v14, v9, s47
	v_mad_u64_u32 v[11:12], null, v9, s46, 0
	s_mov_b32 s0, exec_lo
	s_delay_alu instid0(VALU_DEP_1) | instskip(NEXT) | instid1(VALU_DEP_2)
	v_add3_u32 v2, v12, v14, v2
	v_sub_co_u32 v7, vcc_lo, v7, v11
	v_mul_lo_u32 v12, v10, s24
	v_mul_lo_u32 v11, v9, s25
	s_delay_alu instid0(VALU_DEP_4) | instskip(NEXT) | instid1(VALU_DEP_4)
	v_sub_co_ci_u32_e32 v2, vcc_lo, v8, v2, vcc_lo
	v_add_co_u32 v14, vcc_lo, v3, v7
	v_mad_u64_u32 v[7:8], null, v9, s24, 0
	s_delay_alu instid0(VALU_DEP_3) | instskip(NEXT) | instid1(VALU_DEP_3)
	v_add_co_ci_u32_e32 v2, vcc_lo, v4, v2, vcc_lo
	v_mul_lo_u32 v15, v14, s27
	v_mad_u64_u32 v[9:10], null, v14, s26, 0
	s_delay_alu instid0(VALU_DEP_3) | instskip(SKIP_1) | instid1(VALU_DEP_1)
	v_mul_lo_u32 v2, v2, s26
	v_add3_u32 v8, v8, v11, v12
	v_lshlrev_b64 v[7:8], 2, v[7:8]
	s_delay_alu instid0(VALU_DEP_3) | instskip(NEXT) | instid1(VALU_DEP_2)
	v_add3_u32 v10, v10, v15, v2
	v_add_co_u32 v2, vcc_lo, s44, v7
	s_delay_alu instid0(VALU_DEP_2) | instskip(NEXT) | instid1(VALU_DEP_4)
	v_lshlrev_b64 v[9:10], 2, v[9:10]
	v_add_co_ci_u32_e32 v8, vcc_lo, s45, v8, vcc_lo
	s_delay_alu instid0(VALU_DEP_2) | instskip(NEXT) | instid1(VALU_DEP_2)
	v_add_co_u32 v7, vcc_lo, v2, v9
	v_add_co_ci_u32_e32 v8, vcc_lo, v8, v10, vcc_lo
	v_alignbit_b32 v2, v6, v5, 30
	global_load_b32 v14, v[7:8], off
	v_lshlrev_b64 v[7:8], 2, v[5:6]
	v_mul_lo_u32 v2, s4, v2
	s_delay_alu instid0(VALU_DEP_2) | instskip(SKIP_1) | instid1(VALU_DEP_1)
	v_mul_lo_u32 v11, s5, v7
	v_mad_u64_u32 v[9:10], null, s4, v7, s[4:5]
	v_add3_u32 v10, v11, v10, v2
	s_delay_alu instid0(VALU_DEP_2) | instskip(NEXT) | instid1(VALU_DEP_2)
	v_add_co_u32 v15, vcc_lo, v3, v9
                                        ; implicit-def: $vgpr11_vgpr12
	v_add_co_ci_u32_e32 v17, vcc_lo, v4, v10, vcc_lo
	s_delay_alu instid0(VALU_DEP_1) | instskip(NEXT) | instid1(VALU_DEP_1)
	v_or_b32_e32 v2, s47, v17
	v_cmpx_ne_u64_e32 0, v[1:2]
	s_xor_b32 s53, exec_lo, s0
	s_cbranch_execz .LBB55_13
; %bb.12:                               ;   in Loop: Header=BB55_3 Depth=1
	s_ashr_i32 s54, s47, 31
	s_delay_alu instid0(SALU_CYCLE_1) | instskip(SKIP_2) | instid1(SALU_CYCLE_1)
	s_add_u32 s56, s46, s54
	s_mov_b32 s55, s54
	s_addc_u32 s57, s47, s54
	s_xor_b64 s[56:57], s[56:57], s[54:55]
	s_delay_alu instid0(SALU_CYCLE_1) | instskip(SKIP_3) | instid1(VALU_DEP_1)
	v_cvt_f32_u32_e32 v2, s56
	v_cvt_f32_u32_e32 v11, s57
	s_sub_u32 s0, 0, s56
	s_subb_u32 s55, 0, s57
	v_fmac_f32_e32 v2, 0x4f800000, v11
	s_delay_alu instid0(VALU_DEP_1) | instskip(SKIP_2) | instid1(VALU_DEP_1)
	v_rcp_f32_e32 v2, v2
	s_waitcnt_depctr 0xfff
	v_mul_f32_e32 v2, 0x5f7ffffc, v2
	v_mul_f32_e32 v11, 0x2f800000, v2
	s_delay_alu instid0(VALU_DEP_1) | instskip(NEXT) | instid1(VALU_DEP_1)
	v_trunc_f32_e32 v11, v11
	v_fmac_f32_e32 v2, 0xcf800000, v11
	v_cvt_u32_f32_e32 v11, v11
	s_delay_alu instid0(VALU_DEP_2) | instskip(NEXT) | instid1(VALU_DEP_2)
	v_cvt_u32_f32_e32 v2, v2
	v_mul_lo_u32 v12, s0, v11
	s_delay_alu instid0(VALU_DEP_2) | instskip(SKIP_1) | instid1(VALU_DEP_2)
	v_mul_hi_u32 v18, s0, v2
	v_mul_lo_u32 v19, s55, v2
	v_add_nc_u32_e32 v12, v18, v12
	v_mul_lo_u32 v18, s0, v2
	s_delay_alu instid0(VALU_DEP_2) | instskip(NEXT) | instid1(VALU_DEP_2)
	v_add_nc_u32_e32 v12, v12, v19
	v_mul_hi_u32 v19, v2, v18
	s_delay_alu instid0(VALU_DEP_2)
	v_mul_lo_u32 v20, v2, v12
	v_mul_hi_u32 v21, v2, v12
	v_mul_hi_u32 v22, v11, v18
	v_mul_lo_u32 v18, v11, v18
	v_mul_hi_u32 v23, v11, v12
	v_mul_lo_u32 v12, v11, v12
	v_add_co_u32 v19, vcc_lo, v19, v20
	v_add_co_ci_u32_e32 v20, vcc_lo, 0, v21, vcc_lo
	s_delay_alu instid0(VALU_DEP_2) | instskip(NEXT) | instid1(VALU_DEP_2)
	v_add_co_u32 v18, vcc_lo, v19, v18
	v_add_co_ci_u32_e32 v18, vcc_lo, v20, v22, vcc_lo
	v_add_co_ci_u32_e32 v19, vcc_lo, 0, v23, vcc_lo
	v_ashrrev_i32_e32 v22, 31, v17
	s_delay_alu instid0(VALU_DEP_3) | instskip(NEXT) | instid1(VALU_DEP_3)
	v_add_co_u32 v12, vcc_lo, v18, v12
	v_add_co_ci_u32_e32 v18, vcc_lo, 0, v19, vcc_lo
	s_delay_alu instid0(VALU_DEP_2) | instskip(NEXT) | instid1(VALU_DEP_2)
	v_add_co_u32 v2, vcc_lo, v2, v12
	v_add_co_ci_u32_e32 v11, vcc_lo, v11, v18, vcc_lo
	s_delay_alu instid0(VALU_DEP_2) | instskip(SKIP_1) | instid1(VALU_DEP_3)
	v_mul_hi_u32 v12, s0, v2
	v_mul_lo_u32 v19, s55, v2
	v_mul_lo_u32 v18, s0, v11
	s_delay_alu instid0(VALU_DEP_1) | instskip(SKIP_1) | instid1(VALU_DEP_2)
	v_add_nc_u32_e32 v12, v12, v18
	v_mul_lo_u32 v18, s0, v2
	v_add_nc_u32_e32 v12, v12, v19
	s_delay_alu instid0(VALU_DEP_2) | instskip(NEXT) | instid1(VALU_DEP_2)
	v_mul_hi_u32 v19, v2, v18
	v_mul_lo_u32 v20, v2, v12
	v_mul_hi_u32 v21, v2, v12
	v_mul_hi_u32 v23, v11, v18
	v_mul_lo_u32 v18, v11, v18
	v_mul_hi_u32 v24, v11, v12
	v_mul_lo_u32 v12, v11, v12
	v_add_co_u32 v19, vcc_lo, v19, v20
	v_add_co_ci_u32_e32 v20, vcc_lo, 0, v21, vcc_lo
	s_delay_alu instid0(VALU_DEP_2) | instskip(NEXT) | instid1(VALU_DEP_2)
	v_add_co_u32 v18, vcc_lo, v19, v18
	v_add_co_ci_u32_e32 v18, vcc_lo, v20, v23, vcc_lo
	v_add_co_ci_u32_e32 v19, vcc_lo, 0, v24, vcc_lo
	v_add_co_u32 v15, vcc_lo, v15, v22
	v_add_co_ci_u32_e32 v17, vcc_lo, v17, v22, vcc_lo
	s_delay_alu instid0(VALU_DEP_4) | instskip(NEXT) | instid1(VALU_DEP_4)
	v_add_co_u32 v12, vcc_lo, v18, v12
	v_add_co_ci_u32_e32 v18, vcc_lo, 0, v19, vcc_lo
	s_delay_alu instid0(VALU_DEP_4) | instskip(NEXT) | instid1(VALU_DEP_3)
	v_xor_b32_e32 v15, v15, v22
	v_add_co_u32 v2, vcc_lo, v2, v12
	s_delay_alu instid0(VALU_DEP_3) | instskip(SKIP_1) | instid1(VALU_DEP_3)
	v_add_co_ci_u32_e32 v21, vcc_lo, v11, v18, vcc_lo
	v_xor_b32_e32 v23, v17, v22
	v_mul_hi_u32 v24, v15, v2
	s_delay_alu instid0(VALU_DEP_3) | instskip(NEXT) | instid1(VALU_DEP_3)
	v_mad_u64_u32 v[11:12], null, v15, v21, 0
	v_mad_u64_u32 v[17:18], null, v23, v2, 0
	;; [unrolled: 1-line block ×3, first 2 shown]
	s_delay_alu instid0(VALU_DEP_3) | instskip(NEXT) | instid1(VALU_DEP_4)
	v_add_co_u32 v2, vcc_lo, v24, v11
	v_add_co_ci_u32_e32 v11, vcc_lo, 0, v12, vcc_lo
	s_delay_alu instid0(VALU_DEP_2) | instskip(NEXT) | instid1(VALU_DEP_2)
	v_add_co_u32 v2, vcc_lo, v2, v17
	v_add_co_ci_u32_e32 v2, vcc_lo, v11, v18, vcc_lo
	v_add_co_ci_u32_e32 v11, vcc_lo, 0, v20, vcc_lo
	s_delay_alu instid0(VALU_DEP_2) | instskip(NEXT) | instid1(VALU_DEP_2)
	v_add_co_u32 v2, vcc_lo, v2, v19
	v_add_co_ci_u32_e32 v17, vcc_lo, 0, v11, vcc_lo
	s_delay_alu instid0(VALU_DEP_2) | instskip(SKIP_1) | instid1(VALU_DEP_3)
	v_mul_lo_u32 v18, s57, v2
	v_mad_u64_u32 v[11:12], null, s56, v2, 0
	v_mul_lo_u32 v19, s56, v17
	s_delay_alu instid0(VALU_DEP_2) | instskip(NEXT) | instid1(VALU_DEP_2)
	v_sub_co_u32 v11, vcc_lo, v15, v11
	v_add3_u32 v12, v12, v19, v18
	s_delay_alu instid0(VALU_DEP_1) | instskip(NEXT) | instid1(VALU_DEP_1)
	v_sub_nc_u32_e32 v18, v23, v12
	v_subrev_co_ci_u32_e64 v15, s0, s57, v18, vcc_lo
	v_add_co_u32 v18, s0, v2, 2
	s_delay_alu instid0(VALU_DEP_1) | instskip(SKIP_3) | instid1(VALU_DEP_3)
	v_add_co_ci_u32_e64 v19, s0, 0, v17, s0
	v_sub_co_u32 v20, s0, v11, s56
	v_sub_co_ci_u32_e32 v12, vcc_lo, v23, v12, vcc_lo
	v_subrev_co_ci_u32_e64 v15, s0, 0, v15, s0
	v_cmp_le_u32_e32 vcc_lo, s56, v20
	s_delay_alu instid0(VALU_DEP_3) | instskip(SKIP_1) | instid1(VALU_DEP_4)
	v_cmp_eq_u32_e64 s0, s57, v12
	v_cndmask_b32_e64 v20, 0, -1, vcc_lo
	v_cmp_le_u32_e32 vcc_lo, s57, v15
	v_cndmask_b32_e64 v21, 0, -1, vcc_lo
	v_cmp_le_u32_e32 vcc_lo, s56, v11
	;; [unrolled: 2-line block ×3, first 2 shown]
	v_cndmask_b32_e64 v23, 0, -1, vcc_lo
	v_cmp_eq_u32_e32 vcc_lo, s57, v15
	s_delay_alu instid0(VALU_DEP_2) | instskip(SKIP_3) | instid1(VALU_DEP_3)
	v_cndmask_b32_e64 v11, v23, v11, s0
	v_cndmask_b32_e32 v15, v21, v20, vcc_lo
	v_add_co_u32 v20, vcc_lo, v2, 1
	v_add_co_ci_u32_e32 v21, vcc_lo, 0, v17, vcc_lo
	v_cmp_ne_u32_e32 vcc_lo, 0, v15
	s_delay_alu instid0(VALU_DEP_2) | instskip(SKIP_2) | instid1(VALU_DEP_3)
	v_dual_cndmask_b32 v15, v20, v18 :: v_dual_cndmask_b32 v12, v21, v19
	v_cmp_ne_u32_e32 vcc_lo, 0, v11
	v_xor_b32_e32 v18, s54, v22
	v_dual_cndmask_b32 v2, v2, v15 :: v_dual_cndmask_b32 v11, v17, v12
                                        ; implicit-def: $vgpr15
	s_delay_alu instid0(VALU_DEP_1) | instskip(NEXT) | instid1(VALU_DEP_2)
	v_xor_b32_e32 v2, v2, v18
	v_xor_b32_e32 v12, v11, v18
	s_delay_alu instid0(VALU_DEP_2) | instskip(NEXT) | instid1(VALU_DEP_2)
	v_sub_co_u32 v11, vcc_lo, v2, v18
	v_sub_co_ci_u32_e32 v12, vcc_lo, v12, v18, vcc_lo
.LBB55_13:                              ;   in Loop: Header=BB55_3 Depth=1
	s_and_not1_saveexec_b32 s0, s53
	s_cbranch_execz .LBB55_15
; %bb.14:                               ;   in Loop: Header=BB55_3 Depth=1
	v_rcp_iflag_f32_e32 v2, v16
	s_sub_i32 s53, 0, s46
	s_waitcnt_depctr 0xfff
	v_mul_f32_e32 v2, 0x4f7ffffe, v2
	s_delay_alu instid0(VALU_DEP_1) | instskip(NEXT) | instid1(VALU_DEP_1)
	v_cvt_u32_f32_e32 v2, v2
	v_mul_lo_u32 v11, s53, v2
	s_delay_alu instid0(VALU_DEP_1) | instskip(NEXT) | instid1(VALU_DEP_1)
	v_mul_hi_u32 v11, v2, v11
	v_add_nc_u32_e32 v2, v2, v11
	s_delay_alu instid0(VALU_DEP_1) | instskip(NEXT) | instid1(VALU_DEP_1)
	v_mul_hi_u32 v2, v15, v2
	v_mul_lo_u32 v11, v2, s46
	v_add_nc_u32_e32 v12, 1, v2
	s_delay_alu instid0(VALU_DEP_2) | instskip(NEXT) | instid1(VALU_DEP_1)
	v_sub_nc_u32_e32 v11, v15, v11
	v_subrev_nc_u32_e32 v15, s46, v11
	v_cmp_le_u32_e32 vcc_lo, s46, v11
	s_delay_alu instid0(VALU_DEP_2) | instskip(NEXT) | instid1(VALU_DEP_1)
	v_dual_cndmask_b32 v11, v11, v15 :: v_dual_cndmask_b32 v2, v2, v12
	v_cmp_le_u32_e32 vcc_lo, s46, v11
	s_delay_alu instid0(VALU_DEP_2) | instskip(NEXT) | instid1(VALU_DEP_1)
	v_add_nc_u32_e32 v12, 1, v2
	v_dual_cndmask_b32 v11, v2, v12 :: v_dual_mov_b32 v12, v1
.LBB55_15:                              ;   in Loop: Header=BB55_3 Depth=1
	s_or_b32 exec_lo, exec_lo, s0
	s_delay_alu instid0(VALU_DEP_1) | instskip(NEXT) | instid1(VALU_DEP_2)
	v_mul_lo_u32 v2, v12, s46
	v_mul_lo_u32 v15, v11, s47
	v_mad_u64_u32 v[17:18], null, v11, s46, 0
	s_mov_b32 s0, exec_lo
	s_delay_alu instid0(VALU_DEP_1) | instskip(NEXT) | instid1(VALU_DEP_2)
	v_add3_u32 v2, v18, v15, v2
	v_sub_co_u32 v9, vcc_lo, v9, v17
	v_mul_lo_u32 v15, v12, s24
	v_mul_lo_u32 v17, v11, s25
	s_delay_alu instid0(VALU_DEP_4) | instskip(NEXT) | instid1(VALU_DEP_4)
	v_sub_co_ci_u32_e32 v2, vcc_lo, v10, v2, vcc_lo
	v_add_co_u32 v18, vcc_lo, v3, v9
	v_mad_u64_u32 v[9:10], null, v11, s24, 0
	s_delay_alu instid0(VALU_DEP_3) | instskip(NEXT) | instid1(VALU_DEP_3)
	v_add_co_ci_u32_e32 v2, vcc_lo, v4, v2, vcc_lo
	v_mul_lo_u32 v19, v18, s27
	v_mad_u64_u32 v[11:12], null, v18, s26, 0
	s_delay_alu instid0(VALU_DEP_3) | instskip(SKIP_1) | instid1(VALU_DEP_1)
	v_mul_lo_u32 v2, v2, s26
	v_add3_u32 v10, v10, v17, v15
	v_lshlrev_b64 v[9:10], 2, v[9:10]
	s_delay_alu instid0(VALU_DEP_3) | instskip(NEXT) | instid1(VALU_DEP_2)
	v_add3_u32 v12, v12, v19, v2
	v_add_co_u32 v2, vcc_lo, s44, v9
	s_delay_alu instid0(VALU_DEP_2) | instskip(NEXT) | instid1(VALU_DEP_4)
	v_lshlrev_b64 v[11:12], 2, v[11:12]
	v_add_co_ci_u32_e32 v10, vcc_lo, s45, v10, vcc_lo
	s_delay_alu instid0(VALU_DEP_2) | instskip(NEXT) | instid1(VALU_DEP_2)
	v_add_co_u32 v9, vcc_lo, v2, v11
	v_add_co_ci_u32_e32 v10, vcc_lo, v10, v12, vcc_lo
	v_add_co_u32 v2, vcc_lo, v7, 2
	global_load_b32 v15, v[9:10], off
	v_add_co_ci_u32_e32 v9, vcc_lo, 0, v8, vcc_lo
	v_mul_lo_u32 v11, s5, v2
	s_delay_alu instid0(VALU_DEP_2) | instskip(SKIP_1) | instid1(VALU_DEP_1)
	v_mul_lo_u32 v12, s4, v9
	v_mad_u64_u32 v[9:10], null, s4, v2, 0
	v_add3_u32 v10, v10, v12, v11
	s_delay_alu instid0(VALU_DEP_2) | instskip(NEXT) | instid1(VALU_DEP_2)
	v_add_co_u32 v17, vcc_lo, v3, v9
                                        ; implicit-def: $vgpr11_vgpr12
	v_add_co_ci_u32_e32 v18, vcc_lo, v4, v10, vcc_lo
	s_delay_alu instid0(VALU_DEP_1) | instskip(NEXT) | instid1(VALU_DEP_1)
	v_or_b32_e32 v2, s47, v18
	v_cmpx_ne_u64_e32 0, v[1:2]
	s_xor_b32 s53, exec_lo, s0
	s_cbranch_execz .LBB55_17
; %bb.16:                               ;   in Loop: Header=BB55_3 Depth=1
	s_ashr_i32 s54, s47, 31
	s_delay_alu instid0(SALU_CYCLE_1) | instskip(SKIP_2) | instid1(SALU_CYCLE_1)
	s_add_u32 s56, s46, s54
	s_mov_b32 s55, s54
	s_addc_u32 s57, s47, s54
	s_xor_b64 s[56:57], s[56:57], s[54:55]
	s_delay_alu instid0(SALU_CYCLE_1) | instskip(SKIP_3) | instid1(VALU_DEP_1)
	v_cvt_f32_u32_e32 v2, s56
	v_cvt_f32_u32_e32 v11, s57
	s_sub_u32 s0, 0, s56
	s_subb_u32 s55, 0, s57
	v_fmac_f32_e32 v2, 0x4f800000, v11
	s_delay_alu instid0(VALU_DEP_1) | instskip(SKIP_2) | instid1(VALU_DEP_1)
	v_rcp_f32_e32 v2, v2
	s_waitcnt_depctr 0xfff
	v_mul_f32_e32 v2, 0x5f7ffffc, v2
	v_mul_f32_e32 v11, 0x2f800000, v2
	s_delay_alu instid0(VALU_DEP_1) | instskip(NEXT) | instid1(VALU_DEP_1)
	v_trunc_f32_e32 v11, v11
	v_fmac_f32_e32 v2, 0xcf800000, v11
	v_cvt_u32_f32_e32 v11, v11
	s_delay_alu instid0(VALU_DEP_2) | instskip(NEXT) | instid1(VALU_DEP_2)
	v_cvt_u32_f32_e32 v2, v2
	v_mul_lo_u32 v12, s0, v11
	s_delay_alu instid0(VALU_DEP_2) | instskip(SKIP_1) | instid1(VALU_DEP_2)
	v_mul_hi_u32 v19, s0, v2
	v_mul_lo_u32 v20, s55, v2
	v_add_nc_u32_e32 v12, v19, v12
	v_mul_lo_u32 v19, s0, v2
	s_delay_alu instid0(VALU_DEP_2) | instskip(NEXT) | instid1(VALU_DEP_2)
	v_add_nc_u32_e32 v12, v12, v20
	v_mul_hi_u32 v20, v2, v19
	s_delay_alu instid0(VALU_DEP_2)
	v_mul_lo_u32 v21, v2, v12
	v_mul_hi_u32 v22, v2, v12
	v_mul_hi_u32 v23, v11, v19
	v_mul_lo_u32 v19, v11, v19
	v_mul_hi_u32 v24, v11, v12
	v_mul_lo_u32 v12, v11, v12
	v_add_co_u32 v20, vcc_lo, v20, v21
	v_add_co_ci_u32_e32 v21, vcc_lo, 0, v22, vcc_lo
	s_delay_alu instid0(VALU_DEP_2) | instskip(NEXT) | instid1(VALU_DEP_2)
	v_add_co_u32 v19, vcc_lo, v20, v19
	v_add_co_ci_u32_e32 v19, vcc_lo, v21, v23, vcc_lo
	v_add_co_ci_u32_e32 v20, vcc_lo, 0, v24, vcc_lo
	v_ashrrev_i32_e32 v23, 31, v18
	s_delay_alu instid0(VALU_DEP_3) | instskip(NEXT) | instid1(VALU_DEP_3)
	v_add_co_u32 v12, vcc_lo, v19, v12
	v_add_co_ci_u32_e32 v19, vcc_lo, 0, v20, vcc_lo
	s_delay_alu instid0(VALU_DEP_2) | instskip(NEXT) | instid1(VALU_DEP_2)
	v_add_co_u32 v2, vcc_lo, v2, v12
	v_add_co_ci_u32_e32 v11, vcc_lo, v11, v19, vcc_lo
	s_delay_alu instid0(VALU_DEP_2) | instskip(SKIP_1) | instid1(VALU_DEP_3)
	v_mul_hi_u32 v12, s0, v2
	v_mul_lo_u32 v20, s55, v2
	v_mul_lo_u32 v19, s0, v11
	s_delay_alu instid0(VALU_DEP_1) | instskip(SKIP_1) | instid1(VALU_DEP_2)
	v_add_nc_u32_e32 v12, v12, v19
	v_mul_lo_u32 v19, s0, v2
	v_add_nc_u32_e32 v12, v12, v20
	s_delay_alu instid0(VALU_DEP_2) | instskip(NEXT) | instid1(VALU_DEP_2)
	v_mul_hi_u32 v20, v2, v19
	v_mul_lo_u32 v21, v2, v12
	v_mul_hi_u32 v22, v2, v12
	v_mul_hi_u32 v24, v11, v19
	v_mul_lo_u32 v19, v11, v19
	v_mul_hi_u32 v25, v11, v12
	v_mul_lo_u32 v12, v11, v12
	v_add_co_u32 v20, vcc_lo, v20, v21
	v_add_co_ci_u32_e32 v21, vcc_lo, 0, v22, vcc_lo
	s_delay_alu instid0(VALU_DEP_2) | instskip(NEXT) | instid1(VALU_DEP_2)
	v_add_co_u32 v19, vcc_lo, v20, v19
	v_add_co_ci_u32_e32 v19, vcc_lo, v21, v24, vcc_lo
	v_add_co_ci_u32_e32 v20, vcc_lo, 0, v25, vcc_lo
	v_add_co_u32 v17, vcc_lo, v17, v23
	v_add_co_ci_u32_e32 v18, vcc_lo, v18, v23, vcc_lo
	s_delay_alu instid0(VALU_DEP_4) | instskip(NEXT) | instid1(VALU_DEP_4)
	v_add_co_u32 v12, vcc_lo, v19, v12
	v_add_co_ci_u32_e32 v19, vcc_lo, 0, v20, vcc_lo
	s_delay_alu instid0(VALU_DEP_4) | instskip(NEXT) | instid1(VALU_DEP_3)
	v_xor_b32_e32 v21, v17, v23
	v_add_co_u32 v2, vcc_lo, v2, v12
	s_delay_alu instid0(VALU_DEP_3) | instskip(SKIP_1) | instid1(VALU_DEP_3)
	v_add_co_ci_u32_e32 v22, vcc_lo, v11, v19, vcc_lo
	v_xor_b32_e32 v24, v18, v23
	v_mul_hi_u32 v25, v21, v2
	s_delay_alu instid0(VALU_DEP_3) | instskip(NEXT) | instid1(VALU_DEP_3)
	v_mad_u64_u32 v[11:12], null, v21, v22, 0
	v_mad_u64_u32 v[17:18], null, v24, v2, 0
	;; [unrolled: 1-line block ×3, first 2 shown]
	s_delay_alu instid0(VALU_DEP_3) | instskip(NEXT) | instid1(VALU_DEP_4)
	v_add_co_u32 v2, vcc_lo, v25, v11
	v_add_co_ci_u32_e32 v11, vcc_lo, 0, v12, vcc_lo
	s_delay_alu instid0(VALU_DEP_2) | instskip(NEXT) | instid1(VALU_DEP_2)
	v_add_co_u32 v2, vcc_lo, v2, v17
	v_add_co_ci_u32_e32 v2, vcc_lo, v11, v18, vcc_lo
	v_add_co_ci_u32_e32 v11, vcc_lo, 0, v20, vcc_lo
	s_delay_alu instid0(VALU_DEP_2) | instskip(NEXT) | instid1(VALU_DEP_2)
	v_add_co_u32 v2, vcc_lo, v2, v19
	v_add_co_ci_u32_e32 v17, vcc_lo, 0, v11, vcc_lo
	s_delay_alu instid0(VALU_DEP_2) | instskip(SKIP_1) | instid1(VALU_DEP_3)
	v_mul_lo_u32 v18, s57, v2
	v_mad_u64_u32 v[11:12], null, s56, v2, 0
	v_mul_lo_u32 v19, s56, v17
	s_delay_alu instid0(VALU_DEP_2) | instskip(NEXT) | instid1(VALU_DEP_2)
	v_sub_co_u32 v11, vcc_lo, v21, v11
	v_add3_u32 v12, v12, v19, v18
	s_delay_alu instid0(VALU_DEP_1) | instskip(NEXT) | instid1(VALU_DEP_1)
	v_sub_nc_u32_e32 v18, v24, v12
	v_subrev_co_ci_u32_e64 v18, s0, s57, v18, vcc_lo
	v_add_co_u32 v19, s0, v2, 2
	s_delay_alu instid0(VALU_DEP_1) | instskip(SKIP_3) | instid1(VALU_DEP_3)
	v_add_co_ci_u32_e64 v20, s0, 0, v17, s0
	v_sub_co_u32 v21, s0, v11, s56
	v_sub_co_ci_u32_e32 v12, vcc_lo, v24, v12, vcc_lo
	v_subrev_co_ci_u32_e64 v18, s0, 0, v18, s0
	v_cmp_le_u32_e32 vcc_lo, s56, v21
	s_delay_alu instid0(VALU_DEP_3) | instskip(SKIP_1) | instid1(VALU_DEP_4)
	v_cmp_eq_u32_e64 s0, s57, v12
	v_cndmask_b32_e64 v21, 0, -1, vcc_lo
	v_cmp_le_u32_e32 vcc_lo, s57, v18
	v_cndmask_b32_e64 v22, 0, -1, vcc_lo
	v_cmp_le_u32_e32 vcc_lo, s56, v11
	;; [unrolled: 2-line block ×3, first 2 shown]
	v_cndmask_b32_e64 v24, 0, -1, vcc_lo
	v_cmp_eq_u32_e32 vcc_lo, s57, v18
	s_delay_alu instid0(VALU_DEP_2) | instskip(SKIP_3) | instid1(VALU_DEP_3)
	v_cndmask_b32_e64 v11, v24, v11, s0
	v_cndmask_b32_e32 v18, v22, v21, vcc_lo
	v_add_co_u32 v21, vcc_lo, v2, 1
	v_add_co_ci_u32_e32 v22, vcc_lo, 0, v17, vcc_lo
	v_cmp_ne_u32_e32 vcc_lo, 0, v18
	s_delay_alu instid0(VALU_DEP_2) | instskip(NEXT) | instid1(VALU_DEP_4)
	v_cndmask_b32_e32 v12, v22, v20, vcc_lo
	v_cndmask_b32_e32 v18, v21, v19, vcc_lo
	v_cmp_ne_u32_e32 vcc_lo, 0, v11
	v_xor_b32_e32 v19, s54, v23
	s_delay_alu instid0(VALU_DEP_3) | instskip(NEXT) | instid1(VALU_DEP_1)
	v_dual_cndmask_b32 v2, v2, v18 :: v_dual_cndmask_b32 v11, v17, v12
                                        ; implicit-def: $vgpr17
	v_xor_b32_e32 v2, v2, v19
	s_delay_alu instid0(VALU_DEP_2) | instskip(NEXT) | instid1(VALU_DEP_2)
	v_xor_b32_e32 v12, v11, v19
	v_sub_co_u32 v11, vcc_lo, v2, v19
	s_delay_alu instid0(VALU_DEP_2)
	v_sub_co_ci_u32_e32 v12, vcc_lo, v12, v19, vcc_lo
.LBB55_17:                              ;   in Loop: Header=BB55_3 Depth=1
	s_and_not1_saveexec_b32 s0, s53
	s_cbranch_execz .LBB55_19
; %bb.18:                               ;   in Loop: Header=BB55_3 Depth=1
	v_rcp_iflag_f32_e32 v2, v16
	s_sub_i32 s53, 0, s46
	s_waitcnt_depctr 0xfff
	v_mul_f32_e32 v2, 0x4f7ffffe, v2
	s_delay_alu instid0(VALU_DEP_1) | instskip(NEXT) | instid1(VALU_DEP_1)
	v_cvt_u32_f32_e32 v2, v2
	v_mul_lo_u32 v11, s53, v2
	s_delay_alu instid0(VALU_DEP_1) | instskip(NEXT) | instid1(VALU_DEP_1)
	v_mul_hi_u32 v11, v2, v11
	v_add_nc_u32_e32 v2, v2, v11
	s_delay_alu instid0(VALU_DEP_1) | instskip(NEXT) | instid1(VALU_DEP_1)
	v_mul_hi_u32 v2, v17, v2
	v_mul_lo_u32 v11, v2, s46
	v_add_nc_u32_e32 v12, 1, v2
	s_delay_alu instid0(VALU_DEP_2) | instskip(NEXT) | instid1(VALU_DEP_1)
	v_sub_nc_u32_e32 v11, v17, v11
	v_subrev_nc_u32_e32 v17, s46, v11
	v_cmp_le_u32_e32 vcc_lo, s46, v11
	s_delay_alu instid0(VALU_DEP_2) | instskip(NEXT) | instid1(VALU_DEP_1)
	v_dual_cndmask_b32 v11, v11, v17 :: v_dual_cndmask_b32 v2, v2, v12
	v_cmp_le_u32_e32 vcc_lo, s46, v11
	s_delay_alu instid0(VALU_DEP_2) | instskip(NEXT) | instid1(VALU_DEP_1)
	v_add_nc_u32_e32 v12, 1, v2
	v_dual_cndmask_b32 v11, v2, v12 :: v_dual_mov_b32 v12, v1
.LBB55_19:                              ;   in Loop: Header=BB55_3 Depth=1
	s_or_b32 exec_lo, exec_lo, s0
	s_delay_alu instid0(VALU_DEP_1) | instskip(NEXT) | instid1(VALU_DEP_2)
	v_mul_lo_u32 v2, v12, s46
	v_mul_lo_u32 v19, v11, s47
	v_mad_u64_u32 v[17:18], null, v11, s46, 0
	s_mov_b32 s0, exec_lo
	s_delay_alu instid0(VALU_DEP_1) | instskip(NEXT) | instid1(VALU_DEP_2)
	v_add3_u32 v2, v18, v19, v2
	v_sub_co_u32 v9, vcc_lo, v9, v17
	v_mul_lo_u32 v18, v12, s24
	v_mul_lo_u32 v17, v11, s25
	s_delay_alu instid0(VALU_DEP_4) | instskip(NEXT) | instid1(VALU_DEP_4)
	v_sub_co_ci_u32_e32 v2, vcc_lo, v10, v2, vcc_lo
	v_add_co_u32 v19, vcc_lo, v3, v9
	v_mad_u64_u32 v[9:10], null, v11, s24, 0
	s_delay_alu instid0(VALU_DEP_3) | instskip(NEXT) | instid1(VALU_DEP_3)
	v_add_co_ci_u32_e32 v2, vcc_lo, v4, v2, vcc_lo
	v_mul_lo_u32 v20, v19, s27
	v_mad_u64_u32 v[11:12], null, v19, s26, 0
	s_delay_alu instid0(VALU_DEP_3) | instskip(SKIP_1) | instid1(VALU_DEP_1)
	v_mul_lo_u32 v2, v2, s26
	v_add3_u32 v10, v10, v17, v18
	v_lshlrev_b64 v[9:10], 2, v[9:10]
	s_delay_alu instid0(VALU_DEP_3) | instskip(NEXT) | instid1(VALU_DEP_2)
	v_add3_u32 v12, v12, v20, v2
	v_add_co_u32 v2, vcc_lo, s44, v9
	s_delay_alu instid0(VALU_DEP_2) | instskip(NEXT) | instid1(VALU_DEP_4)
	v_lshlrev_b64 v[11:12], 2, v[11:12]
	v_add_co_ci_u32_e32 v10, vcc_lo, s45, v10, vcc_lo
	s_delay_alu instid0(VALU_DEP_2) | instskip(NEXT) | instid1(VALU_DEP_2)
	v_add_co_u32 v9, vcc_lo, v2, v11
	v_add_co_ci_u32_e32 v10, vcc_lo, v10, v12, vcc_lo
	v_add_co_u32 v2, vcc_lo, v7, 3
	global_load_b32 v18, v[9:10], off
	v_add_co_ci_u32_e32 v9, vcc_lo, 0, v8, vcc_lo
	v_mul_lo_u32 v11, s5, v2
	s_delay_alu instid0(VALU_DEP_2) | instskip(SKIP_1) | instid1(VALU_DEP_1)
	v_mul_lo_u32 v12, s4, v9
	v_mad_u64_u32 v[9:10], null, s4, v2, 0
	v_add3_u32 v10, v10, v12, v11
	s_delay_alu instid0(VALU_DEP_2) | instskip(NEXT) | instid1(VALU_DEP_2)
	v_add_co_u32 v17, vcc_lo, v3, v9
                                        ; implicit-def: $vgpr11_vgpr12
	v_add_co_ci_u32_e32 v19, vcc_lo, v4, v10, vcc_lo
	s_delay_alu instid0(VALU_DEP_1) | instskip(NEXT) | instid1(VALU_DEP_1)
	v_or_b32_e32 v2, s47, v19
	v_cmpx_ne_u64_e32 0, v[1:2]
	s_xor_b32 s53, exec_lo, s0
	s_cbranch_execz .LBB55_21
; %bb.20:                               ;   in Loop: Header=BB55_3 Depth=1
	s_ashr_i32 s54, s47, 31
	s_delay_alu instid0(SALU_CYCLE_1) | instskip(SKIP_2) | instid1(SALU_CYCLE_1)
	s_add_u32 s56, s46, s54
	s_mov_b32 s55, s54
	s_addc_u32 s57, s47, s54
	s_xor_b64 s[56:57], s[56:57], s[54:55]
	s_delay_alu instid0(SALU_CYCLE_1) | instskip(SKIP_3) | instid1(VALU_DEP_1)
	v_cvt_f32_u32_e32 v2, s56
	v_cvt_f32_u32_e32 v11, s57
	s_sub_u32 s0, 0, s56
	s_subb_u32 s55, 0, s57
	v_fmac_f32_e32 v2, 0x4f800000, v11
	s_delay_alu instid0(VALU_DEP_1) | instskip(SKIP_2) | instid1(VALU_DEP_1)
	v_rcp_f32_e32 v2, v2
	s_waitcnt_depctr 0xfff
	v_mul_f32_e32 v2, 0x5f7ffffc, v2
	v_mul_f32_e32 v11, 0x2f800000, v2
	s_delay_alu instid0(VALU_DEP_1) | instskip(NEXT) | instid1(VALU_DEP_1)
	v_trunc_f32_e32 v11, v11
	v_fmac_f32_e32 v2, 0xcf800000, v11
	v_cvt_u32_f32_e32 v11, v11
	s_delay_alu instid0(VALU_DEP_2) | instskip(NEXT) | instid1(VALU_DEP_2)
	v_cvt_u32_f32_e32 v2, v2
	v_mul_lo_u32 v12, s0, v11
	s_delay_alu instid0(VALU_DEP_2) | instskip(SKIP_1) | instid1(VALU_DEP_2)
	v_mul_hi_u32 v20, s0, v2
	v_mul_lo_u32 v21, s55, v2
	v_add_nc_u32_e32 v12, v20, v12
	v_mul_lo_u32 v20, s0, v2
	s_delay_alu instid0(VALU_DEP_2) | instskip(NEXT) | instid1(VALU_DEP_2)
	v_add_nc_u32_e32 v12, v12, v21
	v_mul_hi_u32 v21, v2, v20
	s_delay_alu instid0(VALU_DEP_2)
	v_mul_lo_u32 v22, v2, v12
	v_mul_hi_u32 v23, v2, v12
	v_mul_hi_u32 v24, v11, v20
	v_mul_lo_u32 v20, v11, v20
	v_mul_hi_u32 v25, v11, v12
	v_mul_lo_u32 v12, v11, v12
	v_add_co_u32 v21, vcc_lo, v21, v22
	v_add_co_ci_u32_e32 v22, vcc_lo, 0, v23, vcc_lo
	s_delay_alu instid0(VALU_DEP_2) | instskip(NEXT) | instid1(VALU_DEP_2)
	v_add_co_u32 v20, vcc_lo, v21, v20
	v_add_co_ci_u32_e32 v20, vcc_lo, v22, v24, vcc_lo
	v_add_co_ci_u32_e32 v21, vcc_lo, 0, v25, vcc_lo
	v_ashrrev_i32_e32 v24, 31, v19
	s_delay_alu instid0(VALU_DEP_3) | instskip(NEXT) | instid1(VALU_DEP_3)
	v_add_co_u32 v12, vcc_lo, v20, v12
	v_add_co_ci_u32_e32 v20, vcc_lo, 0, v21, vcc_lo
	s_delay_alu instid0(VALU_DEP_2) | instskip(NEXT) | instid1(VALU_DEP_2)
	v_add_co_u32 v2, vcc_lo, v2, v12
	v_add_co_ci_u32_e32 v11, vcc_lo, v11, v20, vcc_lo
	s_delay_alu instid0(VALU_DEP_2) | instskip(SKIP_1) | instid1(VALU_DEP_3)
	v_mul_hi_u32 v12, s0, v2
	v_mul_lo_u32 v21, s55, v2
	v_mul_lo_u32 v20, s0, v11
	s_delay_alu instid0(VALU_DEP_1) | instskip(SKIP_1) | instid1(VALU_DEP_2)
	v_add_nc_u32_e32 v12, v12, v20
	v_mul_lo_u32 v20, s0, v2
	v_add_nc_u32_e32 v12, v12, v21
	s_delay_alu instid0(VALU_DEP_2) | instskip(NEXT) | instid1(VALU_DEP_2)
	v_mul_hi_u32 v21, v2, v20
	v_mul_lo_u32 v22, v2, v12
	v_mul_hi_u32 v23, v2, v12
	v_mul_hi_u32 v25, v11, v20
	v_mul_lo_u32 v20, v11, v20
	v_mul_hi_u32 v26, v11, v12
	v_mul_lo_u32 v12, v11, v12
	v_add_co_u32 v21, vcc_lo, v21, v22
	v_add_co_ci_u32_e32 v22, vcc_lo, 0, v23, vcc_lo
	s_delay_alu instid0(VALU_DEP_2) | instskip(NEXT) | instid1(VALU_DEP_2)
	v_add_co_u32 v20, vcc_lo, v21, v20
	v_add_co_ci_u32_e32 v20, vcc_lo, v22, v25, vcc_lo
	v_add_co_ci_u32_e32 v21, vcc_lo, 0, v26, vcc_lo
	v_add_co_u32 v17, vcc_lo, v17, v24
	v_add_co_ci_u32_e32 v19, vcc_lo, v19, v24, vcc_lo
	s_delay_alu instid0(VALU_DEP_4) | instskip(NEXT) | instid1(VALU_DEP_4)
	v_add_co_u32 v12, vcc_lo, v20, v12
	v_add_co_ci_u32_e32 v20, vcc_lo, 0, v21, vcc_lo
	s_delay_alu instid0(VALU_DEP_4) | instskip(NEXT) | instid1(VALU_DEP_3)
	v_xor_b32_e32 v17, v17, v24
	v_add_co_u32 v2, vcc_lo, v2, v12
	s_delay_alu instid0(VALU_DEP_3) | instskip(SKIP_1) | instid1(VALU_DEP_3)
	v_add_co_ci_u32_e32 v23, vcc_lo, v11, v20, vcc_lo
	v_xor_b32_e32 v25, v19, v24
	v_mul_hi_u32 v26, v17, v2
	s_delay_alu instid0(VALU_DEP_3) | instskip(NEXT) | instid1(VALU_DEP_3)
	v_mad_u64_u32 v[11:12], null, v17, v23, 0
	v_mad_u64_u32 v[19:20], null, v25, v2, 0
	;; [unrolled: 1-line block ×3, first 2 shown]
	s_delay_alu instid0(VALU_DEP_3) | instskip(NEXT) | instid1(VALU_DEP_4)
	v_add_co_u32 v2, vcc_lo, v26, v11
	v_add_co_ci_u32_e32 v11, vcc_lo, 0, v12, vcc_lo
	s_delay_alu instid0(VALU_DEP_2) | instskip(NEXT) | instid1(VALU_DEP_2)
	v_add_co_u32 v2, vcc_lo, v2, v19
	v_add_co_ci_u32_e32 v2, vcc_lo, v11, v20, vcc_lo
	v_add_co_ci_u32_e32 v11, vcc_lo, 0, v22, vcc_lo
	s_delay_alu instid0(VALU_DEP_2) | instskip(NEXT) | instid1(VALU_DEP_2)
	v_add_co_u32 v2, vcc_lo, v2, v21
	v_add_co_ci_u32_e32 v19, vcc_lo, 0, v11, vcc_lo
	s_delay_alu instid0(VALU_DEP_2) | instskip(SKIP_1) | instid1(VALU_DEP_3)
	v_mul_lo_u32 v20, s57, v2
	v_mad_u64_u32 v[11:12], null, s56, v2, 0
	v_mul_lo_u32 v21, s56, v19
	s_delay_alu instid0(VALU_DEP_2) | instskip(NEXT) | instid1(VALU_DEP_2)
	v_sub_co_u32 v11, vcc_lo, v17, v11
	v_add3_u32 v12, v12, v21, v20
	s_delay_alu instid0(VALU_DEP_1) | instskip(NEXT) | instid1(VALU_DEP_1)
	v_sub_nc_u32_e32 v20, v25, v12
	v_subrev_co_ci_u32_e64 v17, s0, s57, v20, vcc_lo
	v_add_co_u32 v20, s0, v2, 2
	s_delay_alu instid0(VALU_DEP_1) | instskip(SKIP_3) | instid1(VALU_DEP_3)
	v_add_co_ci_u32_e64 v21, s0, 0, v19, s0
	v_sub_co_u32 v22, s0, v11, s56
	v_sub_co_ci_u32_e32 v12, vcc_lo, v25, v12, vcc_lo
	v_subrev_co_ci_u32_e64 v17, s0, 0, v17, s0
	v_cmp_le_u32_e32 vcc_lo, s56, v22
	s_delay_alu instid0(VALU_DEP_3) | instskip(SKIP_1) | instid1(VALU_DEP_4)
	v_cmp_eq_u32_e64 s0, s57, v12
	v_cndmask_b32_e64 v22, 0, -1, vcc_lo
	v_cmp_le_u32_e32 vcc_lo, s57, v17
	v_cndmask_b32_e64 v23, 0, -1, vcc_lo
	v_cmp_le_u32_e32 vcc_lo, s56, v11
	;; [unrolled: 2-line block ×3, first 2 shown]
	v_cndmask_b32_e64 v25, 0, -1, vcc_lo
	v_cmp_eq_u32_e32 vcc_lo, s57, v17
	s_delay_alu instid0(VALU_DEP_2) | instskip(SKIP_3) | instid1(VALU_DEP_3)
	v_cndmask_b32_e64 v11, v25, v11, s0
	v_cndmask_b32_e32 v17, v23, v22, vcc_lo
	v_add_co_u32 v22, vcc_lo, v2, 1
	v_add_co_ci_u32_e32 v23, vcc_lo, 0, v19, vcc_lo
	v_cmp_ne_u32_e32 vcc_lo, 0, v17
	s_delay_alu instid0(VALU_DEP_2) | instskip(SKIP_2) | instid1(VALU_DEP_3)
	v_dual_cndmask_b32 v12, v23, v21 :: v_dual_cndmask_b32 v17, v22, v20
	v_cmp_ne_u32_e32 vcc_lo, 0, v11
	v_xor_b32_e32 v20, s54, v24
	v_dual_cndmask_b32 v11, v19, v12 :: v_dual_cndmask_b32 v2, v2, v17
                                        ; implicit-def: $vgpr17
	s_delay_alu instid0(VALU_DEP_1) | instskip(NEXT) | instid1(VALU_DEP_2)
	v_xor_b32_e32 v12, v11, v20
	v_xor_b32_e32 v2, v2, v20
	s_delay_alu instid0(VALU_DEP_1) | instskip(NEXT) | instid1(VALU_DEP_3)
	v_sub_co_u32 v11, vcc_lo, v2, v20
	v_sub_co_ci_u32_e32 v12, vcc_lo, v12, v20, vcc_lo
.LBB55_21:                              ;   in Loop: Header=BB55_3 Depth=1
	s_and_not1_saveexec_b32 s0, s53
	s_cbranch_execz .LBB55_23
; %bb.22:                               ;   in Loop: Header=BB55_3 Depth=1
	v_rcp_iflag_f32_e32 v2, v16
	s_sub_i32 s53, 0, s46
	s_waitcnt_depctr 0xfff
	v_mul_f32_e32 v2, 0x4f7ffffe, v2
	s_delay_alu instid0(VALU_DEP_1) | instskip(NEXT) | instid1(VALU_DEP_1)
	v_cvt_u32_f32_e32 v2, v2
	v_mul_lo_u32 v11, s53, v2
	s_delay_alu instid0(VALU_DEP_1) | instskip(NEXT) | instid1(VALU_DEP_1)
	v_mul_hi_u32 v11, v2, v11
	v_add_nc_u32_e32 v2, v2, v11
	s_delay_alu instid0(VALU_DEP_1) | instskip(NEXT) | instid1(VALU_DEP_1)
	v_mul_hi_u32 v2, v17, v2
	v_mul_lo_u32 v11, v2, s46
	v_add_nc_u32_e32 v12, 1, v2
	s_delay_alu instid0(VALU_DEP_2) | instskip(NEXT) | instid1(VALU_DEP_1)
	v_sub_nc_u32_e32 v11, v17, v11
	v_subrev_nc_u32_e32 v17, s46, v11
	v_cmp_le_u32_e32 vcc_lo, s46, v11
	s_delay_alu instid0(VALU_DEP_2) | instskip(NEXT) | instid1(VALU_DEP_1)
	v_dual_cndmask_b32 v11, v11, v17 :: v_dual_cndmask_b32 v2, v2, v12
	v_cmp_le_u32_e32 vcc_lo, s46, v11
	s_delay_alu instid0(VALU_DEP_2) | instskip(NEXT) | instid1(VALU_DEP_1)
	v_add_nc_u32_e32 v12, 1, v2
	v_dual_cndmask_b32 v11, v2, v12 :: v_dual_mov_b32 v12, v1
.LBB55_23:                              ;   in Loop: Header=BB55_3 Depth=1
	s_or_b32 exec_lo, exec_lo, s0
	s_delay_alu instid0(VALU_DEP_1) | instskip(NEXT) | instid1(VALU_DEP_2)
	v_mul_lo_u32 v2, v12, s46
	v_mul_lo_u32 v17, v11, s47
	v_mad_u64_u32 v[19:20], null, v11, s46, 0
	s_mov_b32 s0, exec_lo
	s_delay_alu instid0(VALU_DEP_1) | instskip(NEXT) | instid1(VALU_DEP_2)
	v_add3_u32 v2, v20, v17, v2
	v_sub_co_u32 v9, vcc_lo, v9, v19
	v_mul_lo_u32 v17, v12, s24
	v_mul_lo_u32 v19, v11, s25
	s_delay_alu instid0(VALU_DEP_4) | instskip(NEXT) | instid1(VALU_DEP_4)
	v_sub_co_ci_u32_e32 v2, vcc_lo, v10, v2, vcc_lo
	v_add_co_u32 v20, vcc_lo, v3, v9
	v_mad_u64_u32 v[9:10], null, v11, s24, 0
	s_delay_alu instid0(VALU_DEP_3) | instskip(NEXT) | instid1(VALU_DEP_3)
	v_add_co_ci_u32_e32 v2, vcc_lo, v4, v2, vcc_lo
	v_mul_lo_u32 v21, v20, s27
	v_mad_u64_u32 v[11:12], null, v20, s26, 0
	s_delay_alu instid0(VALU_DEP_3) | instskip(SKIP_1) | instid1(VALU_DEP_1)
	v_mul_lo_u32 v2, v2, s26
	v_add3_u32 v10, v10, v19, v17
	v_lshlrev_b64 v[9:10], 2, v[9:10]
	s_delay_alu instid0(VALU_DEP_3) | instskip(NEXT) | instid1(VALU_DEP_2)
	v_add3_u32 v12, v12, v21, v2
	v_add_co_u32 v2, vcc_lo, s44, v9
	s_delay_alu instid0(VALU_DEP_2) | instskip(NEXT) | instid1(VALU_DEP_4)
	v_lshlrev_b64 v[11:12], 2, v[11:12]
	v_add_co_ci_u32_e32 v10, vcc_lo, s45, v10, vcc_lo
	s_delay_alu instid0(VALU_DEP_2) | instskip(NEXT) | instid1(VALU_DEP_2)
	v_add_co_u32 v9, vcc_lo, v2, v11
	v_add_co_ci_u32_e32 v10, vcc_lo, v10, v12, vcc_lo
	v_add_co_u32 v2, vcc_lo, v7, 4
	v_add_co_ci_u32_e32 v7, vcc_lo, 0, v8, vcc_lo
	global_load_b32 v19, v[9:10], off
	v_mul_lo_u32 v9, s5, v2
	v_mul_lo_u32 v10, s4, v7
	v_mad_u64_u32 v[7:8], null, s4, v2, 0
	s_delay_alu instid0(VALU_DEP_1) | instskip(NEXT) | instid1(VALU_DEP_2)
	v_add3_u32 v8, v8, v10, v9
	v_add_co_u32 v11, vcc_lo, v3, v7
                                        ; implicit-def: $vgpr9_vgpr10
	s_delay_alu instid0(VALU_DEP_2) | instskip(NEXT) | instid1(VALU_DEP_1)
	v_add_co_ci_u32_e32 v12, vcc_lo, v4, v8, vcc_lo
	v_or_b32_e32 v2, s47, v12
	s_delay_alu instid0(VALU_DEP_1)
	v_cmpx_ne_u64_e32 0, v[1:2]
	s_xor_b32 s53, exec_lo, s0
	s_cbranch_execz .LBB55_25
; %bb.24:                               ;   in Loop: Header=BB55_3 Depth=1
	s_ashr_i32 s54, s47, 31
	s_delay_alu instid0(SALU_CYCLE_1) | instskip(SKIP_2) | instid1(SALU_CYCLE_1)
	s_add_u32 s56, s46, s54
	s_mov_b32 s55, s54
	s_addc_u32 s57, s47, s54
	s_xor_b64 s[56:57], s[56:57], s[54:55]
	s_delay_alu instid0(SALU_CYCLE_1) | instskip(SKIP_3) | instid1(VALU_DEP_1)
	v_cvt_f32_u32_e32 v2, s56
	v_cvt_f32_u32_e32 v9, s57
	s_sub_u32 s0, 0, s56
	s_subb_u32 s55, 0, s57
	v_fmac_f32_e32 v2, 0x4f800000, v9
	s_delay_alu instid0(VALU_DEP_1) | instskip(SKIP_2) | instid1(VALU_DEP_1)
	v_rcp_f32_e32 v2, v2
	s_waitcnt_depctr 0xfff
	v_mul_f32_e32 v2, 0x5f7ffffc, v2
	v_mul_f32_e32 v9, 0x2f800000, v2
	s_delay_alu instid0(VALU_DEP_1) | instskip(NEXT) | instid1(VALU_DEP_1)
	v_trunc_f32_e32 v9, v9
	v_fmac_f32_e32 v2, 0xcf800000, v9
	v_cvt_u32_f32_e32 v9, v9
	s_delay_alu instid0(VALU_DEP_2) | instskip(NEXT) | instid1(VALU_DEP_2)
	v_cvt_u32_f32_e32 v2, v2
	v_mul_lo_u32 v10, s0, v9
	s_delay_alu instid0(VALU_DEP_2) | instskip(SKIP_1) | instid1(VALU_DEP_2)
	v_mul_hi_u32 v16, s0, v2
	v_mul_lo_u32 v17, s55, v2
	v_add_nc_u32_e32 v10, v16, v10
	v_mul_lo_u32 v16, s0, v2
	s_delay_alu instid0(VALU_DEP_2) | instskip(NEXT) | instid1(VALU_DEP_2)
	v_add_nc_u32_e32 v10, v10, v17
	v_mul_hi_u32 v17, v2, v16
	s_delay_alu instid0(VALU_DEP_2)
	v_mul_lo_u32 v20, v2, v10
	v_mul_hi_u32 v21, v2, v10
	v_mul_hi_u32 v22, v9, v16
	v_mul_lo_u32 v16, v9, v16
	v_mul_hi_u32 v23, v9, v10
	v_mul_lo_u32 v10, v9, v10
	v_add_co_u32 v17, vcc_lo, v17, v20
	v_add_co_ci_u32_e32 v20, vcc_lo, 0, v21, vcc_lo
	s_delay_alu instid0(VALU_DEP_2) | instskip(NEXT) | instid1(VALU_DEP_2)
	v_add_co_u32 v16, vcc_lo, v17, v16
	v_add_co_ci_u32_e32 v16, vcc_lo, v20, v22, vcc_lo
	v_add_co_ci_u32_e32 v17, vcc_lo, 0, v23, vcc_lo
	v_ashrrev_i32_e32 v22, 31, v12
	s_delay_alu instid0(VALU_DEP_3) | instskip(NEXT) | instid1(VALU_DEP_3)
	v_add_co_u32 v10, vcc_lo, v16, v10
	v_add_co_ci_u32_e32 v16, vcc_lo, 0, v17, vcc_lo
	s_delay_alu instid0(VALU_DEP_2) | instskip(NEXT) | instid1(VALU_DEP_2)
	v_add_co_u32 v2, vcc_lo, v2, v10
	v_add_co_ci_u32_e32 v9, vcc_lo, v9, v16, vcc_lo
	s_delay_alu instid0(VALU_DEP_2) | instskip(SKIP_1) | instid1(VALU_DEP_3)
	v_mul_hi_u32 v10, s0, v2
	v_mul_lo_u32 v17, s55, v2
	v_mul_lo_u32 v16, s0, v9
	s_delay_alu instid0(VALU_DEP_1) | instskip(SKIP_1) | instid1(VALU_DEP_2)
	v_add_nc_u32_e32 v10, v10, v16
	v_mul_lo_u32 v16, s0, v2
	v_add_nc_u32_e32 v10, v10, v17
	s_delay_alu instid0(VALU_DEP_2) | instskip(NEXT) | instid1(VALU_DEP_2)
	v_mul_hi_u32 v17, v2, v16
	v_mul_lo_u32 v20, v2, v10
	v_mul_hi_u32 v21, v2, v10
	v_mul_hi_u32 v23, v9, v16
	v_mul_lo_u32 v16, v9, v16
	v_mul_hi_u32 v24, v9, v10
	v_mul_lo_u32 v10, v9, v10
	v_add_co_u32 v17, vcc_lo, v17, v20
	v_add_co_ci_u32_e32 v20, vcc_lo, 0, v21, vcc_lo
	s_delay_alu instid0(VALU_DEP_2) | instskip(NEXT) | instid1(VALU_DEP_2)
	v_add_co_u32 v16, vcc_lo, v17, v16
	v_add_co_ci_u32_e32 v16, vcc_lo, v20, v23, vcc_lo
	v_add_co_ci_u32_e32 v17, vcc_lo, 0, v24, vcc_lo
	v_add_co_u32 v11, vcc_lo, v11, v22
	v_add_co_ci_u32_e32 v12, vcc_lo, v12, v22, vcc_lo
	s_delay_alu instid0(VALU_DEP_4) | instskip(NEXT) | instid1(VALU_DEP_4)
	v_add_co_u32 v10, vcc_lo, v16, v10
	v_add_co_ci_u32_e32 v16, vcc_lo, 0, v17, vcc_lo
	s_delay_alu instid0(VALU_DEP_4) | instskip(NEXT) | instid1(VALU_DEP_3)
	v_xor_b32_e32 v20, v11, v22
	v_add_co_u32 v2, vcc_lo, v2, v10
	s_delay_alu instid0(VALU_DEP_3) | instskip(SKIP_1) | instid1(VALU_DEP_3)
	v_add_co_ci_u32_e32 v21, vcc_lo, v9, v16, vcc_lo
	v_xor_b32_e32 v23, v12, v22
	v_mul_hi_u32 v24, v20, v2
	s_delay_alu instid0(VALU_DEP_3) | instskip(NEXT) | instid1(VALU_DEP_3)
	v_mad_u64_u32 v[9:10], null, v20, v21, 0
	v_mad_u64_u32 v[11:12], null, v23, v2, 0
	;; [unrolled: 1-line block ×3, first 2 shown]
	s_delay_alu instid0(VALU_DEP_3) | instskip(NEXT) | instid1(VALU_DEP_4)
	v_add_co_u32 v2, vcc_lo, v24, v9
	v_add_co_ci_u32_e32 v9, vcc_lo, 0, v10, vcc_lo
	s_delay_alu instid0(VALU_DEP_2) | instskip(NEXT) | instid1(VALU_DEP_2)
	v_add_co_u32 v2, vcc_lo, v2, v11
	v_add_co_ci_u32_e32 v2, vcc_lo, v9, v12, vcc_lo
	v_add_co_ci_u32_e32 v9, vcc_lo, 0, v17, vcc_lo
	s_delay_alu instid0(VALU_DEP_2) | instskip(NEXT) | instid1(VALU_DEP_2)
	v_add_co_u32 v2, vcc_lo, v2, v16
	v_add_co_ci_u32_e32 v11, vcc_lo, 0, v9, vcc_lo
	s_delay_alu instid0(VALU_DEP_2) | instskip(SKIP_1) | instid1(VALU_DEP_3)
	v_mul_lo_u32 v12, s57, v2
	v_mad_u64_u32 v[9:10], null, s56, v2, 0
	v_mul_lo_u32 v16, s56, v11
	s_delay_alu instid0(VALU_DEP_2) | instskip(NEXT) | instid1(VALU_DEP_2)
	v_sub_co_u32 v9, vcc_lo, v20, v9
	v_add3_u32 v10, v10, v16, v12
	s_delay_alu instid0(VALU_DEP_1) | instskip(NEXT) | instid1(VALU_DEP_1)
	v_sub_nc_u32_e32 v12, v23, v10
	v_subrev_co_ci_u32_e64 v12, s0, s57, v12, vcc_lo
	v_add_co_u32 v16, s0, v2, 2
	s_delay_alu instid0(VALU_DEP_1) | instskip(SKIP_3) | instid1(VALU_DEP_3)
	v_add_co_ci_u32_e64 v17, s0, 0, v11, s0
	v_sub_co_u32 v20, s0, v9, s56
	v_sub_co_ci_u32_e32 v10, vcc_lo, v23, v10, vcc_lo
	v_subrev_co_ci_u32_e64 v12, s0, 0, v12, s0
	v_cmp_le_u32_e32 vcc_lo, s56, v20
	s_delay_alu instid0(VALU_DEP_3) | instskip(SKIP_1) | instid1(VALU_DEP_4)
	v_cmp_eq_u32_e64 s0, s57, v10
	v_cndmask_b32_e64 v20, 0, -1, vcc_lo
	v_cmp_le_u32_e32 vcc_lo, s57, v12
	v_cndmask_b32_e64 v21, 0, -1, vcc_lo
	v_cmp_le_u32_e32 vcc_lo, s56, v9
	v_cndmask_b32_e64 v9, 0, -1, vcc_lo
	v_cmp_le_u32_e32 vcc_lo, s57, v10
	v_cndmask_b32_e64 v23, 0, -1, vcc_lo
	v_cmp_eq_u32_e32 vcc_lo, s57, v12
	s_delay_alu instid0(VALU_DEP_2) | instskip(SKIP_3) | instid1(VALU_DEP_3)
	v_cndmask_b32_e64 v9, v23, v9, s0
	v_cndmask_b32_e32 v12, v21, v20, vcc_lo
	v_add_co_u32 v20, vcc_lo, v2, 1
	v_add_co_ci_u32_e32 v21, vcc_lo, 0, v11, vcc_lo
	v_cmp_ne_u32_e32 vcc_lo, 0, v12
	s_delay_alu instid0(VALU_DEP_2) | instskip(NEXT) | instid1(VALU_DEP_4)
	v_cndmask_b32_e32 v10, v21, v17, vcc_lo
	v_cndmask_b32_e32 v12, v20, v16, vcc_lo
	v_cmp_ne_u32_e32 vcc_lo, 0, v9
	v_xor_b32_e32 v16, s54, v22
	s_delay_alu instid0(VALU_DEP_3) | instskip(NEXT) | instid1(VALU_DEP_1)
	v_dual_cndmask_b32 v2, v2, v12 :: v_dual_cndmask_b32 v9, v11, v10
                                        ; implicit-def: $vgpr11
	v_xor_b32_e32 v2, v2, v16
	s_delay_alu instid0(VALU_DEP_2) | instskip(NEXT) | instid1(VALU_DEP_2)
	v_xor_b32_e32 v10, v9, v16
	v_sub_co_u32 v9, vcc_lo, v2, v16
	s_delay_alu instid0(VALU_DEP_2)
	v_sub_co_ci_u32_e32 v10, vcc_lo, v10, v16, vcc_lo
                                        ; implicit-def: $vgpr16
.LBB55_25:                              ;   in Loop: Header=BB55_3 Depth=1
	s_and_not1_saveexec_b32 s0, s53
	s_cbranch_execz .LBB55_27
; %bb.26:                               ;   in Loop: Header=BB55_3 Depth=1
	v_rcp_iflag_f32_e32 v2, v16
	s_sub_i32 s53, 0, s46
	s_waitcnt_depctr 0xfff
	v_mul_f32_e32 v2, 0x4f7ffffe, v2
	s_delay_alu instid0(VALU_DEP_1) | instskip(NEXT) | instid1(VALU_DEP_1)
	v_cvt_u32_f32_e32 v2, v2
	v_mul_lo_u32 v9, s53, v2
	s_delay_alu instid0(VALU_DEP_1) | instskip(NEXT) | instid1(VALU_DEP_1)
	v_mul_hi_u32 v9, v2, v9
	v_add_nc_u32_e32 v2, v2, v9
	s_delay_alu instid0(VALU_DEP_1) | instskip(NEXT) | instid1(VALU_DEP_1)
	v_mul_hi_u32 v2, v11, v2
	v_mul_lo_u32 v9, v2, s46
	v_add_nc_u32_e32 v10, 1, v2
	s_delay_alu instid0(VALU_DEP_2) | instskip(NEXT) | instid1(VALU_DEP_1)
	v_sub_nc_u32_e32 v9, v11, v9
	v_subrev_nc_u32_e32 v11, s46, v9
	v_cmp_le_u32_e32 vcc_lo, s46, v9
	s_delay_alu instid0(VALU_DEP_2) | instskip(NEXT) | instid1(VALU_DEP_1)
	v_dual_cndmask_b32 v9, v9, v11 :: v_dual_cndmask_b32 v2, v2, v10
	v_cmp_le_u32_e32 vcc_lo, s46, v9
	s_delay_alu instid0(VALU_DEP_2) | instskip(NEXT) | instid1(VALU_DEP_1)
	v_add_nc_u32_e32 v10, 1, v2
	v_dual_cndmask_b32 v9, v2, v10 :: v_dual_mov_b32 v10, v1
.LBB55_27:                              ;   in Loop: Header=BB55_3 Depth=1
	s_or_b32 exec_lo, exec_lo, s0
	s_delay_alu instid0(VALU_DEP_1) | instskip(NEXT) | instid1(VALU_DEP_2)
	v_mul_lo_u32 v2, v10, s46
	v_mul_lo_u32 v16, v9, s47
	v_mad_u64_u32 v[11:12], null, v9, s46, 0
	s_mov_b32 s0, exec_lo
	s_delay_alu instid0(VALU_DEP_1) | instskip(NEXT) | instid1(VALU_DEP_2)
	v_add3_u32 v2, v12, v16, v2
	v_sub_co_u32 v7, vcc_lo, v7, v11
	v_mul_lo_u32 v12, v10, s24
	v_mul_lo_u32 v11, v9, s25
	s_delay_alu instid0(VALU_DEP_4) | instskip(NEXT) | instid1(VALU_DEP_4)
	v_sub_co_ci_u32_e32 v2, vcc_lo, v8, v2, vcc_lo
	v_add_co_u32 v16, vcc_lo, v3, v7
	v_mad_u64_u32 v[7:8], null, v9, s24, 0
	s_delay_alu instid0(VALU_DEP_3) | instskip(NEXT) | instid1(VALU_DEP_3)
	v_add_co_ci_u32_e32 v2, vcc_lo, v4, v2, vcc_lo
	v_mul_lo_u32 v17, v16, s27
	v_mad_u64_u32 v[9:10], null, v16, s26, 0
	s_delay_alu instid0(VALU_DEP_3) | instskip(SKIP_1) | instid1(VALU_DEP_1)
	v_mul_lo_u32 v2, v2, s26
	v_add3_u32 v8, v8, v11, v12
	v_lshlrev_b64 v[7:8], 2, v[7:8]
	s_delay_alu instid0(VALU_DEP_3) | instskip(NEXT) | instid1(VALU_DEP_2)
	v_add3_u32 v10, v10, v17, v2
	v_add_co_u32 v2, vcc_lo, s44, v7
	s_delay_alu instid0(VALU_DEP_2) | instskip(NEXT) | instid1(VALU_DEP_4)
	v_lshlrev_b64 v[9:10], 2, v[9:10]
	v_add_co_ci_u32_e32 v8, vcc_lo, s45, v8, vcc_lo
	s_delay_alu instid0(VALU_DEP_2) | instskip(NEXT) | instid1(VALU_DEP_2)
	v_add_co_u32 v7, vcc_lo, v2, v9
	v_add_co_ci_u32_e32 v8, vcc_lo, v8, v10, vcc_lo
	v_or_b32_e32 v2, s39, v4
	global_load_b32 v21, v[7:8], off
                                        ; implicit-def: $vgpr7_vgpr8
	v_cmpx_ne_u64_e32 0, v[1:2]
	s_xor_b32 s53, exec_lo, s0
	s_cbranch_execz .LBB55_29
; %bb.28:                               ;   in Loop: Header=BB55_3 Depth=1
	s_ashr_i32 s54, s39, 31
	s_delay_alu instid0(SALU_CYCLE_1) | instskip(SKIP_2) | instid1(SALU_CYCLE_1)
	s_add_u32 s56, s38, s54
	s_mov_b32 s55, s54
	s_addc_u32 s57, s39, s54
	s_xor_b64 s[56:57], s[56:57], s[54:55]
	s_delay_alu instid0(SALU_CYCLE_1) | instskip(SKIP_3) | instid1(VALU_DEP_1)
	v_cvt_f32_u32_e32 v2, s56
	v_cvt_f32_u32_e32 v7, s57
	s_sub_u32 s0, 0, s56
	s_subb_u32 s55, 0, s57
	v_fmac_f32_e32 v2, 0x4f800000, v7
	s_delay_alu instid0(VALU_DEP_1) | instskip(SKIP_2) | instid1(VALU_DEP_1)
	v_rcp_f32_e32 v2, v2
	s_waitcnt_depctr 0xfff
	v_mul_f32_e32 v2, 0x5f7ffffc, v2
	v_mul_f32_e32 v7, 0x2f800000, v2
	s_delay_alu instid0(VALU_DEP_1) | instskip(NEXT) | instid1(VALU_DEP_1)
	v_trunc_f32_e32 v7, v7
	v_fmac_f32_e32 v2, 0xcf800000, v7
	v_cvt_u32_f32_e32 v7, v7
	s_delay_alu instid0(VALU_DEP_2) | instskip(NEXT) | instid1(VALU_DEP_2)
	v_cvt_u32_f32_e32 v2, v2
	v_mul_lo_u32 v8, s0, v7
	s_delay_alu instid0(VALU_DEP_2) | instskip(SKIP_1) | instid1(VALU_DEP_2)
	v_mul_hi_u32 v9, s0, v2
	v_mul_lo_u32 v10, s55, v2
	v_add_nc_u32_e32 v8, v9, v8
	v_mul_lo_u32 v9, s0, v2
	s_delay_alu instid0(VALU_DEP_2) | instskip(NEXT) | instid1(VALU_DEP_2)
	v_add_nc_u32_e32 v8, v8, v10
	v_mul_hi_u32 v10, v2, v9
	s_delay_alu instid0(VALU_DEP_2)
	v_mul_lo_u32 v11, v2, v8
	v_mul_hi_u32 v12, v2, v8
	v_mul_hi_u32 v16, v7, v9
	v_mul_lo_u32 v9, v7, v9
	v_mul_hi_u32 v17, v7, v8
	v_mul_lo_u32 v8, v7, v8
	v_add_co_u32 v10, vcc_lo, v10, v11
	v_add_co_ci_u32_e32 v11, vcc_lo, 0, v12, vcc_lo
	s_delay_alu instid0(VALU_DEP_2) | instskip(NEXT) | instid1(VALU_DEP_2)
	v_add_co_u32 v9, vcc_lo, v10, v9
	v_add_co_ci_u32_e32 v9, vcc_lo, v11, v16, vcc_lo
	v_add_co_ci_u32_e32 v10, vcc_lo, 0, v17, vcc_lo
	s_delay_alu instid0(VALU_DEP_2) | instskip(NEXT) | instid1(VALU_DEP_2)
	v_add_co_u32 v8, vcc_lo, v9, v8
	v_add_co_ci_u32_e32 v9, vcc_lo, 0, v10, vcc_lo
	s_delay_alu instid0(VALU_DEP_2) | instskip(NEXT) | instid1(VALU_DEP_2)
	v_add_co_u32 v2, vcc_lo, v2, v8
	v_add_co_ci_u32_e32 v7, vcc_lo, v7, v9, vcc_lo
	s_delay_alu instid0(VALU_DEP_2) | instskip(SKIP_1) | instid1(VALU_DEP_3)
	v_mul_hi_u32 v8, s0, v2
	v_mul_lo_u32 v10, s55, v2
	v_mul_lo_u32 v9, s0, v7
	s_delay_alu instid0(VALU_DEP_1) | instskip(SKIP_1) | instid1(VALU_DEP_2)
	v_add_nc_u32_e32 v8, v8, v9
	v_mul_lo_u32 v9, s0, v2
	v_add_nc_u32_e32 v8, v8, v10
	s_delay_alu instid0(VALU_DEP_2) | instskip(NEXT) | instid1(VALU_DEP_2)
	v_mul_hi_u32 v10, v2, v9
	v_mul_lo_u32 v11, v2, v8
	v_mul_hi_u32 v12, v2, v8
	v_mul_hi_u32 v16, v7, v9
	v_mul_lo_u32 v9, v7, v9
	v_mul_hi_u32 v17, v7, v8
	v_mul_lo_u32 v8, v7, v8
	v_add_co_u32 v10, vcc_lo, v10, v11
	v_add_co_ci_u32_e32 v11, vcc_lo, 0, v12, vcc_lo
	s_delay_alu instid0(VALU_DEP_2) | instskip(NEXT) | instid1(VALU_DEP_2)
	v_add_co_u32 v9, vcc_lo, v10, v9
	v_add_co_ci_u32_e32 v9, vcc_lo, v11, v16, vcc_lo
	v_add_co_ci_u32_e32 v10, vcc_lo, 0, v17, vcc_lo
	v_add_co_u32 v11, vcc_lo, v3, v13
	v_add_co_ci_u32_e32 v12, vcc_lo, v4, v13, vcc_lo
	s_delay_alu instid0(VALU_DEP_4) | instskip(NEXT) | instid1(VALU_DEP_4)
	v_add_co_u32 v8, vcc_lo, v9, v8
	v_add_co_ci_u32_e32 v9, vcc_lo, 0, v10, vcc_lo
	s_delay_alu instid0(VALU_DEP_4) | instskip(NEXT) | instid1(VALU_DEP_3)
	v_xor_b32_e32 v16, v11, v13
	v_add_co_u32 v2, vcc_lo, v2, v8
	s_delay_alu instid0(VALU_DEP_3) | instskip(SKIP_1) | instid1(VALU_DEP_3)
	v_add_co_ci_u32_e32 v17, vcc_lo, v7, v9, vcc_lo
	v_xor_b32_e32 v20, v12, v13
	v_mul_hi_u32 v22, v16, v2
	s_delay_alu instid0(VALU_DEP_3) | instskip(NEXT) | instid1(VALU_DEP_3)
	v_mad_u64_u32 v[7:8], null, v16, v17, 0
	v_mad_u64_u32 v[9:10], null, v20, v2, 0
	;; [unrolled: 1-line block ×3, first 2 shown]
	s_delay_alu instid0(VALU_DEP_3) | instskip(NEXT) | instid1(VALU_DEP_4)
	v_add_co_u32 v2, vcc_lo, v22, v7
	v_add_co_ci_u32_e32 v7, vcc_lo, 0, v8, vcc_lo
	s_delay_alu instid0(VALU_DEP_2) | instskip(NEXT) | instid1(VALU_DEP_2)
	v_add_co_u32 v2, vcc_lo, v2, v9
	v_add_co_ci_u32_e32 v2, vcc_lo, v7, v10, vcc_lo
	v_add_co_ci_u32_e32 v7, vcc_lo, 0, v12, vcc_lo
	s_delay_alu instid0(VALU_DEP_2) | instskip(NEXT) | instid1(VALU_DEP_2)
	v_add_co_u32 v2, vcc_lo, v2, v11
	v_add_co_ci_u32_e32 v9, vcc_lo, 0, v7, vcc_lo
	s_delay_alu instid0(VALU_DEP_2) | instskip(SKIP_1) | instid1(VALU_DEP_3)
	v_mul_lo_u32 v10, s57, v2
	v_mad_u64_u32 v[7:8], null, s56, v2, 0
	v_mul_lo_u32 v11, s56, v9
	s_delay_alu instid0(VALU_DEP_2) | instskip(NEXT) | instid1(VALU_DEP_2)
	v_sub_co_u32 v7, vcc_lo, v16, v7
	v_add3_u32 v8, v8, v11, v10
	s_delay_alu instid0(VALU_DEP_1) | instskip(NEXT) | instid1(VALU_DEP_1)
	v_sub_nc_u32_e32 v10, v20, v8
	v_subrev_co_ci_u32_e64 v10, s0, s57, v10, vcc_lo
	v_add_co_u32 v11, s0, v2, 2
	s_delay_alu instid0(VALU_DEP_1) | instskip(SKIP_3) | instid1(VALU_DEP_3)
	v_add_co_ci_u32_e64 v12, s0, 0, v9, s0
	v_sub_co_u32 v16, s0, v7, s56
	v_sub_co_ci_u32_e32 v8, vcc_lo, v20, v8, vcc_lo
	v_subrev_co_ci_u32_e64 v10, s0, 0, v10, s0
	v_cmp_le_u32_e32 vcc_lo, s56, v16
	s_delay_alu instid0(VALU_DEP_3) | instskip(SKIP_1) | instid1(VALU_DEP_4)
	v_cmp_eq_u32_e64 s0, s57, v8
	v_cndmask_b32_e64 v16, 0, -1, vcc_lo
	v_cmp_le_u32_e32 vcc_lo, s57, v10
	v_cndmask_b32_e64 v17, 0, -1, vcc_lo
	v_cmp_le_u32_e32 vcc_lo, s56, v7
	;; [unrolled: 2-line block ×3, first 2 shown]
	v_cndmask_b32_e64 v20, 0, -1, vcc_lo
	v_cmp_eq_u32_e32 vcc_lo, s57, v10
	s_delay_alu instid0(VALU_DEP_2) | instskip(SKIP_3) | instid1(VALU_DEP_3)
	v_cndmask_b32_e64 v7, v20, v7, s0
	v_cndmask_b32_e32 v10, v17, v16, vcc_lo
	v_add_co_u32 v16, vcc_lo, v2, 1
	v_add_co_ci_u32_e32 v17, vcc_lo, 0, v9, vcc_lo
	v_cmp_ne_u32_e32 vcc_lo, 0, v10
	s_delay_alu instid0(VALU_DEP_2) | instskip(NEXT) | instid1(VALU_DEP_4)
	v_cndmask_b32_e32 v8, v17, v12, vcc_lo
	v_cndmask_b32_e32 v10, v16, v11, vcc_lo
	v_cmp_ne_u32_e32 vcc_lo, 0, v7
	v_xor_b32_e32 v11, s54, v13
	s_delay_alu instid0(VALU_DEP_3) | instskip(NEXT) | instid1(VALU_DEP_1)
	v_dual_cndmask_b32 v2, v2, v10 :: v_dual_cndmask_b32 v7, v9, v8
	v_xor_b32_e32 v2, v2, v11
	s_delay_alu instid0(VALU_DEP_2) | instskip(NEXT) | instid1(VALU_DEP_2)
	v_xor_b32_e32 v8, v7, v11
	v_sub_co_u32 v7, vcc_lo, v2, v11
	s_delay_alu instid0(VALU_DEP_2)
	v_sub_co_ci_u32_e32 v8, vcc_lo, v8, v11, vcc_lo
.LBB55_29:                              ;   in Loop: Header=BB55_3 Depth=1
	s_and_not1_saveexec_b32 s0, s53
	s_cbranch_execz .LBB55_31
; %bb.30:                               ;   in Loop: Header=BB55_3 Depth=1
	v_cvt_f32_u32_e32 v2, s38
	s_sub_i32 s53, 0, s38
	s_delay_alu instid0(VALU_DEP_1) | instskip(SKIP_2) | instid1(VALU_DEP_1)
	v_rcp_iflag_f32_e32 v2, v2
	s_waitcnt_depctr 0xfff
	v_mul_f32_e32 v2, 0x4f7ffffe, v2
	v_cvt_u32_f32_e32 v2, v2
	s_delay_alu instid0(VALU_DEP_1) | instskip(NEXT) | instid1(VALU_DEP_1)
	v_mul_lo_u32 v7, s53, v2
	v_mul_hi_u32 v7, v2, v7
	s_delay_alu instid0(VALU_DEP_1) | instskip(NEXT) | instid1(VALU_DEP_1)
	v_add_nc_u32_e32 v2, v2, v7
	v_mul_hi_u32 v2, v3, v2
	s_delay_alu instid0(VALU_DEP_1) | instskip(SKIP_1) | instid1(VALU_DEP_2)
	v_mul_lo_u32 v7, v2, s38
	v_add_nc_u32_e32 v8, 1, v2
	v_sub_nc_u32_e32 v7, v3, v7
	s_delay_alu instid0(VALU_DEP_1) | instskip(SKIP_1) | instid1(VALU_DEP_2)
	v_subrev_nc_u32_e32 v9, s38, v7
	v_cmp_le_u32_e32 vcc_lo, s38, v7
	v_dual_cndmask_b32 v7, v7, v9 :: v_dual_cndmask_b32 v2, v2, v8
	s_delay_alu instid0(VALU_DEP_1) | instskip(NEXT) | instid1(VALU_DEP_2)
	v_cmp_le_u32_e32 vcc_lo, s38, v7
	v_add_nc_u32_e32 v8, 1, v2
	s_delay_alu instid0(VALU_DEP_1)
	v_dual_cndmask_b32 v7, v2, v8 :: v_dual_mov_b32 v8, v1
.LBB55_31:                              ;   in Loop: Header=BB55_3 Depth=1
	s_or_b32 exec_lo, exec_lo, s0
	s_delay_alu instid0(VALU_DEP_1) | instskip(NEXT) | instid1(VALU_DEP_2)
	v_mad_u64_u32 v[9:10], null, s58, v7, v[3:4]
	v_mul_lo_u32 v2, s58, v8
	v_mul_lo_u32 v11, s59, v7
	v_mul_lo_u32 v12, v8, s16
	v_mul_lo_u32 v16, v7, s17
	s_mov_b32 s0, exec_lo
	v_mul_lo_u32 v17, v9, s19
	s_delay_alu instid0(VALU_DEP_4) | instskip(SKIP_2) | instid1(VALU_DEP_3)
	v_add3_u32 v2, v11, v10, v2
	v_mad_u64_u32 v[10:11], null, v7, s16, 0
	v_mad_u64_u32 v[7:8], null, v9, s18, 0
	v_mul_lo_u32 v2, v2, s18
	s_delay_alu instid0(VALU_DEP_3) | instskip(NEXT) | instid1(VALU_DEP_2)
	v_add3_u32 v11, v11, v16, v12
	v_add3_u32 v8, v8, v17, v2
	s_delay_alu instid0(VALU_DEP_2) | instskip(NEXT) | instid1(VALU_DEP_2)
	v_lshlrev_b64 v[9:10], 2, v[10:11]
                                        ; implicit-def: $vgpr11_vgpr12
	v_lshlrev_b64 v[7:8], 2, v[7:8]
	s_delay_alu instid0(VALU_DEP_2) | instskip(NEXT) | instid1(VALU_DEP_3)
	v_add_co_u32 v2, vcc_lo, s36, v9
	v_add_co_ci_u32_e32 v9, vcc_lo, s37, v10, vcc_lo
	s_delay_alu instid0(VALU_DEP_2) | instskip(NEXT) | instid1(VALU_DEP_2)
	v_add_co_u32 v7, vcc_lo, v2, v7
	v_add_co_ci_u32_e32 v8, vcc_lo, v9, v8, vcc_lo
	v_mul_lo_u32 v2, s51, v5
	v_mul_lo_u32 v9, s50, v6
	global_load_b32 v16, v[7:8], off
	v_mad_u64_u32 v[7:8], null, s50, v5, 0
	s_delay_alu instid0(VALU_DEP_1) | instskip(NEXT) | instid1(VALU_DEP_2)
	v_add3_u32 v8, v8, v9, v2
	v_add_co_u32 v22, vcc_lo, v3, v7
	s_delay_alu instid0(VALU_DEP_2) | instskip(NEXT) | instid1(VALU_DEP_1)
	v_add_co_ci_u32_e32 v23, vcc_lo, v4, v8, vcc_lo
	v_or_b32_e32 v2, s29, v23
	v_ashrrev_i32_e32 v20, 31, v23
	s_delay_alu instid0(VALU_DEP_2)
	v_cmpx_ne_u64_e32 0, v[1:2]
	s_xor_b32 s53, exec_lo, s0
	s_cbranch_execz .LBB55_33
; %bb.32:                               ;   in Loop: Header=BB55_3 Depth=1
	s_ashr_i32 s54, s29, 31
	s_delay_alu instid0(SALU_CYCLE_1) | instskip(SKIP_2) | instid1(SALU_CYCLE_1)
	s_add_u32 s56, s28, s54
	s_mov_b32 s55, s54
	s_addc_u32 s57, s29, s54
	s_xor_b64 s[56:57], s[56:57], s[54:55]
	s_delay_alu instid0(SALU_CYCLE_1) | instskip(SKIP_3) | instid1(VALU_DEP_1)
	v_cvt_f32_u32_e32 v2, s56
	v_cvt_f32_u32_e32 v9, s57
	s_sub_u32 s0, 0, s56
	s_subb_u32 s55, 0, s57
	v_fmac_f32_e32 v2, 0x4f800000, v9
	s_delay_alu instid0(VALU_DEP_1) | instskip(SKIP_2) | instid1(VALU_DEP_1)
	v_rcp_f32_e32 v2, v2
	s_waitcnt_depctr 0xfff
	v_mul_f32_e32 v2, 0x5f7ffffc, v2
	v_mul_f32_e32 v9, 0x2f800000, v2
	s_delay_alu instid0(VALU_DEP_1) | instskip(NEXT) | instid1(VALU_DEP_1)
	v_trunc_f32_e32 v9, v9
	v_fmac_f32_e32 v2, 0xcf800000, v9
	v_cvt_u32_f32_e32 v9, v9
	s_delay_alu instid0(VALU_DEP_2) | instskip(NEXT) | instid1(VALU_DEP_2)
	v_cvt_u32_f32_e32 v2, v2
	v_mul_lo_u32 v10, s0, v9
	s_delay_alu instid0(VALU_DEP_2) | instskip(SKIP_1) | instid1(VALU_DEP_2)
	v_mul_hi_u32 v11, s0, v2
	v_mul_lo_u32 v12, s55, v2
	v_add_nc_u32_e32 v10, v11, v10
	v_mul_lo_u32 v11, s0, v2
	s_delay_alu instid0(VALU_DEP_2) | instskip(NEXT) | instid1(VALU_DEP_2)
	v_add_nc_u32_e32 v10, v10, v12
	v_mul_hi_u32 v12, v2, v11
	s_delay_alu instid0(VALU_DEP_2)
	v_mul_lo_u32 v17, v2, v10
	v_mul_hi_u32 v24, v2, v10
	v_mul_hi_u32 v25, v9, v11
	v_mul_lo_u32 v11, v9, v11
	v_mul_hi_u32 v26, v9, v10
	v_mul_lo_u32 v10, v9, v10
	v_add_co_u32 v12, vcc_lo, v12, v17
	v_add_co_ci_u32_e32 v17, vcc_lo, 0, v24, vcc_lo
	s_delay_alu instid0(VALU_DEP_2) | instskip(NEXT) | instid1(VALU_DEP_2)
	v_add_co_u32 v11, vcc_lo, v12, v11
	v_add_co_ci_u32_e32 v11, vcc_lo, v17, v25, vcc_lo
	v_add_co_ci_u32_e32 v12, vcc_lo, 0, v26, vcc_lo
	s_delay_alu instid0(VALU_DEP_2) | instskip(NEXT) | instid1(VALU_DEP_2)
	v_add_co_u32 v10, vcc_lo, v11, v10
	v_add_co_ci_u32_e32 v11, vcc_lo, 0, v12, vcc_lo
	s_delay_alu instid0(VALU_DEP_2) | instskip(NEXT) | instid1(VALU_DEP_2)
	v_add_co_u32 v2, vcc_lo, v2, v10
	v_add_co_ci_u32_e32 v9, vcc_lo, v9, v11, vcc_lo
	s_delay_alu instid0(VALU_DEP_2) | instskip(SKIP_1) | instid1(VALU_DEP_3)
	v_mul_hi_u32 v10, s0, v2
	v_mul_lo_u32 v12, s55, v2
	v_mul_lo_u32 v11, s0, v9
	s_delay_alu instid0(VALU_DEP_1) | instskip(SKIP_1) | instid1(VALU_DEP_2)
	v_add_nc_u32_e32 v10, v10, v11
	v_mul_lo_u32 v11, s0, v2
	v_add_nc_u32_e32 v10, v10, v12
	s_delay_alu instid0(VALU_DEP_2) | instskip(NEXT) | instid1(VALU_DEP_2)
	v_mul_hi_u32 v12, v2, v11
	v_mul_lo_u32 v17, v2, v10
	v_mul_hi_u32 v24, v2, v10
	v_mul_hi_u32 v25, v9, v11
	v_mul_lo_u32 v11, v9, v11
	v_mul_hi_u32 v26, v9, v10
	v_mul_lo_u32 v10, v9, v10
	v_add_co_u32 v12, vcc_lo, v12, v17
	v_add_co_ci_u32_e32 v17, vcc_lo, 0, v24, vcc_lo
	s_delay_alu instid0(VALU_DEP_2) | instskip(NEXT) | instid1(VALU_DEP_2)
	v_add_co_u32 v11, vcc_lo, v12, v11
	v_add_co_ci_u32_e32 v11, vcc_lo, v17, v25, vcc_lo
	v_add_co_ci_u32_e32 v12, vcc_lo, 0, v26, vcc_lo
	v_add_co_u32 v17, vcc_lo, v22, v20
	v_add_co_ci_u32_e32 v24, vcc_lo, v23, v20, vcc_lo
	s_delay_alu instid0(VALU_DEP_4) | instskip(NEXT) | instid1(VALU_DEP_4)
	v_add_co_u32 v10, vcc_lo, v11, v10
	v_add_co_ci_u32_e32 v11, vcc_lo, 0, v12, vcc_lo
	s_delay_alu instid0(VALU_DEP_4) | instskip(NEXT) | instid1(VALU_DEP_3)
	v_xor_b32_e32 v17, v17, v20
	v_add_co_u32 v2, vcc_lo, v2, v10
	s_delay_alu instid0(VALU_DEP_3) | instskip(SKIP_1) | instid1(VALU_DEP_3)
	v_add_co_ci_u32_e32 v26, vcc_lo, v9, v11, vcc_lo
	v_xor_b32_e32 v27, v24, v20
	v_mul_hi_u32 v28, v17, v2
	s_delay_alu instid0(VALU_DEP_3) | instskip(NEXT) | instid1(VALU_DEP_3)
	v_mad_u64_u32 v[9:10], null, v17, v26, 0
	v_mad_u64_u32 v[11:12], null, v27, v2, 0
	;; [unrolled: 1-line block ×3, first 2 shown]
	s_delay_alu instid0(VALU_DEP_3) | instskip(NEXT) | instid1(VALU_DEP_4)
	v_add_co_u32 v2, vcc_lo, v28, v9
	v_add_co_ci_u32_e32 v9, vcc_lo, 0, v10, vcc_lo
	s_delay_alu instid0(VALU_DEP_2) | instskip(NEXT) | instid1(VALU_DEP_2)
	v_add_co_u32 v2, vcc_lo, v2, v11
	v_add_co_ci_u32_e32 v2, vcc_lo, v9, v12, vcc_lo
	v_add_co_ci_u32_e32 v9, vcc_lo, 0, v25, vcc_lo
	s_delay_alu instid0(VALU_DEP_2) | instskip(NEXT) | instid1(VALU_DEP_2)
	v_add_co_u32 v2, vcc_lo, v2, v24
	v_add_co_ci_u32_e32 v11, vcc_lo, 0, v9, vcc_lo
	s_delay_alu instid0(VALU_DEP_2) | instskip(SKIP_1) | instid1(VALU_DEP_3)
	v_mul_lo_u32 v12, s57, v2
	v_mad_u64_u32 v[9:10], null, s56, v2, 0
	v_mul_lo_u32 v24, s56, v11
	s_delay_alu instid0(VALU_DEP_2) | instskip(NEXT) | instid1(VALU_DEP_2)
	v_sub_co_u32 v9, vcc_lo, v17, v9
	v_add3_u32 v10, v10, v24, v12
	s_delay_alu instid0(VALU_DEP_1) | instskip(NEXT) | instid1(VALU_DEP_1)
	v_sub_nc_u32_e32 v12, v27, v10
	v_subrev_co_ci_u32_e64 v12, s0, s57, v12, vcc_lo
	v_add_co_u32 v17, s0, v2, 2
	s_delay_alu instid0(VALU_DEP_1) | instskip(SKIP_3) | instid1(VALU_DEP_3)
	v_add_co_ci_u32_e64 v24, s0, 0, v11, s0
	v_sub_co_u32 v25, s0, v9, s56
	v_sub_co_ci_u32_e32 v10, vcc_lo, v27, v10, vcc_lo
	v_subrev_co_ci_u32_e64 v12, s0, 0, v12, s0
	v_cmp_le_u32_e32 vcc_lo, s56, v25
	s_delay_alu instid0(VALU_DEP_3) | instskip(SKIP_1) | instid1(VALU_DEP_4)
	v_cmp_eq_u32_e64 s0, s57, v10
	v_cndmask_b32_e64 v25, 0, -1, vcc_lo
	v_cmp_le_u32_e32 vcc_lo, s57, v12
	v_cndmask_b32_e64 v26, 0, -1, vcc_lo
	v_cmp_le_u32_e32 vcc_lo, s56, v9
	;; [unrolled: 2-line block ×3, first 2 shown]
	v_cndmask_b32_e64 v27, 0, -1, vcc_lo
	v_cmp_eq_u32_e32 vcc_lo, s57, v12
	s_delay_alu instid0(VALU_DEP_2) | instskip(SKIP_3) | instid1(VALU_DEP_3)
	v_cndmask_b32_e64 v9, v27, v9, s0
	v_cndmask_b32_e32 v12, v26, v25, vcc_lo
	v_add_co_u32 v25, vcc_lo, v2, 1
	v_add_co_ci_u32_e32 v26, vcc_lo, 0, v11, vcc_lo
	v_cmp_ne_u32_e32 vcc_lo, 0, v12
	s_delay_alu instid0(VALU_DEP_2) | instskip(NEXT) | instid1(VALU_DEP_4)
	v_cndmask_b32_e32 v10, v26, v24, vcc_lo
	v_cndmask_b32_e32 v12, v25, v17, vcc_lo
	v_cmp_ne_u32_e32 vcc_lo, 0, v9
	v_xor_b32_e32 v9, s54, v20
	s_delay_alu instid0(VALU_DEP_3) | instskip(SKIP_1) | instid1(VALU_DEP_2)
	v_cndmask_b32_e32 v2, v2, v12, vcc_lo
	v_cndmask_b32_e32 v10, v11, v10, vcc_lo
	v_xor_b32_e32 v2, v2, v9
	s_delay_alu instid0(VALU_DEP_2) | instskip(NEXT) | instid1(VALU_DEP_2)
	v_xor_b32_e32 v10, v10, v9
	v_sub_co_u32 v11, vcc_lo, v2, v9
	s_delay_alu instid0(VALU_DEP_2)
	v_sub_co_ci_u32_e32 v12, vcc_lo, v10, v9, vcc_lo
.LBB55_33:                              ;   in Loop: Header=BB55_3 Depth=1
	s_or_saveexec_b32 s0, s53
	v_cvt_f32_u32_e32 v29, s28
	s_xor_b32 exec_lo, exec_lo, s0
	s_cbranch_execz .LBB55_35
; %bb.34:                               ;   in Loop: Header=BB55_3 Depth=1
	s_delay_alu instid0(VALU_DEP_1) | instskip(SKIP_4) | instid1(VALU_DEP_1)
	v_rcp_iflag_f32_e32 v2, v29
	s_sub_i32 s53, 0, s28
	v_mov_b32_e32 v12, v1
	s_waitcnt_depctr 0xfff
	v_mul_f32_e32 v2, 0x4f7ffffe, v2
	v_cvt_u32_f32_e32 v2, v2
	s_delay_alu instid0(VALU_DEP_1) | instskip(NEXT) | instid1(VALU_DEP_1)
	v_mul_lo_u32 v9, s53, v2
	v_mul_hi_u32 v9, v2, v9
	s_delay_alu instid0(VALU_DEP_1) | instskip(NEXT) | instid1(VALU_DEP_1)
	v_add_nc_u32_e32 v2, v2, v9
	v_mul_hi_u32 v2, v22, v2
	s_delay_alu instid0(VALU_DEP_1) | instskip(SKIP_1) | instid1(VALU_DEP_2)
	v_mul_lo_u32 v9, v2, s28
	v_add_nc_u32_e32 v10, 1, v2
	v_sub_nc_u32_e32 v9, v22, v9
	s_delay_alu instid0(VALU_DEP_1) | instskip(SKIP_1) | instid1(VALU_DEP_2)
	v_subrev_nc_u32_e32 v11, s28, v9
	v_cmp_le_u32_e32 vcc_lo, s28, v9
	v_dual_cndmask_b32 v9, v9, v11 :: v_dual_cndmask_b32 v2, v2, v10
	s_delay_alu instid0(VALU_DEP_1) | instskip(NEXT) | instid1(VALU_DEP_2)
	v_cmp_le_u32_e32 vcc_lo, s28, v9
	v_add_nc_u32_e32 v10, 1, v2
	s_delay_alu instid0(VALU_DEP_1)
	v_cndmask_b32_e32 v11, v2, v10, vcc_lo
.LBB55_35:                              ;   in Loop: Header=BB55_3 Depth=1
	s_or_b32 exec_lo, exec_lo, s0
	v_mul_lo_u32 v2, v12, s28
	s_delay_alu instid0(VALU_DEP_2)
	v_mul_lo_u32 v17, v11, s29
	v_mad_u64_u32 v[9:10], null, v11, s28, 0
	s_waitcnt vmcnt(4)
	v_dual_sub_f32 v26, 1.0, v15 :: v_dual_sub_f32 v27, 1.0, v14
	s_waitcnt vmcnt(3)
	v_fma_f32 v24, -v18, v18, 1.0
	v_mul_lo_u32 v28, v12, s8
	v_mul_lo_u32 v31, v11, s9
	s_mov_b32 s0, exec_lo
	v_add3_u32 v2, v10, v17, v2
	v_sub_co_u32 v9, vcc_lo, v7, v9
	s_waitcnt vmcnt(0)
	v_mul_f32_e32 v10, v26, v16
	s_delay_alu instid0(VALU_DEP_3) | instskip(NEXT) | instid1(VALU_DEP_3)
	v_sub_co_ci_u32_e32 v2, vcc_lo, v8, v2, vcc_lo
	v_add_co_u32 v30, vcc_lo, v3, v9
	s_delay_alu instid0(VALU_DEP_3) | instskip(SKIP_1) | instid1(VALU_DEP_4)
	v_mul_f32_e32 v17, v24, v10
	v_lshlrev_b64 v[9:10], 1, v[5:6]
	v_add_co_ci_u32_e32 v2, vcc_lo, v4, v2, vcc_lo
	v_alignbit_b32 v5, v6, v5, 31
	s_delay_alu instid0(VALU_DEP_4)
	v_mul_f32_e32 v21, v21, v17
	v_mad_u64_u32 v[24:25], null, v11, s8, 0
	v_mul_lo_u32 v32, v30, s11
	v_mul_lo_u32 v2, v2, s10
	v_mad_u64_u32 v[11:12], null, v30, s10, 0
	v_mul_lo_u32 v33, s4, v5
	v_mul_lo_u32 v34, s5, v9
	v_mad_u64_u32 v[5:6], null, s4, v9, s[4:5]
	v_add3_u32 v25, v25, v31, v28
	v_mul_f32_e32 v21, v27, v21
	v_add3_u32 v12, v12, v32, v2
	s_delay_alu instid0(VALU_DEP_3) | instskip(SKIP_2) | instid1(VALU_DEP_4)
	v_lshlrev_b64 v[30:31], 2, v[24:25]
	v_add3_u32 v6, v34, v6, v33
	v_add_co_u32 v24, vcc_lo, v3, v5
	v_lshlrev_b64 v[11:12], 2, v[11:12]
	v_mul_f32_e32 v27, v14, v21
	s_delay_alu instid0(VALU_DEP_4) | instskip(SKIP_2) | instid1(VALU_DEP_3)
	v_add_co_ci_u32_e32 v25, vcc_lo, v4, v6, vcc_lo
	v_add_co_u32 v21, vcc_lo, s2, v30
	v_add_co_ci_u32_e32 v28, vcc_lo, s3, v31, vcc_lo
	v_or_b32_e32 v2, s29, v25
	s_delay_alu instid0(VALU_DEP_3) | instskip(NEXT) | instid1(VALU_DEP_3)
	v_add_co_u32 v11, vcc_lo, v21, v11
	v_add_co_ci_u32_e32 v12, vcc_lo, v28, v12, vcc_lo
	v_ashrrev_i32_e32 v21, 31, v25
	global_store_b32 v[11:12], v27, off
                                        ; implicit-def: $vgpr11_vgpr12
	v_cmpx_ne_u64_e32 0, v[1:2]
	s_xor_b32 s53, exec_lo, s0
	s_cbranch_execz .LBB55_37
; %bb.36:                               ;   in Loop: Header=BB55_3 Depth=1
	s_ashr_i32 s54, s29, 31
	s_delay_alu instid0(SALU_CYCLE_1) | instskip(SKIP_2) | instid1(SALU_CYCLE_1)
	s_add_u32 s56, s28, s54
	s_mov_b32 s55, s54
	s_addc_u32 s57, s29, s54
	s_xor_b64 s[56:57], s[56:57], s[54:55]
	s_delay_alu instid0(SALU_CYCLE_1) | instskip(SKIP_3) | instid1(VALU_DEP_1)
	v_cvt_f32_u32_e32 v2, s56
	v_cvt_f32_u32_e32 v11, s57
	s_sub_u32 s0, 0, s56
	s_subb_u32 s55, 0, s57
	v_fmac_f32_e32 v2, 0x4f800000, v11
	s_delay_alu instid0(VALU_DEP_1) | instskip(SKIP_2) | instid1(VALU_DEP_1)
	v_rcp_f32_e32 v2, v2
	s_waitcnt_depctr 0xfff
	v_mul_f32_e32 v2, 0x5f7ffffc, v2
	v_mul_f32_e32 v11, 0x2f800000, v2
	s_delay_alu instid0(VALU_DEP_1) | instskip(NEXT) | instid1(VALU_DEP_1)
	v_trunc_f32_e32 v11, v11
	v_fmac_f32_e32 v2, 0xcf800000, v11
	v_cvt_u32_f32_e32 v11, v11
	s_delay_alu instid0(VALU_DEP_2) | instskip(NEXT) | instid1(VALU_DEP_2)
	v_cvt_u32_f32_e32 v2, v2
	v_mul_lo_u32 v12, s0, v11
	s_delay_alu instid0(VALU_DEP_2) | instskip(SKIP_1) | instid1(VALU_DEP_2)
	v_mul_hi_u32 v28, s0, v2
	v_mul_lo_u32 v30, s55, v2
	v_add_nc_u32_e32 v12, v28, v12
	v_mul_lo_u32 v28, s0, v2
	s_delay_alu instid0(VALU_DEP_2) | instskip(NEXT) | instid1(VALU_DEP_2)
	v_add_nc_u32_e32 v12, v12, v30
	v_mul_hi_u32 v30, v2, v28
	s_delay_alu instid0(VALU_DEP_2)
	v_mul_lo_u32 v31, v2, v12
	v_mul_hi_u32 v32, v2, v12
	v_mul_hi_u32 v33, v11, v28
	v_mul_lo_u32 v28, v11, v28
	v_mul_hi_u32 v34, v11, v12
	v_mul_lo_u32 v12, v11, v12
	v_add_co_u32 v30, vcc_lo, v30, v31
	v_add_co_ci_u32_e32 v31, vcc_lo, 0, v32, vcc_lo
	s_delay_alu instid0(VALU_DEP_2) | instskip(NEXT) | instid1(VALU_DEP_2)
	v_add_co_u32 v28, vcc_lo, v30, v28
	v_add_co_ci_u32_e32 v28, vcc_lo, v31, v33, vcc_lo
	v_add_co_ci_u32_e32 v30, vcc_lo, 0, v34, vcc_lo
	s_delay_alu instid0(VALU_DEP_2) | instskip(NEXT) | instid1(VALU_DEP_2)
	v_add_co_u32 v12, vcc_lo, v28, v12
	v_add_co_ci_u32_e32 v28, vcc_lo, 0, v30, vcc_lo
	s_delay_alu instid0(VALU_DEP_2) | instskip(NEXT) | instid1(VALU_DEP_2)
	v_add_co_u32 v2, vcc_lo, v2, v12
	v_add_co_ci_u32_e32 v11, vcc_lo, v11, v28, vcc_lo
	s_delay_alu instid0(VALU_DEP_2) | instskip(SKIP_1) | instid1(VALU_DEP_3)
	v_mul_hi_u32 v12, s0, v2
	v_mul_lo_u32 v30, s55, v2
	v_mul_lo_u32 v28, s0, v11
	s_delay_alu instid0(VALU_DEP_1) | instskip(SKIP_1) | instid1(VALU_DEP_2)
	v_add_nc_u32_e32 v12, v12, v28
	v_mul_lo_u32 v28, s0, v2
	v_add_nc_u32_e32 v12, v12, v30
	s_delay_alu instid0(VALU_DEP_2) | instskip(NEXT) | instid1(VALU_DEP_2)
	v_mul_hi_u32 v30, v2, v28
	v_mul_lo_u32 v31, v2, v12
	v_mul_hi_u32 v32, v2, v12
	v_mul_hi_u32 v33, v11, v28
	v_mul_lo_u32 v28, v11, v28
	v_mul_hi_u32 v34, v11, v12
	v_mul_lo_u32 v12, v11, v12
	v_add_co_u32 v30, vcc_lo, v30, v31
	v_add_co_ci_u32_e32 v31, vcc_lo, 0, v32, vcc_lo
	s_delay_alu instid0(VALU_DEP_2) | instskip(NEXT) | instid1(VALU_DEP_2)
	v_add_co_u32 v28, vcc_lo, v30, v28
	v_add_co_ci_u32_e32 v28, vcc_lo, v31, v33, vcc_lo
	v_add_co_ci_u32_e32 v30, vcc_lo, 0, v34, vcc_lo
	v_add_co_u32 v31, vcc_lo, v24, v21
	v_add_co_ci_u32_e32 v32, vcc_lo, v25, v21, vcc_lo
	s_delay_alu instid0(VALU_DEP_4) | instskip(NEXT) | instid1(VALU_DEP_4)
	v_add_co_u32 v12, vcc_lo, v28, v12
	v_add_co_ci_u32_e32 v28, vcc_lo, 0, v30, vcc_lo
	s_delay_alu instid0(VALU_DEP_4) | instskip(NEXT) | instid1(VALU_DEP_3)
	v_xor_b32_e32 v34, v31, v21
	v_add_co_u32 v2, vcc_lo, v2, v12
	s_delay_alu instid0(VALU_DEP_3) | instskip(SKIP_1) | instid1(VALU_DEP_3)
	v_add_co_ci_u32_e32 v28, vcc_lo, v11, v28, vcc_lo
	v_xor_b32_e32 v35, v32, v21
	v_mul_hi_u32 v36, v34, v2
	s_delay_alu instid0(VALU_DEP_3) | instskip(NEXT) | instid1(VALU_DEP_3)
	v_mad_u64_u32 v[11:12], null, v34, v28, 0
	v_mad_u64_u32 v[30:31], null, v35, v2, 0
	;; [unrolled: 1-line block ×3, first 2 shown]
	s_delay_alu instid0(VALU_DEP_3) | instskip(NEXT) | instid1(VALU_DEP_4)
	v_add_co_u32 v2, vcc_lo, v36, v11
	v_add_co_ci_u32_e32 v11, vcc_lo, 0, v12, vcc_lo
	s_delay_alu instid0(VALU_DEP_2) | instskip(NEXT) | instid1(VALU_DEP_2)
	v_add_co_u32 v2, vcc_lo, v2, v30
	v_add_co_ci_u32_e32 v2, vcc_lo, v11, v31, vcc_lo
	v_add_co_ci_u32_e32 v11, vcc_lo, 0, v33, vcc_lo
	s_delay_alu instid0(VALU_DEP_2) | instskip(NEXT) | instid1(VALU_DEP_2)
	v_add_co_u32 v2, vcc_lo, v2, v32
	v_add_co_ci_u32_e32 v28, vcc_lo, 0, v11, vcc_lo
	s_delay_alu instid0(VALU_DEP_2) | instskip(SKIP_1) | instid1(VALU_DEP_3)
	v_mul_lo_u32 v30, s57, v2
	v_mad_u64_u32 v[11:12], null, s56, v2, 0
	v_mul_lo_u32 v31, s56, v28
	s_delay_alu instid0(VALU_DEP_2) | instskip(NEXT) | instid1(VALU_DEP_2)
	v_sub_co_u32 v11, vcc_lo, v34, v11
	v_add3_u32 v12, v12, v31, v30
	s_delay_alu instid0(VALU_DEP_1) | instskip(NEXT) | instid1(VALU_DEP_1)
	v_sub_nc_u32_e32 v30, v35, v12
	v_subrev_co_ci_u32_e64 v30, s0, s57, v30, vcc_lo
	v_add_co_u32 v31, s0, v2, 2
	s_delay_alu instid0(VALU_DEP_1) | instskip(SKIP_3) | instid1(VALU_DEP_3)
	v_add_co_ci_u32_e64 v32, s0, 0, v28, s0
	v_sub_co_u32 v33, s0, v11, s56
	v_sub_co_ci_u32_e32 v12, vcc_lo, v35, v12, vcc_lo
	v_subrev_co_ci_u32_e64 v30, s0, 0, v30, s0
	v_cmp_le_u32_e32 vcc_lo, s56, v33
	s_delay_alu instid0(VALU_DEP_3) | instskip(SKIP_1) | instid1(VALU_DEP_4)
	v_cmp_eq_u32_e64 s0, s57, v12
	v_cndmask_b32_e64 v33, 0, -1, vcc_lo
	v_cmp_le_u32_e32 vcc_lo, s57, v30
	v_cndmask_b32_e64 v34, 0, -1, vcc_lo
	v_cmp_le_u32_e32 vcc_lo, s56, v11
	;; [unrolled: 2-line block ×3, first 2 shown]
	v_cndmask_b32_e64 v35, 0, -1, vcc_lo
	v_cmp_eq_u32_e32 vcc_lo, s57, v30
	s_delay_alu instid0(VALU_DEP_2) | instskip(SKIP_3) | instid1(VALU_DEP_3)
	v_cndmask_b32_e64 v11, v35, v11, s0
	v_cndmask_b32_e32 v30, v34, v33, vcc_lo
	v_add_co_u32 v33, vcc_lo, v2, 1
	v_add_co_ci_u32_e32 v34, vcc_lo, 0, v28, vcc_lo
	v_cmp_ne_u32_e32 vcc_lo, 0, v30
	s_delay_alu instid0(VALU_DEP_2) | instskip(NEXT) | instid1(VALU_DEP_4)
	v_cndmask_b32_e32 v12, v34, v32, vcc_lo
	v_cndmask_b32_e32 v30, v33, v31, vcc_lo
	v_cmp_ne_u32_e32 vcc_lo, 0, v11
	v_xor_b32_e32 v31, s54, v21
	s_delay_alu instid0(VALU_DEP_3) | instskip(NEXT) | instid1(VALU_DEP_1)
	v_dual_cndmask_b32 v2, v2, v30 :: v_dual_cndmask_b32 v11, v28, v12
	v_xor_b32_e32 v2, v2, v31
	s_delay_alu instid0(VALU_DEP_2) | instskip(NEXT) | instid1(VALU_DEP_2)
	v_xor_b32_e32 v12, v11, v31
	v_sub_co_u32 v11, vcc_lo, v2, v31
	s_delay_alu instid0(VALU_DEP_2)
	v_sub_co_ci_u32_e32 v12, vcc_lo, v12, v31, vcc_lo
.LBB55_37:                              ;   in Loop: Header=BB55_3 Depth=1
	s_and_not1_saveexec_b32 s0, s53
	s_cbranch_execz .LBB55_39
; %bb.38:                               ;   in Loop: Header=BB55_3 Depth=1
	v_rcp_iflag_f32_e32 v2, v29
	s_sub_i32 s53, 0, s28
	s_waitcnt_depctr 0xfff
	v_mul_f32_e32 v2, 0x4f7ffffe, v2
	s_delay_alu instid0(VALU_DEP_1) | instskip(NEXT) | instid1(VALU_DEP_1)
	v_cvt_u32_f32_e32 v2, v2
	v_mul_lo_u32 v11, s53, v2
	s_delay_alu instid0(VALU_DEP_1) | instskip(NEXT) | instid1(VALU_DEP_1)
	v_mul_hi_u32 v11, v2, v11
	v_add_nc_u32_e32 v2, v2, v11
	s_delay_alu instid0(VALU_DEP_1) | instskip(NEXT) | instid1(VALU_DEP_1)
	v_mul_hi_u32 v2, v24, v2
	v_mul_lo_u32 v11, v2, s28
	v_add_nc_u32_e32 v12, 1, v2
	s_delay_alu instid0(VALU_DEP_2) | instskip(NEXT) | instid1(VALU_DEP_1)
	v_sub_nc_u32_e32 v11, v24, v11
	v_subrev_nc_u32_e32 v28, s28, v11
	v_cmp_le_u32_e32 vcc_lo, s28, v11
	s_delay_alu instid0(VALU_DEP_2) | instskip(SKIP_1) | instid1(VALU_DEP_2)
	v_cndmask_b32_e32 v11, v11, v28, vcc_lo
	v_cndmask_b32_e32 v2, v2, v12, vcc_lo
	v_cmp_le_u32_e32 vcc_lo, s28, v11
	s_delay_alu instid0(VALU_DEP_2) | instskip(NEXT) | instid1(VALU_DEP_1)
	v_add_nc_u32_e32 v12, 1, v2
	v_dual_cndmask_b32 v11, v2, v12 :: v_dual_mov_b32 v12, v1
.LBB55_39:                              ;   in Loop: Header=BB55_3 Depth=1
	s_or_b32 exec_lo, exec_lo, s0
	s_delay_alu instid0(VALU_DEP_1) | instskip(NEXT) | instid1(VALU_DEP_2)
	v_mul_lo_u32 v2, v12, s28
	v_mul_lo_u32 v28, v11, s29
	v_mad_u64_u32 v[30:31], null, v11, s28, 0
	v_sub_f32_e32 v18, v19, v18
	s_mov_b32 s0, exec_lo
	s_delay_alu instid0(VALU_DEP_1) | instskip(NEXT) | instid1(VALU_DEP_3)
	v_mul_f32_e32 v33, v18, v16
	v_add3_u32 v2, v31, v28, v2
	v_mul_lo_u32 v28, v12, s8
	v_sub_co_u32 v12, vcc_lo, v5, v30
	v_mul_lo_u32 v30, v11, s9
	s_delay_alu instid0(VALU_DEP_4) | instskip(NEXT) | instid1(VALU_DEP_3)
	v_sub_co_ci_u32_e32 v2, vcc_lo, v6, v2, vcc_lo
	v_add_co_u32 v31, vcc_lo, v3, v12
	v_mad_u64_u32 v[18:19], null, v11, s8, 0
	s_delay_alu instid0(VALU_DEP_3) | instskip(SKIP_3) | instid1(VALU_DEP_4)
	v_add_co_ci_u32_e32 v2, vcc_lo, v4, v2, vcc_lo
	v_add_co_u32 v32, vcc_lo, v9, 2
	v_add_co_ci_u32_e32 v9, vcc_lo, 0, v10, vcc_lo
	v_mul_lo_u32 v34, v31, s11
	v_mul_lo_u32 v2, v2, s10
	v_mad_u64_u32 v[11:12], null, v31, s10, 0
	v_mul_lo_u32 v35, s5, v32
	v_mul_lo_u32 v36, s4, v9
	v_mad_u64_u32 v[9:10], null, s4, v32, 0
	v_add3_u32 v19, v19, v30, v28
	v_mul_f32_e32 v26, v26, v33
	v_add3_u32 v12, v12, v34, v2
	s_delay_alu instid0(VALU_DEP_3) | instskip(NEXT) | instid1(VALU_DEP_3)
	v_lshlrev_b64 v[30:31], 2, v[18:19]
	v_mul_f32_e32 v28, v15, v26
	v_add3_u32 v10, v10, v36, v35
	v_add_co_u32 v19, vcc_lo, v3, v9
	v_lshlrev_b64 v[11:12], 2, v[11:12]
	s_delay_alu instid0(VALU_DEP_3) | instskip(SKIP_2) | instid1(VALU_DEP_3)
	v_add_co_ci_u32_e32 v26, vcc_lo, v4, v10, vcc_lo
	v_add_co_u32 v18, vcc_lo, s2, v30
	v_add_co_ci_u32_e32 v30, vcc_lo, s3, v31, vcc_lo
	v_or_b32_e32 v2, s29, v26
	s_delay_alu instid0(VALU_DEP_3) | instskip(NEXT) | instid1(VALU_DEP_3)
	v_add_co_u32 v11, vcc_lo, v18, v11
	v_add_co_ci_u32_e32 v12, vcc_lo, v30, v12, vcc_lo
	v_ashrrev_i32_e32 v18, 31, v26
	global_store_b32 v[11:12], v28, off
                                        ; implicit-def: $vgpr11_vgpr12
	v_cmpx_ne_u64_e32 0, v[1:2]
	s_xor_b32 s53, exec_lo, s0
	s_cbranch_execz .LBB55_41
; %bb.40:                               ;   in Loop: Header=BB55_3 Depth=1
	s_ashr_i32 s54, s29, 31
	s_delay_alu instid0(SALU_CYCLE_1) | instskip(SKIP_2) | instid1(SALU_CYCLE_1)
	s_add_u32 s56, s28, s54
	s_mov_b32 s55, s54
	s_addc_u32 s57, s29, s54
	s_xor_b64 s[56:57], s[56:57], s[54:55]
	s_delay_alu instid0(SALU_CYCLE_1) | instskip(SKIP_3) | instid1(VALU_DEP_1)
	v_cvt_f32_u32_e32 v2, s56
	v_cvt_f32_u32_e32 v11, s57
	s_sub_u32 s0, 0, s56
	s_subb_u32 s55, 0, s57
	v_fmac_f32_e32 v2, 0x4f800000, v11
	s_delay_alu instid0(VALU_DEP_1) | instskip(SKIP_2) | instid1(VALU_DEP_1)
	v_rcp_f32_e32 v2, v2
	s_waitcnt_depctr 0xfff
	v_mul_f32_e32 v2, 0x5f7ffffc, v2
	v_mul_f32_e32 v11, 0x2f800000, v2
	s_delay_alu instid0(VALU_DEP_1) | instskip(NEXT) | instid1(VALU_DEP_1)
	v_trunc_f32_e32 v11, v11
	v_fmac_f32_e32 v2, 0xcf800000, v11
	v_cvt_u32_f32_e32 v11, v11
	s_delay_alu instid0(VALU_DEP_2) | instskip(NEXT) | instid1(VALU_DEP_2)
	v_cvt_u32_f32_e32 v2, v2
	v_mul_lo_u32 v12, s0, v11
	s_delay_alu instid0(VALU_DEP_2) | instskip(SKIP_1) | instid1(VALU_DEP_2)
	v_mul_hi_u32 v29, s0, v2
	v_mul_lo_u32 v30, s55, v2
	v_add_nc_u32_e32 v12, v29, v12
	v_mul_lo_u32 v29, s0, v2
	s_delay_alu instid0(VALU_DEP_2) | instskip(NEXT) | instid1(VALU_DEP_2)
	v_add_nc_u32_e32 v12, v12, v30
	v_mul_hi_u32 v30, v2, v29
	s_delay_alu instid0(VALU_DEP_2)
	v_mul_lo_u32 v31, v2, v12
	v_mul_hi_u32 v32, v2, v12
	v_mul_hi_u32 v33, v11, v29
	v_mul_lo_u32 v29, v11, v29
	v_mul_hi_u32 v34, v11, v12
	v_mul_lo_u32 v12, v11, v12
	v_add_co_u32 v30, vcc_lo, v30, v31
	v_add_co_ci_u32_e32 v31, vcc_lo, 0, v32, vcc_lo
	s_delay_alu instid0(VALU_DEP_2) | instskip(NEXT) | instid1(VALU_DEP_2)
	v_add_co_u32 v29, vcc_lo, v30, v29
	v_add_co_ci_u32_e32 v29, vcc_lo, v31, v33, vcc_lo
	v_add_co_ci_u32_e32 v30, vcc_lo, 0, v34, vcc_lo
	s_delay_alu instid0(VALU_DEP_2) | instskip(NEXT) | instid1(VALU_DEP_2)
	v_add_co_u32 v12, vcc_lo, v29, v12
	v_add_co_ci_u32_e32 v29, vcc_lo, 0, v30, vcc_lo
	s_delay_alu instid0(VALU_DEP_2) | instskip(NEXT) | instid1(VALU_DEP_2)
	v_add_co_u32 v2, vcc_lo, v2, v12
	v_add_co_ci_u32_e32 v11, vcc_lo, v11, v29, vcc_lo
	s_delay_alu instid0(VALU_DEP_2) | instskip(SKIP_1) | instid1(VALU_DEP_3)
	v_mul_hi_u32 v12, s0, v2
	v_mul_lo_u32 v30, s55, v2
	v_mul_lo_u32 v29, s0, v11
	s_delay_alu instid0(VALU_DEP_1) | instskip(SKIP_1) | instid1(VALU_DEP_2)
	v_add_nc_u32_e32 v12, v12, v29
	v_mul_lo_u32 v29, s0, v2
	v_add_nc_u32_e32 v12, v12, v30
	s_delay_alu instid0(VALU_DEP_2) | instskip(NEXT) | instid1(VALU_DEP_2)
	v_mul_hi_u32 v30, v2, v29
	v_mul_lo_u32 v31, v2, v12
	v_mul_hi_u32 v32, v2, v12
	v_mul_hi_u32 v33, v11, v29
	v_mul_lo_u32 v29, v11, v29
	v_mul_hi_u32 v34, v11, v12
	v_mul_lo_u32 v12, v11, v12
	v_add_co_u32 v30, vcc_lo, v30, v31
	v_add_co_ci_u32_e32 v31, vcc_lo, 0, v32, vcc_lo
	s_delay_alu instid0(VALU_DEP_2) | instskip(NEXT) | instid1(VALU_DEP_2)
	v_add_co_u32 v29, vcc_lo, v30, v29
	v_add_co_ci_u32_e32 v29, vcc_lo, v31, v33, vcc_lo
	v_add_co_ci_u32_e32 v30, vcc_lo, 0, v34, vcc_lo
	v_add_co_u32 v31, vcc_lo, v19, v18
	v_add_co_ci_u32_e32 v32, vcc_lo, v26, v18, vcc_lo
	s_delay_alu instid0(VALU_DEP_4) | instskip(NEXT) | instid1(VALU_DEP_4)
	v_add_co_u32 v12, vcc_lo, v29, v12
	v_add_co_ci_u32_e32 v29, vcc_lo, 0, v30, vcc_lo
	s_delay_alu instid0(VALU_DEP_4) | instskip(NEXT) | instid1(VALU_DEP_3)
	v_xor_b32_e32 v33, v31, v18
	v_add_co_u32 v2, vcc_lo, v2, v12
	s_delay_alu instid0(VALU_DEP_3) | instskip(SKIP_1) | instid1(VALU_DEP_3)
	v_add_co_ci_u32_e32 v34, vcc_lo, v11, v29, vcc_lo
	v_xor_b32_e32 v35, v32, v18
	v_mul_hi_u32 v36, v33, v2
	s_delay_alu instid0(VALU_DEP_3) | instskip(NEXT) | instid1(VALU_DEP_3)
	v_mad_u64_u32 v[11:12], null, v33, v34, 0
	v_mad_u64_u32 v[29:30], null, v35, v2, 0
	;; [unrolled: 1-line block ×3, first 2 shown]
	s_delay_alu instid0(VALU_DEP_3) | instskip(NEXT) | instid1(VALU_DEP_4)
	v_add_co_u32 v2, vcc_lo, v36, v11
	v_add_co_ci_u32_e32 v11, vcc_lo, 0, v12, vcc_lo
	s_delay_alu instid0(VALU_DEP_2) | instskip(NEXT) | instid1(VALU_DEP_2)
	v_add_co_u32 v2, vcc_lo, v2, v29
	v_add_co_ci_u32_e32 v2, vcc_lo, v11, v30, vcc_lo
	v_add_co_ci_u32_e32 v11, vcc_lo, 0, v32, vcc_lo
	s_delay_alu instid0(VALU_DEP_2) | instskip(NEXT) | instid1(VALU_DEP_2)
	v_add_co_u32 v2, vcc_lo, v2, v31
	v_add_co_ci_u32_e32 v29, vcc_lo, 0, v11, vcc_lo
	s_delay_alu instid0(VALU_DEP_2) | instskip(SKIP_1) | instid1(VALU_DEP_3)
	v_mul_lo_u32 v30, s57, v2
	v_mad_u64_u32 v[11:12], null, s56, v2, 0
	v_mul_lo_u32 v31, s56, v29
	s_delay_alu instid0(VALU_DEP_2) | instskip(NEXT) | instid1(VALU_DEP_2)
	v_sub_co_u32 v11, vcc_lo, v33, v11
	v_add3_u32 v12, v12, v31, v30
	s_delay_alu instid0(VALU_DEP_1) | instskip(NEXT) | instid1(VALU_DEP_1)
	v_sub_nc_u32_e32 v30, v35, v12
	v_subrev_co_ci_u32_e64 v30, s0, s57, v30, vcc_lo
	v_add_co_u32 v31, s0, v2, 2
	s_delay_alu instid0(VALU_DEP_1) | instskip(SKIP_3) | instid1(VALU_DEP_3)
	v_add_co_ci_u32_e64 v32, s0, 0, v29, s0
	v_sub_co_u32 v33, s0, v11, s56
	v_sub_co_ci_u32_e32 v12, vcc_lo, v35, v12, vcc_lo
	v_subrev_co_ci_u32_e64 v30, s0, 0, v30, s0
	v_cmp_le_u32_e32 vcc_lo, s56, v33
	s_delay_alu instid0(VALU_DEP_3) | instskip(SKIP_1) | instid1(VALU_DEP_4)
	v_cmp_eq_u32_e64 s0, s57, v12
	v_cndmask_b32_e64 v33, 0, -1, vcc_lo
	v_cmp_le_u32_e32 vcc_lo, s57, v30
	v_cndmask_b32_e64 v34, 0, -1, vcc_lo
	v_cmp_le_u32_e32 vcc_lo, s56, v11
	;; [unrolled: 2-line block ×3, first 2 shown]
	v_cndmask_b32_e64 v35, 0, -1, vcc_lo
	v_cmp_eq_u32_e32 vcc_lo, s57, v30
	s_delay_alu instid0(VALU_DEP_2) | instskip(SKIP_3) | instid1(VALU_DEP_3)
	v_cndmask_b32_e64 v11, v35, v11, s0
	v_cndmask_b32_e32 v30, v34, v33, vcc_lo
	v_add_co_u32 v33, vcc_lo, v2, 1
	v_add_co_ci_u32_e32 v34, vcc_lo, 0, v29, vcc_lo
	v_cmp_ne_u32_e32 vcc_lo, 0, v30
	s_delay_alu instid0(VALU_DEP_2) | instskip(NEXT) | instid1(VALU_DEP_4)
	v_cndmask_b32_e32 v12, v34, v32, vcc_lo
	v_cndmask_b32_e32 v30, v33, v31, vcc_lo
	v_cmp_ne_u32_e32 vcc_lo, 0, v11
	v_xor_b32_e32 v31, s54, v18
	s_delay_alu instid0(VALU_DEP_3) | instskip(NEXT) | instid1(VALU_DEP_1)
	v_dual_cndmask_b32 v2, v2, v30 :: v_dual_cndmask_b32 v11, v29, v12
                                        ; implicit-def: $vgpr29
	v_xor_b32_e32 v2, v2, v31
	s_delay_alu instid0(VALU_DEP_2) | instskip(NEXT) | instid1(VALU_DEP_2)
	v_xor_b32_e32 v12, v11, v31
	v_sub_co_u32 v11, vcc_lo, v2, v31
	s_delay_alu instid0(VALU_DEP_2)
	v_sub_co_ci_u32_e32 v12, vcc_lo, v12, v31, vcc_lo
.LBB55_41:                              ;   in Loop: Header=BB55_3 Depth=1
	s_and_not1_saveexec_b32 s0, s53
	s_cbranch_execz .LBB55_43
; %bb.42:                               ;   in Loop: Header=BB55_3 Depth=1
	v_rcp_iflag_f32_e32 v2, v29
	s_sub_i32 s53, 0, s28
	s_waitcnt_depctr 0xfff
	v_mul_f32_e32 v2, 0x4f7ffffe, v2
	s_delay_alu instid0(VALU_DEP_1) | instskip(NEXT) | instid1(VALU_DEP_1)
	v_cvt_u32_f32_e32 v2, v2
	v_mul_lo_u32 v11, s53, v2
	s_delay_alu instid0(VALU_DEP_1) | instskip(NEXT) | instid1(VALU_DEP_1)
	v_mul_hi_u32 v11, v2, v11
	v_add_nc_u32_e32 v2, v2, v11
	s_delay_alu instid0(VALU_DEP_1) | instskip(NEXT) | instid1(VALU_DEP_1)
	v_mul_hi_u32 v2, v19, v2
	v_mul_lo_u32 v11, v2, s28
	v_add_nc_u32_e32 v12, 1, v2
	s_delay_alu instid0(VALU_DEP_2) | instskip(NEXT) | instid1(VALU_DEP_1)
	v_sub_nc_u32_e32 v11, v19, v11
	v_subrev_nc_u32_e32 v29, s28, v11
	v_cmp_le_u32_e32 vcc_lo, s28, v11
	s_delay_alu instid0(VALU_DEP_2) | instskip(NEXT) | instid1(VALU_DEP_1)
	v_dual_cndmask_b32 v11, v11, v29 :: v_dual_cndmask_b32 v2, v2, v12
	v_cmp_le_u32_e32 vcc_lo, s28, v11
	s_delay_alu instid0(VALU_DEP_2) | instskip(NEXT) | instid1(VALU_DEP_1)
	v_add_nc_u32_e32 v12, 1, v2
	v_dual_cndmask_b32 v11, v2, v12 :: v_dual_mov_b32 v12, v1
.LBB55_43:                              ;   in Loop: Header=BB55_3 Depth=1
	s_or_b32 exec_lo, exec_lo, s0
	s_delay_alu instid0(VALU_DEP_1) | instskip(NEXT) | instid1(VALU_DEP_2)
	v_mul_lo_u32 v2, v12, s28
	v_mul_lo_u32 v31, v11, s29
	v_mad_u64_u32 v[29:30], null, v11, s28, 0
	v_mul_lo_u32 v32, v11, s9
	s_mov_b32 s0, exec_lo
	s_delay_alu instid0(VALU_DEP_2) | instskip(SKIP_1) | instid1(VALU_DEP_4)
	v_add3_u32 v2, v30, v31, v2
	v_mul_lo_u32 v31, v12, s8
	v_sub_co_u32 v12, vcc_lo, v9, v29
	v_mad_u64_u32 v[29:30], null, v11, s8, 0
	s_delay_alu instid0(VALU_DEP_4) | instskip(NEXT) | instid1(VALU_DEP_3)
	v_sub_co_ci_u32_e32 v2, vcc_lo, v10, v2, vcc_lo
	v_add_co_u32 v33, vcc_lo, v3, v12
	s_delay_alu instid0(VALU_DEP_2) | instskip(NEXT) | instid1(VALU_DEP_2)
	v_add_co_ci_u32_e32 v2, vcc_lo, v4, v2, vcc_lo
	v_mul_lo_u32 v34, v33, s11
	v_mad_u64_u32 v[11:12], null, v33, s10, 0
	s_delay_alu instid0(VALU_DEP_3) | instskip(SKIP_1) | instid1(VALU_DEP_1)
	v_mul_lo_u32 v2, v2, s10
	v_add3_u32 v30, v30, v32, v31
	v_lshlrev_b64 v[29:30], 2, v[29:30]
	s_delay_alu instid0(VALU_DEP_3) | instskip(SKIP_1) | instid1(VALU_DEP_3)
	v_add3_u32 v12, v12, v34, v2
	v_or_b32_e32 v2, s35, v23
	v_add_co_u32 v29, vcc_lo, s2, v29
	s_delay_alu instid0(VALU_DEP_3) | instskip(SKIP_1) | instid1(VALU_DEP_2)
	v_lshlrev_b64 v[11:12], 2, v[11:12]
	v_add_co_ci_u32_e32 v30, vcc_lo, s3, v30, vcc_lo
	v_add_co_u32 v11, vcc_lo, v29, v11
	s_delay_alu instid0(VALU_DEP_2)
	v_add_co_ci_u32_e32 v12, vcc_lo, v30, v12, vcc_lo
	global_store_b32 v[11:12], v17, off
                                        ; implicit-def: $vgpr11_vgpr12
	v_cmpx_ne_u64_e32 0, v[1:2]
	s_xor_b32 s53, exec_lo, s0
	s_cbranch_execz .LBB55_45
; %bb.44:                               ;   in Loop: Header=BB55_3 Depth=1
	s_ashr_i32 s54, s35, 31
	s_delay_alu instid0(SALU_CYCLE_1) | instskip(SKIP_2) | instid1(SALU_CYCLE_1)
	s_add_u32 s56, s34, s54
	s_mov_b32 s55, s54
	s_addc_u32 s57, s35, s54
	s_xor_b64 s[56:57], s[56:57], s[54:55]
	s_delay_alu instid0(SALU_CYCLE_1) | instskip(SKIP_3) | instid1(VALU_DEP_1)
	v_cvt_f32_u32_e32 v2, s56
	v_cvt_f32_u32_e32 v11, s57
	s_sub_u32 s0, 0, s56
	s_subb_u32 s55, 0, s57
	v_fmac_f32_e32 v2, 0x4f800000, v11
	s_delay_alu instid0(VALU_DEP_1) | instskip(SKIP_2) | instid1(VALU_DEP_1)
	v_rcp_f32_e32 v2, v2
	s_waitcnt_depctr 0xfff
	v_mul_f32_e32 v2, 0x5f7ffffc, v2
	v_mul_f32_e32 v11, 0x2f800000, v2
	s_delay_alu instid0(VALU_DEP_1) | instskip(NEXT) | instid1(VALU_DEP_1)
	v_trunc_f32_e32 v11, v11
	v_fmac_f32_e32 v2, 0xcf800000, v11
	v_cvt_u32_f32_e32 v11, v11
	s_delay_alu instid0(VALU_DEP_2) | instskip(NEXT) | instid1(VALU_DEP_2)
	v_cvt_u32_f32_e32 v2, v2
	v_mul_lo_u32 v12, s0, v11
	s_delay_alu instid0(VALU_DEP_2) | instskip(SKIP_1) | instid1(VALU_DEP_2)
	v_mul_hi_u32 v29, s0, v2
	v_mul_lo_u32 v30, s55, v2
	v_add_nc_u32_e32 v12, v29, v12
	v_mul_lo_u32 v29, s0, v2
	s_delay_alu instid0(VALU_DEP_2) | instskip(NEXT) | instid1(VALU_DEP_2)
	v_add_nc_u32_e32 v12, v12, v30
	v_mul_hi_u32 v30, v2, v29
	s_delay_alu instid0(VALU_DEP_2)
	v_mul_lo_u32 v31, v2, v12
	v_mul_hi_u32 v32, v2, v12
	v_mul_hi_u32 v33, v11, v29
	v_mul_lo_u32 v29, v11, v29
	v_mul_hi_u32 v34, v11, v12
	v_mul_lo_u32 v12, v11, v12
	v_add_co_u32 v30, vcc_lo, v30, v31
	v_add_co_ci_u32_e32 v31, vcc_lo, 0, v32, vcc_lo
	s_delay_alu instid0(VALU_DEP_2) | instskip(NEXT) | instid1(VALU_DEP_2)
	v_add_co_u32 v29, vcc_lo, v30, v29
	v_add_co_ci_u32_e32 v29, vcc_lo, v31, v33, vcc_lo
	v_add_co_ci_u32_e32 v30, vcc_lo, 0, v34, vcc_lo
	s_delay_alu instid0(VALU_DEP_2) | instskip(NEXT) | instid1(VALU_DEP_2)
	v_add_co_u32 v12, vcc_lo, v29, v12
	v_add_co_ci_u32_e32 v29, vcc_lo, 0, v30, vcc_lo
	s_delay_alu instid0(VALU_DEP_2) | instskip(NEXT) | instid1(VALU_DEP_2)
	v_add_co_u32 v2, vcc_lo, v2, v12
	v_add_co_ci_u32_e32 v11, vcc_lo, v11, v29, vcc_lo
	s_delay_alu instid0(VALU_DEP_2) | instskip(SKIP_1) | instid1(VALU_DEP_3)
	v_mul_hi_u32 v12, s0, v2
	v_mul_lo_u32 v30, s55, v2
	v_mul_lo_u32 v29, s0, v11
	s_delay_alu instid0(VALU_DEP_1) | instskip(SKIP_1) | instid1(VALU_DEP_2)
	v_add_nc_u32_e32 v12, v12, v29
	v_mul_lo_u32 v29, s0, v2
	v_add_nc_u32_e32 v12, v12, v30
	s_delay_alu instid0(VALU_DEP_2) | instskip(NEXT) | instid1(VALU_DEP_2)
	v_mul_hi_u32 v30, v2, v29
	v_mul_lo_u32 v31, v2, v12
	v_mul_hi_u32 v32, v2, v12
	v_mul_hi_u32 v33, v11, v29
	v_mul_lo_u32 v29, v11, v29
	v_mul_hi_u32 v34, v11, v12
	v_mul_lo_u32 v12, v11, v12
	v_add_co_u32 v30, vcc_lo, v30, v31
	v_add_co_ci_u32_e32 v31, vcc_lo, 0, v32, vcc_lo
	s_delay_alu instid0(VALU_DEP_2) | instskip(NEXT) | instid1(VALU_DEP_2)
	v_add_co_u32 v29, vcc_lo, v30, v29
	v_add_co_ci_u32_e32 v29, vcc_lo, v31, v33, vcc_lo
	v_add_co_ci_u32_e32 v30, vcc_lo, 0, v34, vcc_lo
	v_add_co_u32 v22, vcc_lo, v22, v20
	v_add_co_ci_u32_e32 v23, vcc_lo, v23, v20, vcc_lo
	s_delay_alu instid0(VALU_DEP_4) | instskip(NEXT) | instid1(VALU_DEP_4)
	v_add_co_u32 v12, vcc_lo, v29, v12
	v_add_co_ci_u32_e32 v29, vcc_lo, 0, v30, vcc_lo
	s_delay_alu instid0(VALU_DEP_4) | instskip(NEXT) | instid1(VALU_DEP_3)
	v_xor_b32_e32 v31, v22, v20
	v_add_co_u32 v2, vcc_lo, v2, v12
	s_delay_alu instid0(VALU_DEP_3) | instskip(SKIP_1) | instid1(VALU_DEP_3)
	v_add_co_ci_u32_e32 v32, vcc_lo, v11, v29, vcc_lo
	v_xor_b32_e32 v33, v23, v20
	v_mul_hi_u32 v34, v31, v2
	v_xor_b32_e32 v20, s54, v20
	s_delay_alu instid0(VALU_DEP_4) | instskip(NEXT) | instid1(VALU_DEP_4)
	v_mad_u64_u32 v[11:12], null, v31, v32, 0
	v_mad_u64_u32 v[22:23], null, v33, v2, 0
	;; [unrolled: 1-line block ×3, first 2 shown]
	s_delay_alu instid0(VALU_DEP_3) | instskip(NEXT) | instid1(VALU_DEP_4)
	v_add_co_u32 v2, vcc_lo, v34, v11
	v_add_co_ci_u32_e32 v11, vcc_lo, 0, v12, vcc_lo
	s_delay_alu instid0(VALU_DEP_2) | instskip(NEXT) | instid1(VALU_DEP_2)
	v_add_co_u32 v2, vcc_lo, v2, v22
	v_add_co_ci_u32_e32 v2, vcc_lo, v11, v23, vcc_lo
	v_add_co_ci_u32_e32 v11, vcc_lo, 0, v30, vcc_lo
	s_delay_alu instid0(VALU_DEP_2) | instskip(NEXT) | instid1(VALU_DEP_2)
	v_add_co_u32 v2, vcc_lo, v2, v29
	v_add_co_ci_u32_e32 v22, vcc_lo, 0, v11, vcc_lo
	s_delay_alu instid0(VALU_DEP_2) | instskip(SKIP_1) | instid1(VALU_DEP_3)
	v_mul_lo_u32 v23, s57, v2
	v_mad_u64_u32 v[11:12], null, s56, v2, 0
	v_mul_lo_u32 v29, s56, v22
	s_delay_alu instid0(VALU_DEP_2) | instskip(NEXT) | instid1(VALU_DEP_2)
	v_sub_co_u32 v11, vcc_lo, v31, v11
	v_add3_u32 v12, v12, v29, v23
	s_delay_alu instid0(VALU_DEP_1) | instskip(NEXT) | instid1(VALU_DEP_1)
	v_sub_nc_u32_e32 v23, v33, v12
	v_subrev_co_ci_u32_e64 v23, s0, s57, v23, vcc_lo
	v_add_co_u32 v29, s0, v2, 2
	s_delay_alu instid0(VALU_DEP_1) | instskip(SKIP_3) | instid1(VALU_DEP_3)
	v_add_co_ci_u32_e64 v30, s0, 0, v22, s0
	v_sub_co_u32 v31, s0, v11, s56
	v_sub_co_ci_u32_e32 v12, vcc_lo, v33, v12, vcc_lo
	v_subrev_co_ci_u32_e64 v23, s0, 0, v23, s0
	v_cmp_le_u32_e32 vcc_lo, s56, v31
	s_delay_alu instid0(VALU_DEP_3) | instskip(SKIP_1) | instid1(VALU_DEP_4)
	v_cmp_eq_u32_e64 s0, s57, v12
	v_cndmask_b32_e64 v31, 0, -1, vcc_lo
	v_cmp_le_u32_e32 vcc_lo, s57, v23
	v_cndmask_b32_e64 v32, 0, -1, vcc_lo
	v_cmp_le_u32_e32 vcc_lo, s56, v11
	;; [unrolled: 2-line block ×3, first 2 shown]
	v_cndmask_b32_e64 v33, 0, -1, vcc_lo
	v_cmp_eq_u32_e32 vcc_lo, s57, v23
	s_delay_alu instid0(VALU_DEP_2) | instskip(SKIP_3) | instid1(VALU_DEP_3)
	v_cndmask_b32_e64 v11, v33, v11, s0
	v_cndmask_b32_e32 v23, v32, v31, vcc_lo
	v_add_co_u32 v31, vcc_lo, v2, 1
	v_add_co_ci_u32_e32 v32, vcc_lo, 0, v22, vcc_lo
	v_cmp_ne_u32_e32 vcc_lo, 0, v23
	s_delay_alu instid0(VALU_DEP_2) | instskip(SKIP_1) | instid1(VALU_DEP_2)
	v_dual_cndmask_b32 v12, v32, v30 :: v_dual_cndmask_b32 v23, v31, v29
	v_cmp_ne_u32_e32 vcc_lo, 0, v11
	v_cndmask_b32_e32 v11, v22, v12, vcc_lo
	s_delay_alu instid0(VALU_DEP_3) | instskip(NEXT) | instid1(VALU_DEP_2)
	v_cndmask_b32_e32 v2, v2, v23, vcc_lo
                                        ; implicit-def: $vgpr22
	v_xor_b32_e32 v12, v11, v20
	s_delay_alu instid0(VALU_DEP_2) | instskip(NEXT) | instid1(VALU_DEP_1)
	v_xor_b32_e32 v2, v2, v20
	v_sub_co_u32 v11, vcc_lo, v2, v20
	s_delay_alu instid0(VALU_DEP_3)
	v_sub_co_ci_u32_e32 v12, vcc_lo, v12, v20, vcc_lo
.LBB55_45:                              ;   in Loop: Header=BB55_3 Depth=1
	s_or_saveexec_b32 s0, s53
	v_cvt_f32_u32_e32 v20, s34
	s_xor_b32 exec_lo, exec_lo, s0
	s_cbranch_execz .LBB55_47
; %bb.46:                               ;   in Loop: Header=BB55_3 Depth=1
	s_delay_alu instid0(VALU_DEP_1) | instskip(SKIP_3) | instid1(VALU_DEP_1)
	v_rcp_iflag_f32_e32 v2, v20
	s_sub_i32 s53, 0, s34
	s_waitcnt_depctr 0xfff
	v_mul_f32_e32 v2, 0x4f7ffffe, v2
	v_cvt_u32_f32_e32 v2, v2
	s_delay_alu instid0(VALU_DEP_1) | instskip(NEXT) | instid1(VALU_DEP_1)
	v_mul_lo_u32 v11, s53, v2
	v_mul_hi_u32 v11, v2, v11
	s_delay_alu instid0(VALU_DEP_1) | instskip(NEXT) | instid1(VALU_DEP_1)
	v_add_nc_u32_e32 v2, v2, v11
	v_mul_hi_u32 v2, v22, v2
	s_delay_alu instid0(VALU_DEP_1) | instskip(SKIP_1) | instid1(VALU_DEP_2)
	v_mul_lo_u32 v11, v2, s34
	v_add_nc_u32_e32 v12, 1, v2
	v_sub_nc_u32_e32 v11, v22, v11
	s_delay_alu instid0(VALU_DEP_1) | instskip(SKIP_1) | instid1(VALU_DEP_2)
	v_subrev_nc_u32_e32 v22, s34, v11
	v_cmp_le_u32_e32 vcc_lo, s34, v11
	v_dual_cndmask_b32 v11, v11, v22 :: v_dual_cndmask_b32 v2, v2, v12
	s_delay_alu instid0(VALU_DEP_1) | instskip(NEXT) | instid1(VALU_DEP_2)
	v_cmp_le_u32_e32 vcc_lo, s34, v11
	v_add_nc_u32_e32 v12, 1, v2
	s_delay_alu instid0(VALU_DEP_1)
	v_dual_cndmask_b32 v11, v2, v12 :: v_dual_mov_b32 v12, v1
.LBB55_47:                              ;   in Loop: Header=BB55_3 Depth=1
	s_or_b32 exec_lo, exec_lo, s0
	s_delay_alu instid0(VALU_DEP_1) | instskip(NEXT) | instid1(VALU_DEP_2)
	v_mul_lo_u32 v2, v12, s34
	v_mul_lo_u32 v29, v11, s35
	v_mad_u64_u32 v[22:23], null, v11, s34, 0
	s_mov_b32 s0, exec_lo
	s_delay_alu instid0(VALU_DEP_1) | instskip(NEXT) | instid1(VALU_DEP_2)
	v_add3_u32 v2, v23, v29, v2
	v_sub_co_u32 v7, vcc_lo, v7, v22
	v_mul_lo_u32 v23, v12, s12
	v_mul_lo_u32 v22, v11, s13
	s_delay_alu instid0(VALU_DEP_4) | instskip(NEXT) | instid1(VALU_DEP_4)
	v_sub_co_ci_u32_e32 v2, vcc_lo, v8, v2, vcc_lo
	v_add_co_u32 v29, vcc_lo, v3, v7
	v_mad_u64_u32 v[7:8], null, v11, s12, 0
	s_delay_alu instid0(VALU_DEP_3) | instskip(NEXT) | instid1(VALU_DEP_3)
	v_add_co_ci_u32_e32 v2, vcc_lo, v4, v2, vcc_lo
	v_mul_lo_u32 v30, v29, s15
	v_mad_u64_u32 v[11:12], null, v29, s14, 0
	s_delay_alu instid0(VALU_DEP_3) | instskip(SKIP_1) | instid1(VALU_DEP_1)
	v_mul_lo_u32 v2, v2, s14
	v_add3_u32 v8, v8, v22, v23
	v_lshlrev_b64 v[7:8], 2, v[7:8]
	s_delay_alu instid0(VALU_DEP_3) | instskip(SKIP_1) | instid1(VALU_DEP_3)
	v_add3_u32 v12, v12, v30, v2
	v_or_b32_e32 v2, s35, v25
	v_add_co_u32 v7, vcc_lo, s30, v7
	s_delay_alu instid0(VALU_DEP_3) | instskip(SKIP_1) | instid1(VALU_DEP_2)
	v_lshlrev_b64 v[11:12], 2, v[11:12]
	v_add_co_ci_u32_e32 v8, vcc_lo, s31, v8, vcc_lo
	v_add_co_u32 v7, vcc_lo, v7, v11
	s_delay_alu instid0(VALU_DEP_2)
	v_add_co_ci_u32_e32 v8, vcc_lo, v8, v12, vcc_lo
	global_store_b32 v[7:8], v27, off
                                        ; implicit-def: $vgpr7_vgpr8
	v_cmpx_ne_u64_e32 0, v[1:2]
	s_xor_b32 s53, exec_lo, s0
	s_cbranch_execz .LBB55_49
; %bb.48:                               ;   in Loop: Header=BB55_3 Depth=1
	s_ashr_i32 s54, s35, 31
	s_delay_alu instid0(SALU_CYCLE_1) | instskip(SKIP_2) | instid1(SALU_CYCLE_1)
	s_add_u32 s56, s34, s54
	s_mov_b32 s55, s54
	s_addc_u32 s57, s35, s54
	s_xor_b64 s[56:57], s[56:57], s[54:55]
	s_delay_alu instid0(SALU_CYCLE_1) | instskip(SKIP_3) | instid1(VALU_DEP_1)
	v_cvt_f32_u32_e32 v2, s56
	v_cvt_f32_u32_e32 v7, s57
	s_sub_u32 s0, 0, s56
	s_subb_u32 s55, 0, s57
	v_fmac_f32_e32 v2, 0x4f800000, v7
	s_delay_alu instid0(VALU_DEP_1) | instskip(SKIP_2) | instid1(VALU_DEP_1)
	v_rcp_f32_e32 v2, v2
	s_waitcnt_depctr 0xfff
	v_mul_f32_e32 v2, 0x5f7ffffc, v2
	v_mul_f32_e32 v7, 0x2f800000, v2
	s_delay_alu instid0(VALU_DEP_1) | instskip(NEXT) | instid1(VALU_DEP_1)
	v_trunc_f32_e32 v7, v7
	v_fmac_f32_e32 v2, 0xcf800000, v7
	v_cvt_u32_f32_e32 v7, v7
	s_delay_alu instid0(VALU_DEP_2) | instskip(NEXT) | instid1(VALU_DEP_2)
	v_cvt_u32_f32_e32 v2, v2
	v_mul_lo_u32 v8, s0, v7
	s_delay_alu instid0(VALU_DEP_2) | instskip(SKIP_1) | instid1(VALU_DEP_2)
	v_mul_hi_u32 v11, s0, v2
	v_mul_lo_u32 v12, s55, v2
	v_add_nc_u32_e32 v8, v11, v8
	v_mul_lo_u32 v11, s0, v2
	s_delay_alu instid0(VALU_DEP_2) | instskip(NEXT) | instid1(VALU_DEP_2)
	v_add_nc_u32_e32 v8, v8, v12
	v_mul_hi_u32 v12, v2, v11
	s_delay_alu instid0(VALU_DEP_2)
	v_mul_lo_u32 v22, v2, v8
	v_mul_hi_u32 v23, v2, v8
	v_mul_hi_u32 v27, v7, v11
	v_mul_lo_u32 v11, v7, v11
	v_mul_hi_u32 v29, v7, v8
	v_mul_lo_u32 v8, v7, v8
	v_add_co_u32 v12, vcc_lo, v12, v22
	v_add_co_ci_u32_e32 v22, vcc_lo, 0, v23, vcc_lo
	s_delay_alu instid0(VALU_DEP_2) | instskip(NEXT) | instid1(VALU_DEP_2)
	v_add_co_u32 v11, vcc_lo, v12, v11
	v_add_co_ci_u32_e32 v11, vcc_lo, v22, v27, vcc_lo
	v_add_co_ci_u32_e32 v12, vcc_lo, 0, v29, vcc_lo
	s_delay_alu instid0(VALU_DEP_2) | instskip(NEXT) | instid1(VALU_DEP_2)
	v_add_co_u32 v8, vcc_lo, v11, v8
	v_add_co_ci_u32_e32 v11, vcc_lo, 0, v12, vcc_lo
	s_delay_alu instid0(VALU_DEP_2) | instskip(NEXT) | instid1(VALU_DEP_2)
	v_add_co_u32 v2, vcc_lo, v2, v8
	v_add_co_ci_u32_e32 v7, vcc_lo, v7, v11, vcc_lo
	s_delay_alu instid0(VALU_DEP_2) | instskip(SKIP_1) | instid1(VALU_DEP_3)
	v_mul_hi_u32 v8, s0, v2
	v_mul_lo_u32 v12, s55, v2
	v_mul_lo_u32 v11, s0, v7
	s_delay_alu instid0(VALU_DEP_1) | instskip(SKIP_1) | instid1(VALU_DEP_2)
	v_add_nc_u32_e32 v8, v8, v11
	v_mul_lo_u32 v11, s0, v2
	v_add_nc_u32_e32 v8, v8, v12
	s_delay_alu instid0(VALU_DEP_2) | instskip(NEXT) | instid1(VALU_DEP_2)
	v_mul_hi_u32 v12, v2, v11
	v_mul_lo_u32 v22, v2, v8
	v_mul_hi_u32 v23, v2, v8
	v_mul_hi_u32 v27, v7, v11
	v_mul_lo_u32 v11, v7, v11
	v_mul_hi_u32 v29, v7, v8
	v_mul_lo_u32 v8, v7, v8
	v_add_co_u32 v12, vcc_lo, v12, v22
	v_add_co_ci_u32_e32 v22, vcc_lo, 0, v23, vcc_lo
	s_delay_alu instid0(VALU_DEP_2) | instskip(NEXT) | instid1(VALU_DEP_2)
	v_add_co_u32 v11, vcc_lo, v12, v11
	v_add_co_ci_u32_e32 v11, vcc_lo, v22, v27, vcc_lo
	v_add_co_ci_u32_e32 v12, vcc_lo, 0, v29, vcc_lo
	v_add_co_u32 v22, vcc_lo, v24, v21
	v_add_co_ci_u32_e32 v23, vcc_lo, v25, v21, vcc_lo
	s_delay_alu instid0(VALU_DEP_4) | instskip(NEXT) | instid1(VALU_DEP_4)
	v_add_co_u32 v8, vcc_lo, v11, v8
	v_add_co_ci_u32_e32 v11, vcc_lo, 0, v12, vcc_lo
	s_delay_alu instid0(VALU_DEP_4) | instskip(NEXT) | instid1(VALU_DEP_3)
	v_xor_b32_e32 v24, v22, v21
	v_add_co_u32 v2, vcc_lo, v2, v8
	s_delay_alu instid0(VALU_DEP_3) | instskip(SKIP_1) | instid1(VALU_DEP_3)
	v_add_co_ci_u32_e32 v25, vcc_lo, v7, v11, vcc_lo
	v_xor_b32_e32 v27, v23, v21
	v_mul_hi_u32 v29, v24, v2
	v_xor_b32_e32 v21, s54, v21
	s_delay_alu instid0(VALU_DEP_4) | instskip(NEXT) | instid1(VALU_DEP_4)
	v_mad_u64_u32 v[7:8], null, v24, v25, 0
	v_mad_u64_u32 v[11:12], null, v27, v2, 0
	;; [unrolled: 1-line block ×3, first 2 shown]
	s_delay_alu instid0(VALU_DEP_3) | instskip(NEXT) | instid1(VALU_DEP_4)
	v_add_co_u32 v2, vcc_lo, v29, v7
	v_add_co_ci_u32_e32 v7, vcc_lo, 0, v8, vcc_lo
	s_delay_alu instid0(VALU_DEP_2) | instskip(NEXT) | instid1(VALU_DEP_2)
	v_add_co_u32 v2, vcc_lo, v2, v11
	v_add_co_ci_u32_e32 v2, vcc_lo, v7, v12, vcc_lo
	v_add_co_ci_u32_e32 v7, vcc_lo, 0, v23, vcc_lo
	s_delay_alu instid0(VALU_DEP_2) | instskip(NEXT) | instid1(VALU_DEP_2)
	v_add_co_u32 v2, vcc_lo, v2, v22
	v_add_co_ci_u32_e32 v11, vcc_lo, 0, v7, vcc_lo
	s_delay_alu instid0(VALU_DEP_2) | instskip(SKIP_1) | instid1(VALU_DEP_3)
	v_mul_lo_u32 v12, s57, v2
	v_mad_u64_u32 v[7:8], null, s56, v2, 0
	v_mul_lo_u32 v22, s56, v11
	s_delay_alu instid0(VALU_DEP_2) | instskip(NEXT) | instid1(VALU_DEP_2)
	v_sub_co_u32 v7, vcc_lo, v24, v7
	v_add3_u32 v8, v8, v22, v12
	s_delay_alu instid0(VALU_DEP_1) | instskip(NEXT) | instid1(VALU_DEP_1)
	v_sub_nc_u32_e32 v12, v27, v8
	v_subrev_co_ci_u32_e64 v12, s0, s57, v12, vcc_lo
	v_add_co_u32 v22, s0, v2, 2
	s_delay_alu instid0(VALU_DEP_1) | instskip(SKIP_3) | instid1(VALU_DEP_3)
	v_add_co_ci_u32_e64 v23, s0, 0, v11, s0
	v_sub_co_u32 v24, s0, v7, s56
	v_sub_co_ci_u32_e32 v8, vcc_lo, v27, v8, vcc_lo
	v_subrev_co_ci_u32_e64 v12, s0, 0, v12, s0
	v_cmp_le_u32_e32 vcc_lo, s56, v24
	s_delay_alu instid0(VALU_DEP_3) | instskip(SKIP_1) | instid1(VALU_DEP_4)
	v_cmp_eq_u32_e64 s0, s57, v8
	v_cndmask_b32_e64 v24, 0, -1, vcc_lo
	v_cmp_le_u32_e32 vcc_lo, s57, v12
	v_cndmask_b32_e64 v25, 0, -1, vcc_lo
	v_cmp_le_u32_e32 vcc_lo, s56, v7
	;; [unrolled: 2-line block ×3, first 2 shown]
	v_cndmask_b32_e64 v27, 0, -1, vcc_lo
	v_cmp_eq_u32_e32 vcc_lo, s57, v12
	s_delay_alu instid0(VALU_DEP_2) | instskip(SKIP_3) | instid1(VALU_DEP_3)
	v_cndmask_b32_e64 v7, v27, v7, s0
	v_cndmask_b32_e32 v12, v25, v24, vcc_lo
	v_add_co_u32 v24, vcc_lo, v2, 1
	v_add_co_ci_u32_e32 v25, vcc_lo, 0, v11, vcc_lo
	v_cmp_ne_u32_e32 vcc_lo, 0, v12
	s_delay_alu instid0(VALU_DEP_2) | instskip(NEXT) | instid1(VALU_DEP_4)
	v_cndmask_b32_e32 v8, v25, v23, vcc_lo
	v_cndmask_b32_e32 v12, v24, v22, vcc_lo
	v_cmp_ne_u32_e32 vcc_lo, 0, v7
                                        ; implicit-def: $vgpr24
	s_delay_alu instid0(VALU_DEP_2) | instskip(NEXT) | instid1(VALU_DEP_4)
	v_cndmask_b32_e32 v2, v2, v12, vcc_lo
	v_cndmask_b32_e32 v7, v11, v8, vcc_lo
	s_delay_alu instid0(VALU_DEP_2) | instskip(NEXT) | instid1(VALU_DEP_2)
	v_xor_b32_e32 v2, v2, v21
	v_xor_b32_e32 v8, v7, v21
	s_delay_alu instid0(VALU_DEP_2) | instskip(NEXT) | instid1(VALU_DEP_2)
	v_sub_co_u32 v7, vcc_lo, v2, v21
	v_sub_co_ci_u32_e32 v8, vcc_lo, v8, v21, vcc_lo
.LBB55_49:                              ;   in Loop: Header=BB55_3 Depth=1
	s_and_not1_saveexec_b32 s0, s53
	s_cbranch_execz .LBB55_51
; %bb.50:                               ;   in Loop: Header=BB55_3 Depth=1
	v_rcp_iflag_f32_e32 v2, v20
	s_sub_i32 s53, 0, s34
	s_waitcnt_depctr 0xfff
	v_mul_f32_e32 v2, 0x4f7ffffe, v2
	s_delay_alu instid0(VALU_DEP_1) | instskip(NEXT) | instid1(VALU_DEP_1)
	v_cvt_u32_f32_e32 v2, v2
	v_mul_lo_u32 v7, s53, v2
	s_delay_alu instid0(VALU_DEP_1) | instskip(NEXT) | instid1(VALU_DEP_1)
	v_mul_hi_u32 v7, v2, v7
	v_add_nc_u32_e32 v2, v2, v7
	s_delay_alu instid0(VALU_DEP_1) | instskip(NEXT) | instid1(VALU_DEP_1)
	v_mul_hi_u32 v2, v24, v2
	v_mul_lo_u32 v7, v2, s34
	v_add_nc_u32_e32 v8, 1, v2
	s_delay_alu instid0(VALU_DEP_2) | instskip(NEXT) | instid1(VALU_DEP_1)
	v_sub_nc_u32_e32 v7, v24, v7
	v_subrev_nc_u32_e32 v11, s34, v7
	v_cmp_le_u32_e32 vcc_lo, s34, v7
	s_delay_alu instid0(VALU_DEP_2) | instskip(NEXT) | instid1(VALU_DEP_1)
	v_dual_cndmask_b32 v7, v7, v11 :: v_dual_cndmask_b32 v2, v2, v8
	v_cmp_le_u32_e32 vcc_lo, s34, v7
	s_delay_alu instid0(VALU_DEP_2) | instskip(NEXT) | instid1(VALU_DEP_1)
	v_add_nc_u32_e32 v8, 1, v2
	v_dual_cndmask_b32 v7, v2, v8 :: v_dual_mov_b32 v8, v1
.LBB55_51:                              ;   in Loop: Header=BB55_3 Depth=1
	s_or_b32 exec_lo, exec_lo, s0
	s_delay_alu instid0(VALU_DEP_1) | instskip(NEXT) | instid1(VALU_DEP_2)
	v_mul_lo_u32 v2, v8, s34
	v_mul_lo_u32 v21, v7, s35
	v_mad_u64_u32 v[11:12], null, v7, s34, 0
	s_mov_b32 s0, exec_lo
	s_delay_alu instid0(VALU_DEP_1) | instskip(NEXT) | instid1(VALU_DEP_2)
	v_add3_u32 v2, v12, v21, v2
	v_sub_co_u32 v5, vcc_lo, v5, v11
	v_mul_lo_u32 v12, v8, s12
	v_mul_lo_u32 v11, v7, s13
	s_delay_alu instid0(VALU_DEP_4) | instskip(NEXT) | instid1(VALU_DEP_4)
	v_sub_co_ci_u32_e32 v2, vcc_lo, v6, v2, vcc_lo
	v_add_co_u32 v21, vcc_lo, v3, v5
	v_mad_u64_u32 v[5:6], null, v7, s12, 0
	s_delay_alu instid0(VALU_DEP_3) | instskip(NEXT) | instid1(VALU_DEP_3)
	v_add_co_ci_u32_e32 v2, vcc_lo, v4, v2, vcc_lo
	v_mul_lo_u32 v22, v21, s15
	v_mad_u64_u32 v[7:8], null, v21, s14, 0
	s_delay_alu instid0(VALU_DEP_3) | instskip(SKIP_1) | instid1(VALU_DEP_1)
	v_mul_lo_u32 v2, v2, s14
	v_add3_u32 v6, v6, v11, v12
	v_lshlrev_b64 v[5:6], 2, v[5:6]
	s_delay_alu instid0(VALU_DEP_3) | instskip(SKIP_1) | instid1(VALU_DEP_3)
	v_add3_u32 v8, v8, v22, v2
	v_or_b32_e32 v2, s35, v26
	v_add_co_u32 v5, vcc_lo, s30, v5
	s_delay_alu instid0(VALU_DEP_3) | instskip(SKIP_1) | instid1(VALU_DEP_2)
	v_lshlrev_b64 v[7:8], 2, v[7:8]
	v_add_co_ci_u32_e32 v6, vcc_lo, s31, v6, vcc_lo
	v_add_co_u32 v5, vcc_lo, v5, v7
	s_delay_alu instid0(VALU_DEP_2)
	v_add_co_ci_u32_e32 v6, vcc_lo, v6, v8, vcc_lo
	global_store_b32 v[5:6], v28, off
                                        ; implicit-def: $vgpr5_vgpr6
	v_cmpx_ne_u64_e32 0, v[1:2]
	s_xor_b32 s53, exec_lo, s0
	s_cbranch_execz .LBB55_53
; %bb.52:                               ;   in Loop: Header=BB55_3 Depth=1
	s_ashr_i32 s54, s35, 31
	s_delay_alu instid0(SALU_CYCLE_1) | instskip(SKIP_2) | instid1(SALU_CYCLE_1)
	s_add_u32 s56, s34, s54
	s_mov_b32 s55, s54
	s_addc_u32 s57, s35, s54
	s_xor_b64 s[56:57], s[56:57], s[54:55]
	s_delay_alu instid0(SALU_CYCLE_1) | instskip(SKIP_3) | instid1(VALU_DEP_1)
	v_cvt_f32_u32_e32 v2, s56
	v_cvt_f32_u32_e32 v5, s57
	s_sub_u32 s0, 0, s56
	s_subb_u32 s55, 0, s57
	v_fmac_f32_e32 v2, 0x4f800000, v5
	s_delay_alu instid0(VALU_DEP_1) | instskip(SKIP_2) | instid1(VALU_DEP_1)
	v_rcp_f32_e32 v2, v2
	s_waitcnt_depctr 0xfff
	v_mul_f32_e32 v2, 0x5f7ffffc, v2
	v_mul_f32_e32 v5, 0x2f800000, v2
	s_delay_alu instid0(VALU_DEP_1) | instskip(NEXT) | instid1(VALU_DEP_1)
	v_trunc_f32_e32 v5, v5
	v_fmac_f32_e32 v2, 0xcf800000, v5
	v_cvt_u32_f32_e32 v5, v5
	s_delay_alu instid0(VALU_DEP_2) | instskip(NEXT) | instid1(VALU_DEP_2)
	v_cvt_u32_f32_e32 v2, v2
	v_mul_lo_u32 v6, s0, v5
	s_delay_alu instid0(VALU_DEP_2) | instskip(SKIP_1) | instid1(VALU_DEP_2)
	v_mul_hi_u32 v7, s0, v2
	v_mul_lo_u32 v8, s55, v2
	v_add_nc_u32_e32 v6, v7, v6
	v_mul_lo_u32 v7, s0, v2
	s_delay_alu instid0(VALU_DEP_2) | instskip(NEXT) | instid1(VALU_DEP_2)
	v_add_nc_u32_e32 v6, v6, v8
	v_mul_hi_u32 v8, v2, v7
	s_delay_alu instid0(VALU_DEP_2)
	v_mul_lo_u32 v11, v2, v6
	v_mul_hi_u32 v12, v2, v6
	v_mul_hi_u32 v20, v5, v7
	v_mul_lo_u32 v7, v5, v7
	v_mul_hi_u32 v21, v5, v6
	v_mul_lo_u32 v6, v5, v6
	v_add_co_u32 v8, vcc_lo, v8, v11
	v_add_co_ci_u32_e32 v11, vcc_lo, 0, v12, vcc_lo
	s_delay_alu instid0(VALU_DEP_2) | instskip(NEXT) | instid1(VALU_DEP_2)
	v_add_co_u32 v7, vcc_lo, v8, v7
	v_add_co_ci_u32_e32 v7, vcc_lo, v11, v20, vcc_lo
	v_add_co_ci_u32_e32 v8, vcc_lo, 0, v21, vcc_lo
	s_delay_alu instid0(VALU_DEP_2) | instskip(NEXT) | instid1(VALU_DEP_2)
	v_add_co_u32 v6, vcc_lo, v7, v6
	v_add_co_ci_u32_e32 v7, vcc_lo, 0, v8, vcc_lo
	s_delay_alu instid0(VALU_DEP_2) | instskip(NEXT) | instid1(VALU_DEP_2)
	v_add_co_u32 v2, vcc_lo, v2, v6
	v_add_co_ci_u32_e32 v5, vcc_lo, v5, v7, vcc_lo
	s_delay_alu instid0(VALU_DEP_2) | instskip(SKIP_1) | instid1(VALU_DEP_3)
	v_mul_hi_u32 v6, s0, v2
	v_mul_lo_u32 v8, s55, v2
	v_mul_lo_u32 v7, s0, v5
	s_delay_alu instid0(VALU_DEP_1) | instskip(SKIP_1) | instid1(VALU_DEP_2)
	v_add_nc_u32_e32 v6, v6, v7
	v_mul_lo_u32 v7, s0, v2
	v_add_nc_u32_e32 v6, v6, v8
	s_delay_alu instid0(VALU_DEP_2) | instskip(NEXT) | instid1(VALU_DEP_2)
	v_mul_hi_u32 v8, v2, v7
	v_mul_lo_u32 v11, v2, v6
	v_mul_hi_u32 v12, v2, v6
	v_mul_hi_u32 v20, v5, v7
	v_mul_lo_u32 v7, v5, v7
	v_mul_hi_u32 v21, v5, v6
	v_mul_lo_u32 v6, v5, v6
	v_add_co_u32 v8, vcc_lo, v8, v11
	v_add_co_ci_u32_e32 v11, vcc_lo, 0, v12, vcc_lo
	s_delay_alu instid0(VALU_DEP_2) | instskip(NEXT) | instid1(VALU_DEP_2)
	v_add_co_u32 v7, vcc_lo, v8, v7
	v_add_co_ci_u32_e32 v7, vcc_lo, v11, v20, vcc_lo
	v_add_co_ci_u32_e32 v8, vcc_lo, 0, v21, vcc_lo
	v_add_co_u32 v11, vcc_lo, v19, v18
	v_add_co_ci_u32_e32 v12, vcc_lo, v26, v18, vcc_lo
	s_delay_alu instid0(VALU_DEP_4) | instskip(NEXT) | instid1(VALU_DEP_4)
	v_add_co_u32 v6, vcc_lo, v7, v6
	v_add_co_ci_u32_e32 v7, vcc_lo, 0, v8, vcc_lo
	s_delay_alu instid0(VALU_DEP_4) | instskip(NEXT) | instid1(VALU_DEP_3)
	v_xor_b32_e32 v19, v11, v18
	v_add_co_u32 v2, vcc_lo, v2, v6
	s_delay_alu instid0(VALU_DEP_3) | instskip(SKIP_1) | instid1(VALU_DEP_3)
	v_add_co_ci_u32_e32 v20, vcc_lo, v5, v7, vcc_lo
	v_xor_b32_e32 v21, v12, v18
	v_mul_hi_u32 v22, v19, v2
	s_delay_alu instid0(VALU_DEP_3) | instskip(NEXT) | instid1(VALU_DEP_3)
	v_mad_u64_u32 v[5:6], null, v19, v20, 0
	v_mad_u64_u32 v[7:8], null, v21, v2, 0
	;; [unrolled: 1-line block ×3, first 2 shown]
	s_delay_alu instid0(VALU_DEP_3) | instskip(NEXT) | instid1(VALU_DEP_4)
	v_add_co_u32 v2, vcc_lo, v22, v5
	v_add_co_ci_u32_e32 v5, vcc_lo, 0, v6, vcc_lo
	s_delay_alu instid0(VALU_DEP_2) | instskip(NEXT) | instid1(VALU_DEP_2)
	v_add_co_u32 v2, vcc_lo, v2, v7
	v_add_co_ci_u32_e32 v2, vcc_lo, v5, v8, vcc_lo
	v_add_co_ci_u32_e32 v5, vcc_lo, 0, v12, vcc_lo
	s_delay_alu instid0(VALU_DEP_2) | instskip(NEXT) | instid1(VALU_DEP_2)
	v_add_co_u32 v2, vcc_lo, v2, v11
	v_add_co_ci_u32_e32 v7, vcc_lo, 0, v5, vcc_lo
	s_delay_alu instid0(VALU_DEP_2) | instskip(SKIP_1) | instid1(VALU_DEP_3)
	v_mul_lo_u32 v8, s57, v2
	v_mad_u64_u32 v[5:6], null, s56, v2, 0
	v_mul_lo_u32 v11, s56, v7
	s_delay_alu instid0(VALU_DEP_2) | instskip(NEXT) | instid1(VALU_DEP_2)
	v_sub_co_u32 v5, vcc_lo, v19, v5
	v_add3_u32 v6, v6, v11, v8
	s_delay_alu instid0(VALU_DEP_1) | instskip(NEXT) | instid1(VALU_DEP_1)
	v_sub_nc_u32_e32 v8, v21, v6
	v_subrev_co_ci_u32_e64 v8, s0, s57, v8, vcc_lo
	v_add_co_u32 v11, s0, v2, 2
	s_delay_alu instid0(VALU_DEP_1) | instskip(SKIP_3) | instid1(VALU_DEP_3)
	v_add_co_ci_u32_e64 v12, s0, 0, v7, s0
	v_sub_co_u32 v19, s0, v5, s56
	v_sub_co_ci_u32_e32 v6, vcc_lo, v21, v6, vcc_lo
	v_subrev_co_ci_u32_e64 v8, s0, 0, v8, s0
	v_cmp_le_u32_e32 vcc_lo, s56, v19
	s_delay_alu instid0(VALU_DEP_3) | instskip(SKIP_1) | instid1(VALU_DEP_4)
	v_cmp_eq_u32_e64 s0, s57, v6
	v_cndmask_b32_e64 v19, 0, -1, vcc_lo
	v_cmp_le_u32_e32 vcc_lo, s57, v8
	v_cndmask_b32_e64 v20, 0, -1, vcc_lo
	v_cmp_le_u32_e32 vcc_lo, s56, v5
	;; [unrolled: 2-line block ×3, first 2 shown]
	v_cndmask_b32_e64 v21, 0, -1, vcc_lo
	v_cmp_eq_u32_e32 vcc_lo, s57, v8
	s_delay_alu instid0(VALU_DEP_2) | instskip(SKIP_3) | instid1(VALU_DEP_3)
	v_cndmask_b32_e64 v5, v21, v5, s0
	v_cndmask_b32_e32 v8, v20, v19, vcc_lo
	v_add_co_u32 v19, vcc_lo, v2, 1
	v_add_co_ci_u32_e32 v20, vcc_lo, 0, v7, vcc_lo
	v_cmp_ne_u32_e32 vcc_lo, 0, v8
	s_delay_alu instid0(VALU_DEP_2) | instskip(NEXT) | instid1(VALU_DEP_4)
	v_cndmask_b32_e32 v6, v20, v12, vcc_lo
	v_cndmask_b32_e32 v8, v19, v11, vcc_lo
	v_cmp_ne_u32_e32 vcc_lo, 0, v5
	v_xor_b32_e32 v11, s54, v18
                                        ; implicit-def: $vgpr20
                                        ; implicit-def: $vgpr19
	s_delay_alu instid0(VALU_DEP_3) | instskip(NEXT) | instid1(VALU_DEP_1)
	v_dual_cndmask_b32 v2, v2, v8 :: v_dual_cndmask_b32 v5, v7, v6
	v_xor_b32_e32 v2, v2, v11
	s_delay_alu instid0(VALU_DEP_2) | instskip(NEXT) | instid1(VALU_DEP_2)
	v_xor_b32_e32 v6, v5, v11
	v_sub_co_u32 v5, vcc_lo, v2, v11
	s_delay_alu instid0(VALU_DEP_2)
	v_sub_co_ci_u32_e32 v6, vcc_lo, v6, v11, vcc_lo
.LBB55_53:                              ;   in Loop: Header=BB55_3 Depth=1
	s_and_not1_saveexec_b32 s0, s53
	s_cbranch_execz .LBB55_55
; %bb.54:                               ;   in Loop: Header=BB55_3 Depth=1
	v_rcp_iflag_f32_e32 v2, v20
	s_sub_i32 s53, 0, s34
	s_waitcnt_depctr 0xfff
	v_mul_f32_e32 v2, 0x4f7ffffe, v2
	s_delay_alu instid0(VALU_DEP_1) | instskip(NEXT) | instid1(VALU_DEP_1)
	v_cvt_u32_f32_e32 v2, v2
	v_mul_lo_u32 v5, s53, v2
	s_delay_alu instid0(VALU_DEP_1) | instskip(NEXT) | instid1(VALU_DEP_1)
	v_mul_hi_u32 v5, v2, v5
	v_add_nc_u32_e32 v2, v2, v5
	s_delay_alu instid0(VALU_DEP_1) | instskip(NEXT) | instid1(VALU_DEP_1)
	v_mul_hi_u32 v2, v19, v2
	v_mul_lo_u32 v5, v2, s34
	v_add_nc_u32_e32 v6, 1, v2
	s_delay_alu instid0(VALU_DEP_2) | instskip(NEXT) | instid1(VALU_DEP_1)
	v_sub_nc_u32_e32 v5, v19, v5
	v_subrev_nc_u32_e32 v7, s34, v5
	v_cmp_le_u32_e32 vcc_lo, s34, v5
	s_delay_alu instid0(VALU_DEP_2) | instskip(NEXT) | instid1(VALU_DEP_1)
	v_dual_cndmask_b32 v5, v5, v7 :: v_dual_cndmask_b32 v2, v2, v6
	v_cmp_le_u32_e32 vcc_lo, s34, v5
	s_delay_alu instid0(VALU_DEP_2) | instskip(NEXT) | instid1(VALU_DEP_1)
	v_add_nc_u32_e32 v6, 1, v2
	v_dual_cndmask_b32 v5, v2, v6 :: v_dual_mov_b32 v6, v1
.LBB55_55:                              ;   in Loop: Header=BB55_3 Depth=1
	s_or_b32 exec_lo, exec_lo, s0
	s_delay_alu instid0(VALU_DEP_1) | instskip(NEXT) | instid1(VALU_DEP_2)
	v_mul_lo_u32 v2, v6, s34
	v_mul_lo_u32 v11, v5, s35
	v_mad_u64_u32 v[7:8], null, v5, s34, 0
	s_mov_b32 s0, exec_lo
	s_delay_alu instid0(VALU_DEP_1) | instskip(SKIP_1) | instid1(VALU_DEP_3)
	v_add3_u32 v2, v8, v11, v2
	v_mul_lo_u32 v11, v6, s12
	v_sub_co_u32 v6, vcc_lo, v9, v7
	s_delay_alu instid0(VALU_DEP_3) | instskip(NEXT) | instid1(VALU_DEP_2)
	v_sub_co_ci_u32_e32 v2, vcc_lo, v10, v2, vcc_lo
	v_add_co_u32 v12, vcc_lo, v3, v6
	v_mul_lo_u32 v10, v5, s13
	s_delay_alu instid0(VALU_DEP_3) | instskip(SKIP_1) | instid1(VALU_DEP_4)
	v_add_co_ci_u32_e32 v2, vcc_lo, v4, v2, vcc_lo
	v_mad_u64_u32 v[6:7], null, v5, s12, 0
	v_mul_lo_u32 v5, v12, s15
	v_mad_u64_u32 v[8:9], null, v12, s14, 0
	s_delay_alu instid0(VALU_DEP_4) | instskip(NEXT) | instid1(VALU_DEP_4)
	v_mul_lo_u32 v2, v2, s14
	v_add3_u32 v7, v7, v10, v11
	v_mul_f32_e32 v10, v14, v17
	s_delay_alu instid0(VALU_DEP_3) | instskip(NEXT) | instid1(VALU_DEP_3)
	v_add3_u32 v9, v9, v5, v2
	v_lshlrev_b64 v[5:6], 2, v[6:7]
	v_or_b32_e32 v2, s43, v4
	s_delay_alu instid0(VALU_DEP_3) | instskip(NEXT) | instid1(VALU_DEP_3)
	v_lshlrev_b64 v[7:8], 2, v[8:9]
	v_add_co_u32 v5, vcc_lo, s30, v5
	s_delay_alu instid0(VALU_DEP_4) | instskip(NEXT) | instid1(VALU_DEP_2)
	v_add_co_ci_u32_e32 v6, vcc_lo, s31, v6, vcc_lo
	v_add_co_u32 v5, vcc_lo, v5, v7
	s_delay_alu instid0(VALU_DEP_2)
	v_add_co_ci_u32_e32 v6, vcc_lo, v6, v8, vcc_lo
	global_store_b32 v[5:6], v10, off
                                        ; implicit-def: $vgpr5_vgpr6
	v_cmpx_ne_u64_e32 0, v[1:2]
	s_xor_b32 s53, exec_lo, s0
	s_cbranch_execz .LBB55_57
; %bb.56:                               ;   in Loop: Header=BB55_3 Depth=1
	s_ashr_i32 s54, s43, 31
	s_delay_alu instid0(SALU_CYCLE_1) | instskip(SKIP_2) | instid1(SALU_CYCLE_1)
	s_add_u32 s56, s42, s54
	s_mov_b32 s55, s54
	s_addc_u32 s57, s43, s54
	s_xor_b64 s[56:57], s[56:57], s[54:55]
	s_delay_alu instid0(SALU_CYCLE_1) | instskip(SKIP_3) | instid1(VALU_DEP_1)
	v_cvt_f32_u32_e32 v2, s56
	v_cvt_f32_u32_e32 v5, s57
	s_sub_u32 s0, 0, s56
	s_subb_u32 s55, 0, s57
	v_fmac_f32_e32 v2, 0x4f800000, v5
	s_delay_alu instid0(VALU_DEP_1) | instskip(SKIP_2) | instid1(VALU_DEP_1)
	v_rcp_f32_e32 v2, v2
	s_waitcnt_depctr 0xfff
	v_mul_f32_e32 v2, 0x5f7ffffc, v2
	v_mul_f32_e32 v5, 0x2f800000, v2
	s_delay_alu instid0(VALU_DEP_1) | instskip(NEXT) | instid1(VALU_DEP_1)
	v_trunc_f32_e32 v5, v5
	v_fmac_f32_e32 v2, 0xcf800000, v5
	v_cvt_u32_f32_e32 v5, v5
	s_delay_alu instid0(VALU_DEP_2) | instskip(NEXT) | instid1(VALU_DEP_2)
	v_cvt_u32_f32_e32 v2, v2
	v_mul_lo_u32 v6, s0, v5
	s_delay_alu instid0(VALU_DEP_2) | instskip(SKIP_1) | instid1(VALU_DEP_2)
	v_mul_hi_u32 v7, s0, v2
	v_mul_lo_u32 v8, s55, v2
	v_add_nc_u32_e32 v6, v7, v6
	v_mul_lo_u32 v7, s0, v2
	s_delay_alu instid0(VALU_DEP_2) | instskip(NEXT) | instid1(VALU_DEP_2)
	v_add_nc_u32_e32 v6, v6, v8
	v_mul_hi_u32 v8, v2, v7
	s_delay_alu instid0(VALU_DEP_2)
	v_mul_lo_u32 v9, v2, v6
	v_mul_hi_u32 v10, v2, v6
	v_mul_hi_u32 v11, v5, v7
	v_mul_lo_u32 v7, v5, v7
	v_mul_hi_u32 v12, v5, v6
	v_mul_lo_u32 v6, v5, v6
	v_add_co_u32 v8, vcc_lo, v8, v9
	v_add_co_ci_u32_e32 v9, vcc_lo, 0, v10, vcc_lo
	s_delay_alu instid0(VALU_DEP_2) | instskip(NEXT) | instid1(VALU_DEP_2)
	v_add_co_u32 v7, vcc_lo, v8, v7
	v_add_co_ci_u32_e32 v7, vcc_lo, v9, v11, vcc_lo
	v_add_co_ci_u32_e32 v8, vcc_lo, 0, v12, vcc_lo
	s_delay_alu instid0(VALU_DEP_2) | instskip(NEXT) | instid1(VALU_DEP_2)
	v_add_co_u32 v6, vcc_lo, v7, v6
	v_add_co_ci_u32_e32 v7, vcc_lo, 0, v8, vcc_lo
	s_delay_alu instid0(VALU_DEP_2) | instskip(NEXT) | instid1(VALU_DEP_2)
	v_add_co_u32 v2, vcc_lo, v2, v6
	v_add_co_ci_u32_e32 v5, vcc_lo, v5, v7, vcc_lo
	s_delay_alu instid0(VALU_DEP_2) | instskip(SKIP_1) | instid1(VALU_DEP_3)
	v_mul_hi_u32 v6, s0, v2
	v_mul_lo_u32 v8, s55, v2
	v_mul_lo_u32 v7, s0, v5
	s_delay_alu instid0(VALU_DEP_1) | instskip(SKIP_1) | instid1(VALU_DEP_2)
	v_add_nc_u32_e32 v6, v6, v7
	v_mul_lo_u32 v7, s0, v2
	v_add_nc_u32_e32 v6, v6, v8
	s_delay_alu instid0(VALU_DEP_2) | instskip(NEXT) | instid1(VALU_DEP_2)
	v_mul_hi_u32 v8, v2, v7
	v_mul_lo_u32 v9, v2, v6
	v_mul_hi_u32 v10, v2, v6
	v_mul_hi_u32 v11, v5, v7
	v_mul_lo_u32 v7, v5, v7
	v_mul_hi_u32 v12, v5, v6
	v_mul_lo_u32 v6, v5, v6
	v_add_co_u32 v8, vcc_lo, v8, v9
	v_add_co_ci_u32_e32 v9, vcc_lo, 0, v10, vcc_lo
	s_delay_alu instid0(VALU_DEP_2) | instskip(NEXT) | instid1(VALU_DEP_2)
	v_add_co_u32 v7, vcc_lo, v8, v7
	v_add_co_ci_u32_e32 v7, vcc_lo, v9, v11, vcc_lo
	v_add_co_ci_u32_e32 v8, vcc_lo, 0, v12, vcc_lo
	v_add_co_u32 v9, vcc_lo, v3, v13
	v_add_co_ci_u32_e32 v10, vcc_lo, v4, v13, vcc_lo
	s_delay_alu instid0(VALU_DEP_4) | instskip(NEXT) | instid1(VALU_DEP_4)
	v_add_co_u32 v6, vcc_lo, v7, v6
	v_add_co_ci_u32_e32 v7, vcc_lo, 0, v8, vcc_lo
	s_delay_alu instid0(VALU_DEP_4) | instskip(NEXT) | instid1(VALU_DEP_3)
	v_xor_b32_e32 v11, v9, v13
	v_add_co_u32 v2, vcc_lo, v2, v6
	s_delay_alu instid0(VALU_DEP_3) | instskip(SKIP_1) | instid1(VALU_DEP_3)
	v_add_co_ci_u32_e32 v12, vcc_lo, v5, v7, vcc_lo
	v_xor_b32_e32 v14, v10, v13
	v_mul_hi_u32 v17, v11, v2
	s_delay_alu instid0(VALU_DEP_3) | instskip(NEXT) | instid1(VALU_DEP_3)
	v_mad_u64_u32 v[5:6], null, v11, v12, 0
	v_mad_u64_u32 v[7:8], null, v14, v2, 0
	;; [unrolled: 1-line block ×3, first 2 shown]
	s_delay_alu instid0(VALU_DEP_3) | instskip(NEXT) | instid1(VALU_DEP_4)
	v_add_co_u32 v2, vcc_lo, v17, v5
	v_add_co_ci_u32_e32 v5, vcc_lo, 0, v6, vcc_lo
	s_delay_alu instid0(VALU_DEP_2) | instskip(NEXT) | instid1(VALU_DEP_2)
	v_add_co_u32 v2, vcc_lo, v2, v7
	v_add_co_ci_u32_e32 v2, vcc_lo, v5, v8, vcc_lo
	v_add_co_ci_u32_e32 v5, vcc_lo, 0, v10, vcc_lo
	s_delay_alu instid0(VALU_DEP_2) | instskip(NEXT) | instid1(VALU_DEP_2)
	v_add_co_u32 v2, vcc_lo, v2, v9
	v_add_co_ci_u32_e32 v7, vcc_lo, 0, v5, vcc_lo
	s_delay_alu instid0(VALU_DEP_2) | instskip(SKIP_1) | instid1(VALU_DEP_3)
	v_mul_lo_u32 v8, s57, v2
	v_mad_u64_u32 v[5:6], null, s56, v2, 0
	v_mul_lo_u32 v9, s56, v7
	s_delay_alu instid0(VALU_DEP_2) | instskip(NEXT) | instid1(VALU_DEP_2)
	v_sub_co_u32 v5, vcc_lo, v11, v5
	v_add3_u32 v6, v6, v9, v8
	s_delay_alu instid0(VALU_DEP_1) | instskip(NEXT) | instid1(VALU_DEP_1)
	v_sub_nc_u32_e32 v8, v14, v6
	v_subrev_co_ci_u32_e64 v8, s0, s57, v8, vcc_lo
	v_add_co_u32 v9, s0, v2, 2
	s_delay_alu instid0(VALU_DEP_1) | instskip(SKIP_3) | instid1(VALU_DEP_3)
	v_add_co_ci_u32_e64 v10, s0, 0, v7, s0
	v_sub_co_u32 v11, s0, v5, s56
	v_sub_co_ci_u32_e32 v6, vcc_lo, v14, v6, vcc_lo
	v_subrev_co_ci_u32_e64 v8, s0, 0, v8, s0
	v_cmp_le_u32_e32 vcc_lo, s56, v11
	s_delay_alu instid0(VALU_DEP_3) | instskip(SKIP_1) | instid1(VALU_DEP_4)
	v_cmp_eq_u32_e64 s0, s57, v6
	v_cndmask_b32_e64 v11, 0, -1, vcc_lo
	v_cmp_le_u32_e32 vcc_lo, s57, v8
	v_cndmask_b32_e64 v12, 0, -1, vcc_lo
	v_cmp_le_u32_e32 vcc_lo, s56, v5
	;; [unrolled: 2-line block ×3, first 2 shown]
	v_cndmask_b32_e64 v14, 0, -1, vcc_lo
	v_cmp_eq_u32_e32 vcc_lo, s57, v8
	s_delay_alu instid0(VALU_DEP_2) | instskip(SKIP_3) | instid1(VALU_DEP_3)
	v_cndmask_b32_e64 v5, v14, v5, s0
	v_cndmask_b32_e32 v8, v12, v11, vcc_lo
	v_add_co_u32 v11, vcc_lo, v2, 1
	v_add_co_ci_u32_e32 v12, vcc_lo, 0, v7, vcc_lo
	v_cmp_ne_u32_e32 vcc_lo, 0, v8
	s_delay_alu instid0(VALU_DEP_2) | instskip(NEXT) | instid1(VALU_DEP_4)
	v_cndmask_b32_e32 v6, v12, v10, vcc_lo
	v_cndmask_b32_e32 v8, v11, v9, vcc_lo
	v_cmp_ne_u32_e32 vcc_lo, 0, v5
	v_xor_b32_e32 v9, s54, v13
	s_delay_alu instid0(VALU_DEP_3) | instskip(NEXT) | instid1(VALU_DEP_1)
	v_dual_cndmask_b32 v2, v2, v8 :: v_dual_cndmask_b32 v5, v7, v6
	v_xor_b32_e32 v2, v2, v9
	s_delay_alu instid0(VALU_DEP_2) | instskip(NEXT) | instid1(VALU_DEP_2)
	v_xor_b32_e32 v6, v5, v9
	v_sub_co_u32 v5, vcc_lo, v2, v9
	s_delay_alu instid0(VALU_DEP_2)
	v_sub_co_ci_u32_e32 v6, vcc_lo, v6, v9, vcc_lo
.LBB55_57:                              ;   in Loop: Header=BB55_3 Depth=1
	s_and_not1_saveexec_b32 s0, s53
	s_cbranch_execz .LBB55_2
; %bb.58:                               ;   in Loop: Header=BB55_3 Depth=1
	v_cvt_f32_u32_e32 v2, s42
	s_sub_i32 s53, 0, s42
	s_delay_alu instid0(VALU_DEP_1) | instskip(SKIP_2) | instid1(VALU_DEP_1)
	v_rcp_iflag_f32_e32 v2, v2
	s_waitcnt_depctr 0xfff
	v_mul_f32_e32 v2, 0x4f7ffffe, v2
	v_cvt_u32_f32_e32 v2, v2
	s_delay_alu instid0(VALU_DEP_1) | instskip(NEXT) | instid1(VALU_DEP_1)
	v_mul_lo_u32 v5, s53, v2
	v_mul_hi_u32 v5, v2, v5
	s_delay_alu instid0(VALU_DEP_1) | instskip(NEXT) | instid1(VALU_DEP_1)
	v_add_nc_u32_e32 v2, v2, v5
	v_mul_hi_u32 v2, v3, v2
	s_delay_alu instid0(VALU_DEP_1) | instskip(SKIP_1) | instid1(VALU_DEP_2)
	v_mul_lo_u32 v5, v2, s42
	v_add_nc_u32_e32 v6, 1, v2
	v_sub_nc_u32_e32 v5, v3, v5
	s_delay_alu instid0(VALU_DEP_1) | instskip(SKIP_1) | instid1(VALU_DEP_2)
	v_subrev_nc_u32_e32 v7, s42, v5
	v_cmp_le_u32_e32 vcc_lo, s42, v5
	v_dual_cndmask_b32 v5, v5, v7 :: v_dual_cndmask_b32 v2, v2, v6
	s_delay_alu instid0(VALU_DEP_1) | instskip(NEXT) | instid1(VALU_DEP_2)
	v_cmp_le_u32_e32 vcc_lo, s42, v5
	v_add_nc_u32_e32 v6, 1, v2
	s_delay_alu instid0(VALU_DEP_1)
	v_dual_cndmask_b32 v5, v2, v6 :: v_dual_mov_b32 v6, v1
	s_branch .LBB55_2
.LBB55_59:
	s_nop 0
	s_sendmsg sendmsg(MSG_DEALLOC_VGPRS)
	s_endpgm
	.section	.rodata,"a",@progbits
	.p2align	6, 0x0
	.amdhsa_kernel _ZN2at6native12_GLOBAL__N_16kernel17gru_cell_backwardIfflLi2EEEvNS_4cuda6detail10TensorInfoIT_T1_EES9_S9_S9_S9_S8_S8_
		.amdhsa_group_segment_fixed_size 0
		.amdhsa_private_segment_fixed_size 0
		.amdhsa_kernarg_size 2352
		.amdhsa_user_sgpr_count 15
		.amdhsa_user_sgpr_dispatch_ptr 0
		.amdhsa_user_sgpr_queue_ptr 0
		.amdhsa_user_sgpr_kernarg_segment_ptr 1
		.amdhsa_user_sgpr_dispatch_id 0
		.amdhsa_user_sgpr_private_segment_size 0
		.amdhsa_wavefront_size32 1
		.amdhsa_uses_dynamic_stack 0
		.amdhsa_enable_private_segment 0
		.amdhsa_system_sgpr_workgroup_id_x 1
		.amdhsa_system_sgpr_workgroup_id_y 0
		.amdhsa_system_sgpr_workgroup_id_z 0
		.amdhsa_system_sgpr_workgroup_info 0
		.amdhsa_system_vgpr_workitem_id 0
		.amdhsa_next_free_vgpr 37
		.amdhsa_next_free_sgpr 62
		.amdhsa_reserve_vcc 1
		.amdhsa_float_round_mode_32 0
		.amdhsa_float_round_mode_16_64 0
		.amdhsa_float_denorm_mode_32 3
		.amdhsa_float_denorm_mode_16_64 3
		.amdhsa_dx10_clamp 1
		.amdhsa_ieee_mode 1
		.amdhsa_fp16_overflow 0
		.amdhsa_workgroup_processor_mode 1
		.amdhsa_memory_ordered 1
		.amdhsa_forward_progress 0
		.amdhsa_shared_vgpr_count 0
		.amdhsa_exception_fp_ieee_invalid_op 0
		.amdhsa_exception_fp_denorm_src 0
		.amdhsa_exception_fp_ieee_div_zero 0
		.amdhsa_exception_fp_ieee_overflow 0
		.amdhsa_exception_fp_ieee_underflow 0
		.amdhsa_exception_fp_ieee_inexact 0
		.amdhsa_exception_int_div_zero 0
	.end_amdhsa_kernel
	.section	.text._ZN2at6native12_GLOBAL__N_16kernel17gru_cell_backwardIfflLi2EEEvNS_4cuda6detail10TensorInfoIT_T1_EES9_S9_S9_S9_S8_S8_,"axG",@progbits,_ZN2at6native12_GLOBAL__N_16kernel17gru_cell_backwardIfflLi2EEEvNS_4cuda6detail10TensorInfoIT_T1_EES9_S9_S9_S9_S8_S8_,comdat
.Lfunc_end55:
	.size	_ZN2at6native12_GLOBAL__N_16kernel17gru_cell_backwardIfflLi2EEEvNS_4cuda6detail10TensorInfoIT_T1_EES9_S9_S9_S9_S8_S8_, .Lfunc_end55-_ZN2at6native12_GLOBAL__N_16kernel17gru_cell_backwardIfflLi2EEEvNS_4cuda6detail10TensorInfoIT_T1_EES9_S9_S9_S9_S8_S8_
                                        ; -- End function
	.section	.AMDGPU.csdata,"",@progbits
; Kernel info:
; codeLenInByte = 17216
; NumSgprs: 64
; NumVgprs: 37
; ScratchSize: 0
; MemoryBound: 0
; FloatMode: 240
; IeeeMode: 1
; LDSByteSize: 0 bytes/workgroup (compile time only)
; SGPRBlocks: 7
; VGPRBlocks: 4
; NumSGPRsForWavesPerEU: 64
; NumVGPRsForWavesPerEU: 37
; Occupancy: 16
; WaveLimiterHint : 1
; COMPUTE_PGM_RSRC2:SCRATCH_EN: 0
; COMPUTE_PGM_RSRC2:USER_SGPR: 15
; COMPUTE_PGM_RSRC2:TRAP_HANDLER: 0
; COMPUTE_PGM_RSRC2:TGID_X_EN: 1
; COMPUTE_PGM_RSRC2:TGID_Y_EN: 0
; COMPUTE_PGM_RSRC2:TGID_Z_EN: 0
; COMPUTE_PGM_RSRC2:TIDIG_COMP_CNT: 0
	.section	.text._ZN2at6native12_GLOBAL__N_16kernel17gru_cell_backwardIN3c104HalfEfiLi1EEEvNS_4cuda6detail10TensorInfoIT_T1_EESB_SB_SB_SB_SA_SA_,"axG",@progbits,_ZN2at6native12_GLOBAL__N_16kernel17gru_cell_backwardIN3c104HalfEfiLi1EEEvNS_4cuda6detail10TensorInfoIT_T1_EESB_SB_SB_SB_SA_SA_,comdat
	.globl	_ZN2at6native12_GLOBAL__N_16kernel17gru_cell_backwardIN3c104HalfEfiLi1EEEvNS_4cuda6detail10TensorInfoIT_T1_EESB_SB_SB_SB_SA_SA_ ; -- Begin function _ZN2at6native12_GLOBAL__N_16kernel17gru_cell_backwardIN3c104HalfEfiLi1EEEvNS_4cuda6detail10TensorInfoIT_T1_EESB_SB_SB_SB_SA_SA_
	.p2align	8
	.type	_ZN2at6native12_GLOBAL__N_16kernel17gru_cell_backwardIN3c104HalfEfiLi1EEEvNS_4cuda6detail10TensorInfoIT_T1_EESB_SB_SB_SB_SA_SA_,@function
_ZN2at6native12_GLOBAL__N_16kernel17gru_cell_backwardIN3c104HalfEfiLi1EEEvNS_4cuda6detail10TensorInfoIT_T1_EESB_SB_SB_SB_SA_SA_: ; @_ZN2at6native12_GLOBAL__N_16kernel17gru_cell_backwardIN3c104HalfEfiLi1EEEvNS_4cuda6detail10TensorInfoIT_T1_EESB_SB_SB_SB_SA_SA_
; %bb.0:
	s_clause 0x1
	s_load_b32 s4, s[0:1], 0x44c
	s_load_b64 s[2:3], s[0:1], 0x438
	s_add_u32 s8, s0, 0x440
	s_addc_u32 s9, s1, 0
	s_waitcnt lgkmcnt(0)
	s_and_b32 s19, s4, 0xffff
	s_mov_b32 s4, exec_lo
	v_mad_u64_u32 v[1:2], null, s15, s19, v[0:1]
	s_delay_alu instid0(VALU_DEP_1)
	v_cmpx_gt_i32_e64 s3, v1
	s_cbranch_execz .LBB56_3
; %bb.1:
	s_abs_i32 s14, s2
	s_clause 0x3
	s_load_b64 s[4:5], s[0:1], 0x1b0
	s_load_b32 s21, s[0:1], 0x21c
	s_load_b64 s[6:7], s[0:1], 0x288
	s_load_b32 s22, s[0:1], 0x2f4
	s_load_b32 s20, s[8:9], 0x0
	v_cvt_f32_u32_e32 v0, s14
	s_sub_i32 s12, 0, s14
	s_clause 0x3
	s_load_b64 s[8:9], s[0:1], 0x0
	s_load_b32 s15, s[0:1], 0x6c
	s_load_b64 s[10:11], s[0:1], 0xd8
	s_load_b32 s16, s[0:1], 0x144
	s_mov_b32 s17, 0
	s_lshl_b32 s18, s2, 2
	v_rcp_iflag_f32_e32 v0, v0
	s_mov_b32 s23, 1.0
	s_waitcnt_depctr 0xfff
	v_mul_f32_e32 v0, 0x4f7ffffe, v0
	s_waitcnt lgkmcnt(0)
	v_mul_lo_u32 v4, v1, s22
	s_mul_i32 s19, s20, s19
	s_delay_alu instid0(VALU_DEP_2) | instskip(SKIP_2) | instid1(VALU_DEP_1)
	v_cvt_u32_f32_e32 v0, v0
	s_lshl_b32 s20, s2, 1
	s_mul_i32 s22, s19, s22
	v_mul_lo_u32 v2, s12, v0
	s_clause 0x1
	s_load_b64 s[12:13], s[0:1], 0x360
	s_load_b32 s0, s[0:1], 0x3cc
	s_ashr_i32 s1, s2, 31
	s_delay_alu instid0(VALU_DEP_1) | instskip(SKIP_2) | instid1(VALU_DEP_2)
	v_mul_hi_u32 v3, v0, v2
	v_mul_lo_u32 v2, v1, s21
	s_mul_i32 s21, s19, s21
	v_add_nc_u32_e32 v0, v0, v3
.LBB56_2:                               ; =>This Inner Loop Header: Depth=1
	v_sub_nc_u32_e32 v5, 0, v1
	v_ashrrev_i32_e32 v6, 31, v1
	s_delay_alu instid0(VALU_DEP_4) | instskip(NEXT) | instid1(VALU_DEP_3)
	v_ashrrev_i32_e32 v3, 31, v2
	v_max_i32_e32 v7, v1, v5
	s_delay_alu instid0(VALU_DEP_3) | instskip(NEXT) | instid1(VALU_DEP_3)
	v_xor_b32_e32 v15, s1, v6
	v_lshlrev_b64 v[5:6], 1, v[2:3]
	s_delay_alu instid0(VALU_DEP_3) | instskip(NEXT) | instid1(VALU_DEP_2)
	v_mul_hi_u32 v3, v7, v0
	v_add_co_u32 v5, vcc_lo, s4, v5
	s_delay_alu instid0(VALU_DEP_3) | instskip(SKIP_3) | instid1(VALU_DEP_2)
	v_add_co_ci_u32_e32 v6, vcc_lo, s5, v6, vcc_lo
	global_load_u16 v20, v[5:6], off
	v_mul_lo_u32 v5, v3, s14
	v_add_nc_u32_e32 v6, 1, v3
	v_sub_nc_u32_e32 v5, v7, v5
	s_delay_alu instid0(VALU_DEP_1) | instskip(SKIP_1) | instid1(VALU_DEP_4)
	v_subrev_nc_u32_e32 v7, s14, v5
	v_cmp_le_u32_e32 vcc_lo, s14, v5
	v_dual_cndmask_b32 v3, v3, v6 :: v_dual_lshlrev_b32 v8, 2, v15
	s_delay_alu instid0(VALU_DEP_3) | instskip(NEXT) | instid1(VALU_DEP_2)
	v_cndmask_b32_e32 v5, v5, v7, vcc_lo
	v_add_nc_u32_e32 v6, 1, v3
	s_delay_alu instid0(VALU_DEP_2) | instskip(NEXT) | instid1(VALU_DEP_2)
	v_cmp_le_u32_e32 vcc_lo, s14, v5
	v_cndmask_b32_e32 v3, v3, v6, vcc_lo
	s_delay_alu instid0(VALU_DEP_1) | instskip(NEXT) | instid1(VALU_DEP_1)
	v_xor_b32_e32 v3, v3, v15
	v_lshlrev_b32_e32 v5, 2, v3
	v_sub_nc_u32_e32 v16, v3, v15
	v_lshlrev_b32_e32 v3, 1, v3
	s_delay_alu instid0(VALU_DEP_3) | instskip(NEXT) | instid1(VALU_DEP_3)
	v_sub_nc_u32_e32 v7, v5, v8
	v_mad_u64_u32 v[5:6], null, s18, v16, v[1:2]
	s_delay_alu instid0(VALU_DEP_2)
	v_or_b32_e32 v6, 1, v7
	v_or_b32_e32 v10, 2, v7
	;; [unrolled: 1-line block ×3, first 2 shown]
	v_add_nc_u32_e32 v12, 4, v7
	s_waitcnt lgkmcnt(0)
	v_mul_lo_u32 v5, v5, s0
	v_mad_u64_u32 v[7:8], null, s2, v6, v[1:2]
	v_mad_u64_u32 v[8:9], null, s2, v10, v[1:2]
	;; [unrolled: 1-line block ×4, first 2 shown]
	s_delay_alu instid0(VALU_DEP_4) | instskip(SKIP_4) | instid1(VALU_DEP_4)
	v_mul_lo_u32 v7, v7, s0
	v_ashrrev_i32_e32 v6, 31, v5
	v_mul_lo_u32 v11, v8, s0
	v_add_nc_u32_e32 v2, s21, v2
	v_mul_lo_u32 v9, v9, s0
	v_lshlrev_b64 v[5:6], 1, v[5:6]
	v_mul_lo_u32 v13, v10, s0
	v_ashrrev_i32_e32 v8, 31, v7
	v_ashrrev_i32_e32 v12, 31, v11
	s_delay_alu instid0(VALU_DEP_4) | instskip(NEXT) | instid1(VALU_DEP_3)
	v_add_co_u32 v5, vcc_lo, s12, v5
	v_lshlrev_b64 v[7:8], 1, v[7:8]
	v_ashrrev_i32_e32 v10, 31, v9
	v_add_co_ci_u32_e32 v6, vcc_lo, s13, v6, vcc_lo
	v_lshlrev_b64 v[11:12], 1, v[11:12]
	v_ashrrev_i32_e32 v14, 31, v13
	s_delay_alu instid0(VALU_DEP_4)
	v_lshlrev_b64 v[9:10], 1, v[9:10]
	global_load_u16 v21, v[5:6], off
	v_add_co_u32 v5, vcc_lo, s12, v7
	v_add_co_ci_u32_e32 v6, vcc_lo, s13, v8, vcc_lo
	v_lshlrev_b64 v[13:14], 1, v[13:14]
	v_add_co_u32 v7, vcc_lo, s12, v11
	v_add_co_ci_u32_e32 v8, vcc_lo, s13, v12, vcc_lo
	v_add_co_u32 v9, vcc_lo, s12, v9
	v_add_co_ci_u32_e32 v10, vcc_lo, s13, v10, vcc_lo
	;; [unrolled: 2-line block ×3, first 2 shown]
	s_clause 0x3
	global_load_u16 v22, v[9:10], off
	global_load_u16 v23, v[5:6], off
	;; [unrolled: 1-line block ×4, first 2 shown]
	v_lshlrev_b32_e32 v9, 1, v15
	v_mad_u64_u32 v[7:8], null, s20, v16, v[1:2]
	v_ashrrev_i32_e32 v5, 31, v4
	s_delay_alu instid0(VALU_DEP_3) | instskip(NEXT) | instid1(VALU_DEP_2)
	v_sub_nc_u32_e32 v3, v3, v9
	v_lshlrev_b64 v[5:6], 1, v[4:5]
	s_delay_alu instid0(VALU_DEP_4) | instskip(NEXT) | instid1(VALU_DEP_3)
	v_mul_lo_u32 v8, v7, s15
	v_or_b32_e32 v9, 1, v3
	v_add_nc_u32_e32 v3, 2, v3
	v_mul_lo_u32 v10, v7, s16
	v_add_co_u32 v5, vcc_lo, s6, v5
	s_delay_alu instid0(VALU_DEP_4) | instskip(NEXT) | instid1(VALU_DEP_4)
	v_mad_u64_u32 v[12:13], null, s2, v9, v[1:2]
	v_mad_u64_u32 v[13:14], null, s2, v3, v[1:2]
	v_ashrrev_i32_e32 v9, 31, v8
	v_ashrrev_i32_e32 v11, 31, v10
	v_add_co_ci_u32_e32 v6, vcc_lo, s7, v6, vcc_lo
	v_mul_lo_u32 v7, v12, s15
	v_mul_lo_u32 v12, v12, s16
	;; [unrolled: 1-line block ×3, first 2 shown]
	v_lshlrev_b64 v[18:19], 1, v[8:9]
	v_mul_lo_u32 v16, v13, s16
	v_lshlrev_b64 v[9:10], 1, v[10:11]
	v_ashrrev_i32_e32 v8, 31, v7
	v_ashrrev_i32_e32 v13, 31, v12
	;; [unrolled: 1-line block ×4, first 2 shown]
	s_delay_alu instid0(VALU_DEP_4) | instskip(NEXT) | instid1(VALU_DEP_4)
	v_lshlrev_b64 v[7:8], 1, v[7:8]
	v_lshlrev_b64 v[11:12], 1, v[12:13]
	s_delay_alu instid0(VALU_DEP_4) | instskip(NEXT) | instid1(VALU_DEP_4)
	v_lshlrev_b64 v[14:15], 1, v[14:15]
	v_lshlrev_b64 v[16:17], 1, v[16:17]
	s_waitcnt vmcnt(5)
	v_cvt_f32_f16_e32 v3, v20
	s_waitcnt vmcnt(3)
	v_cvt_f32_f16_e32 v22, v22
	;; [unrolled: 2-line block ×4, first 2 shown]
	v_add_nc_u32_e32 v1, s19, v1
	v_fma_mix_f32 v24, -v24, v24, s23 op_sel_hi:[1,1,0]
	s_waitcnt vmcnt(0)
	v_cvt_f32_f16_e32 v25, v25
	v_sub_f32_e32 v26, 1.0, v26
	v_sub_f32_e32 v22, v22, v27
	v_cmp_le_i32_e32 vcc_lo, s3, v1
	v_add_nc_u32_e32 v4, s22, v4
	v_mul_f16_e32 v20, v23, v20
	v_mul_f32_e32 v27, v26, v3
	v_mul_f32_e32 v3, v22, v3
	s_or_b32 s17, vcc_lo, s17
	v_add_co_u32 v18, vcc_lo, s8, v18
	v_add_co_ci_u32_e32 v19, vcc_lo, s9, v19, vcc_lo
	v_add_co_u32 v9, vcc_lo, s10, v9
	v_add_co_ci_u32_e32 v10, vcc_lo, s11, v10, vcc_lo
	;; [unrolled: 2-line block ×6, first 2 shown]
	v_cvt_f32_f16_e32 v17, v21
	v_mul_f32_e32 v3, v26, v3
	s_delay_alu instid0(VALU_DEP_2) | instskip(NEXT) | instid1(VALU_DEP_2)
	v_dual_sub_f32 v17, 1.0, v17 :: v_dual_mul_f32 v22, v24, v27
	v_fma_mixlo_f16 v3, v3, v23, 0 op_sel_hi:[0,1,0]
	v_fma_mixlo_f16 v24, v24, v27, 0
	s_delay_alu instid0(VALU_DEP_3) | instskip(NEXT) | instid1(VALU_DEP_1)
	v_mul_f32_e32 v25, v22, v25
	v_mul_f32_e32 v17, v17, v25
	v_fma_mixlo_f16 v22, v22, v21, 0 op_sel_hi:[0,1,0]
	s_delay_alu instid0(VALU_DEP_2)
	v_fma_mixlo_f16 v17, v17, v21, 0 op_sel_hi:[0,1,0]
	s_clause 0x2
	global_store_b16 v[18:19], v17, off
	global_store_b16 v[7:8], v3, off
	;; [unrolled: 1-line block ×3, first 2 shown]
	s_clause 0x2
	global_store_b16 v[9:10], v17, off
	global_store_b16 v[11:12], v3, off
	global_store_b16 v[15:16], v22, off
	global_store_b16 v[5:6], v20, off
	s_and_not1_b32 exec_lo, exec_lo, s17
	s_cbranch_execnz .LBB56_2
.LBB56_3:
	s_nop 0
	s_sendmsg sendmsg(MSG_DEALLOC_VGPRS)
	s_endpgm
	.section	.rodata,"a",@progbits
	.p2align	6, 0x0
	.amdhsa_kernel _ZN2at6native12_GLOBAL__N_16kernel17gru_cell_backwardIN3c104HalfEfiLi1EEEvNS_4cuda6detail10TensorInfoIT_T1_EESB_SB_SB_SB_SA_SA_
		.amdhsa_group_segment_fixed_size 0
		.amdhsa_private_segment_fixed_size 0
		.amdhsa_kernarg_size 1344
		.amdhsa_user_sgpr_count 15
		.amdhsa_user_sgpr_dispatch_ptr 0
		.amdhsa_user_sgpr_queue_ptr 0
		.amdhsa_user_sgpr_kernarg_segment_ptr 1
		.amdhsa_user_sgpr_dispatch_id 0
		.amdhsa_user_sgpr_private_segment_size 0
		.amdhsa_wavefront_size32 1
		.amdhsa_uses_dynamic_stack 0
		.amdhsa_enable_private_segment 0
		.amdhsa_system_sgpr_workgroup_id_x 1
		.amdhsa_system_sgpr_workgroup_id_y 0
		.amdhsa_system_sgpr_workgroup_id_z 0
		.amdhsa_system_sgpr_workgroup_info 0
		.amdhsa_system_vgpr_workitem_id 0
		.amdhsa_next_free_vgpr 28
		.amdhsa_next_free_sgpr 24
		.amdhsa_reserve_vcc 1
		.amdhsa_float_round_mode_32 0
		.amdhsa_float_round_mode_16_64 0
		.amdhsa_float_denorm_mode_32 3
		.amdhsa_float_denorm_mode_16_64 3
		.amdhsa_dx10_clamp 1
		.amdhsa_ieee_mode 1
		.amdhsa_fp16_overflow 0
		.amdhsa_workgroup_processor_mode 1
		.amdhsa_memory_ordered 1
		.amdhsa_forward_progress 0
		.amdhsa_shared_vgpr_count 0
		.amdhsa_exception_fp_ieee_invalid_op 0
		.amdhsa_exception_fp_denorm_src 0
		.amdhsa_exception_fp_ieee_div_zero 0
		.amdhsa_exception_fp_ieee_overflow 0
		.amdhsa_exception_fp_ieee_underflow 0
		.amdhsa_exception_fp_ieee_inexact 0
		.amdhsa_exception_int_div_zero 0
	.end_amdhsa_kernel
	.section	.text._ZN2at6native12_GLOBAL__N_16kernel17gru_cell_backwardIN3c104HalfEfiLi1EEEvNS_4cuda6detail10TensorInfoIT_T1_EESB_SB_SB_SB_SA_SA_,"axG",@progbits,_ZN2at6native12_GLOBAL__N_16kernel17gru_cell_backwardIN3c104HalfEfiLi1EEEvNS_4cuda6detail10TensorInfoIT_T1_EESB_SB_SB_SB_SA_SA_,comdat
.Lfunc_end56:
	.size	_ZN2at6native12_GLOBAL__N_16kernel17gru_cell_backwardIN3c104HalfEfiLi1EEEvNS_4cuda6detail10TensorInfoIT_T1_EESB_SB_SB_SB_SA_SA_, .Lfunc_end56-_ZN2at6native12_GLOBAL__N_16kernel17gru_cell_backwardIN3c104HalfEfiLi1EEEvNS_4cuda6detail10TensorInfoIT_T1_EESB_SB_SB_SB_SA_SA_
                                        ; -- End function
	.section	.AMDGPU.csdata,"",@progbits
; Kernel info:
; codeLenInByte = 1240
; NumSgprs: 26
; NumVgprs: 28
; ScratchSize: 0
; MemoryBound: 0
; FloatMode: 240
; IeeeMode: 1
; LDSByteSize: 0 bytes/workgroup (compile time only)
; SGPRBlocks: 3
; VGPRBlocks: 3
; NumSGPRsForWavesPerEU: 26
; NumVGPRsForWavesPerEU: 28
; Occupancy: 16
; WaveLimiterHint : 1
; COMPUTE_PGM_RSRC2:SCRATCH_EN: 0
; COMPUTE_PGM_RSRC2:USER_SGPR: 15
; COMPUTE_PGM_RSRC2:TRAP_HANDLER: 0
; COMPUTE_PGM_RSRC2:TGID_X_EN: 1
; COMPUTE_PGM_RSRC2:TGID_Y_EN: 0
; COMPUTE_PGM_RSRC2:TGID_Z_EN: 0
; COMPUTE_PGM_RSRC2:TIDIG_COMP_CNT: 0
	.section	.text._ZN2at6native12_GLOBAL__N_16kernel17gru_cell_backwardIN3c104HalfEfiLi2EEEvNS_4cuda6detail10TensorInfoIT_T1_EESB_SB_SB_SB_SA_SA_,"axG",@progbits,_ZN2at6native12_GLOBAL__N_16kernel17gru_cell_backwardIN3c104HalfEfiLi2EEEvNS_4cuda6detail10TensorInfoIT_T1_EESB_SB_SB_SB_SA_SA_,comdat
	.globl	_ZN2at6native12_GLOBAL__N_16kernel17gru_cell_backwardIN3c104HalfEfiLi2EEEvNS_4cuda6detail10TensorInfoIT_T1_EESB_SB_SB_SB_SA_SA_ ; -- Begin function _ZN2at6native12_GLOBAL__N_16kernel17gru_cell_backwardIN3c104HalfEfiLi2EEEvNS_4cuda6detail10TensorInfoIT_T1_EESB_SB_SB_SB_SA_SA_
	.p2align	8
	.type	_ZN2at6native12_GLOBAL__N_16kernel17gru_cell_backwardIN3c104HalfEfiLi2EEEvNS_4cuda6detail10TensorInfoIT_T1_EESB_SB_SB_SB_SA_SA_,@function
_ZN2at6native12_GLOBAL__N_16kernel17gru_cell_backwardIN3c104HalfEfiLi2EEEvNS_4cuda6detail10TensorInfoIT_T1_EESB_SB_SB_SB_SA_SA_: ; @_ZN2at6native12_GLOBAL__N_16kernel17gru_cell_backwardIN3c104HalfEfiLi2EEEvNS_4cuda6detail10TensorInfoIT_T1_EESB_SB_SB_SB_SA_SA_
; %bb.0:
	s_clause 0x1
	s_load_b32 s6, s[0:1], 0x44c
	s_load_b64 s[4:5], s[0:1], 0x438
	s_add_u32 s2, s0, 0x440
	s_addc_u32 s3, s1, 0
	s_waitcnt lgkmcnt(0)
	s_and_b32 s31, s6, 0xffff
	s_mov_b32 s6, exec_lo
	v_mad_u64_u32 v[1:2], null, s15, s31, v[0:1]
	s_delay_alu instid0(VALU_DEP_1)
	v_cmpx_gt_i32_e64 s5, v1
	s_cbranch_execz .LBB57_3
; %bb.1:
	s_clause 0x1
	s_load_b32 s26, s[0:1], 0x36c
	s_load_b32 s45, s[0:1], 0x1bc
	;; [unrolled: 1-line block ×3, first 2 shown]
	s_clause 0x5
	s_load_b64 s[6:7], s[0:1], 0x0
	s_load_b32 s27, s[0:1], 0xc
	s_load_b32 s28, s[0:1], 0xe4
	s_load_b64 s[8:9], s[0:1], 0x144
	s_load_b64 s[10:11], s[0:1], 0x1b0
	s_load_b32 s46, s[0:1], 0x294
	s_abs_i32 s3, s4
	s_clause 0x6
	s_load_b64 s[12:13], s[0:1], 0x21c
	s_load_b64 s[14:15], s[0:1], 0x288
	;; [unrolled: 1-line block ×7, first 2 shown]
	v_cvt_f32_u32_e32 v0, s3
	s_sub_i32 s0, 0, s3
	s_ashr_i32 s36, s4, 31
	s_mov_b32 s37, 0
	s_lshl_b32 s43, s4, 2
	v_rcp_iflag_f32_e32 v0, v0
	s_lshl_b32 s44, s4, 1
	s_mov_b32 s47, 1.0
	s_waitcnt lgkmcnt(0)
	s_abs_i32 s29, s26
	s_abs_i32 s30, s45
	v_cvt_f32_u32_e32 v2, s29
	v_cvt_f32_u32_e32 v3, s30
	s_abs_i32 s34, s28
	s_abs_i32 s33, s27
	v_cvt_f32_u32_e32 v5, s34
	v_rcp_iflag_f32_e32 v2, v2
	v_cvt_f32_u32_e32 v4, s33
	s_abs_i32 s35, s46
	v_rcp_iflag_f32_e32 v3, v3
	v_cvt_f32_u32_e32 v7, s35
	v_rcp_iflag_f32_e32 v5, v5
	v_rcp_iflag_f32_e32 v4, v4
	v_mul_f32_e32 v0, 0x4f7ffffe, v0
	s_sub_i32 s1, 0, s30
	v_rcp_iflag_f32_e32 v7, v7
	v_mul_f32_e32 v2, 0x4f7ffffe, v2
	s_mul_i32 s31, s2, s31
	s_ashr_i32 s38, s26, 31
	v_mul_f32_e32 v3, 0x4f7ffffe, v3
	v_cvt_u32_f32_e32 v0, v0
	v_mul_f32_e32 v5, 0x4f7ffffe, v5
	v_cvt_u32_f32_e32 v2, v2
	;; [unrolled: 2-line block ×3, first 2 shown]
	v_mul_f32_e32 v7, 0x4f7ffffe, v7
	v_mul_lo_u32 v6, s0, v0
	s_sub_i32 s0, 0, s29
	v_cvt_u32_f32_e32 v4, v4
	v_mul_lo_u32 v8, s0, v2
	v_cvt_u32_f32_e32 v5, v5
	v_cvt_u32_f32_e32 v7, v7
	s_sub_i32 s0, 0, s33
	v_mul_lo_u32 v9, s1, v3
	s_sub_i32 s1, 0, s34
	v_mul_lo_u32 v10, s0, v4
	s_sub_i32 s0, 0, s35
	v_mul_hi_u32 v6, v0, v6
	v_mul_lo_u32 v11, s1, v5
	v_mul_hi_u32 v8, v2, v8
	v_mul_lo_u32 v12, s0, v7
	v_mul_hi_u32 v9, v3, v9
	s_ashr_i32 s39, s45, 31
	s_ashr_i32 s40, s27, 31
	s_ashr_i32 s41, s28, 31
	v_add_nc_u32_e32 v0, v0, v6
	v_mul_hi_u32 v6, v4, v10
	v_mul_hi_u32 v10, v5, v11
	v_add_nc_u32_e32 v2, v2, v8
	v_mul_hi_u32 v8, v7, v12
	v_add_nc_u32_e32 v3, v3, v9
	s_ashr_i32 s42, s46, 31
	s_sub_i32 s45, 0, s45
	s_sub_i32 s46, 0, s46
	v_add_nc_u32_e32 v4, v4, v6
	v_add_nc_u32_e32 v5, v5, v10
	s_delay_alu instid0(VALU_DEP_4)
	v_add_nc_u32_e32 v6, v7, v8
.LBB57_2:                               ; =>This Inner Loop Header: Depth=1
	v_sub_nc_u32_e32 v7, 0, v1
	v_ashrrev_i32_e32 v8, 31, v1
	s_delay_alu instid0(VALU_DEP_2) | instskip(NEXT) | instid1(VALU_DEP_2)
	v_max_i32_e32 v7, v1, v7
	v_xor_b32_e32 v9, s36, v8
	v_xor_b32_e32 v10, s39, v8
	;; [unrolled: 1-line block ×3, first 2 shown]
	s_delay_alu instid0(VALU_DEP_4) | instskip(SKIP_1) | instid1(VALU_DEP_2)
	v_mul_hi_u32 v11, v7, v0
	v_mul_hi_u32 v12, v7, v3
	v_mul_lo_u32 v14, v11, s3
	s_delay_alu instid0(VALU_DEP_2) | instskip(SKIP_2) | instid1(VALU_DEP_4)
	v_mul_lo_u32 v15, v12, s30
	v_add_nc_u32_e32 v16, 1, v11
	v_add_nc_u32_e32 v17, 1, v12
	v_sub_nc_u32_e32 v14, v7, v14
	s_delay_alu instid0(VALU_DEP_4) | instskip(NEXT) | instid1(VALU_DEP_2)
	v_sub_nc_u32_e32 v15, v7, v15
	v_subrev_nc_u32_e32 v18, s3, v14
	v_cmp_le_u32_e32 vcc_lo, s3, v14
	s_delay_alu instid0(VALU_DEP_3) | instskip(NEXT) | instid1(VALU_DEP_3)
	v_cmp_le_u32_e64 s0, s30, v15
	v_dual_cndmask_b32 v14, v14, v18 :: v_dual_lshlrev_b32 v13, 2, v9
	v_cndmask_b32_e32 v11, v11, v16, vcc_lo
	v_subrev_nc_u32_e32 v16, s30, v15
	s_delay_alu instid0(VALU_DEP_4) | instskip(NEXT) | instid1(VALU_DEP_4)
	v_cndmask_b32_e64 v12, v12, v17, s0
	v_cmp_le_u32_e32 vcc_lo, s3, v14
	s_delay_alu instid0(VALU_DEP_3) | instskip(NEXT) | instid1(VALU_DEP_3)
	v_cndmask_b32_e64 v15, v15, v16, s0
	v_add_nc_u32_e32 v16, 1, v12
	v_add_nc_u32_e32 v17, 1, v11
	s_delay_alu instid0(VALU_DEP_1) | instskip(NEXT) | instid1(VALU_DEP_4)
	v_cndmask_b32_e32 v11, v11, v17, vcc_lo
	v_cmp_le_u32_e32 vcc_lo, s30, v15
	s_delay_alu instid0(VALU_DEP_2) | instskip(SKIP_1) | instid1(VALU_DEP_2)
	v_xor_b32_e32 v23, v11, v9
	v_cndmask_b32_e32 v12, v12, v16, vcc_lo
	v_sub_nc_u32_e32 v24, v23, v9
	s_delay_alu instid0(VALU_DEP_2) | instskip(SKIP_2) | instid1(VALU_DEP_4)
	v_xor_b32_e32 v11, v12, v10
	v_lshlrev_b32_e32 v12, 2, v23
	v_lshlrev_b32_e32 v9, 1, v9
	v_mul_lo_u32 v15, s43, v24
	s_delay_alu instid0(VALU_DEP_4) | instskip(NEXT) | instid1(VALU_DEP_4)
	v_sub_nc_u32_e32 v14, v11, v10
	v_sub_nc_u32_e32 v12, v12, v13
	s_delay_alu instid0(VALU_DEP_2) | instskip(NEXT) | instid1(VALU_DEP_2)
	v_mad_u64_u32 v[10:11], null, s45, v14, v[1:2]
	v_or_b32_e32 v11, 1, v12
	v_add_nc_u32_e32 v17, v1, v15
	v_or_b32_e32 v13, 2, v12
	v_or_b32_e32 v16, 3, v12
	v_add_nc_u32_e32 v12, 4, v12
	v_mul_lo_u32 v18, s4, v11
	v_mul_lo_u32 v10, v10, s13
	v_ashrrev_i32_e32 v17, 31, v17
	v_mul_lo_u32 v13, s4, v13
	v_mul_lo_u32 v19, s4, v12
	;; [unrolled: 1-line block ×3, first 2 shown]
	v_mad_u64_u32 v[11:12], null, v14, s12, v[10:11]
	v_add3_u32 v10, v17, v15, v1
	v_add_nc_u32_e32 v12, v1, v18
	v_xor_b32_e32 v14, s38, v17
	v_add_nc_u32_e32 v20, v1, v13
	v_add_nc_u32_e32 v22, v1, v19
	v_xor_b32_e32 v17, v10, v17
	v_ashrrev_i32_e32 v25, 31, v12
	v_ashrrev_i32_e32 v12, 31, v11
	;; [unrolled: 1-line block ×4, first 2 shown]
	v_mul_hi_u32 v26, v17, v2
	v_add3_u32 v28, v25, v18, v1
	v_lshlrev_b64 v[10:11], 1, v[11:12]
	v_xor_b32_e32 v27, s38, v25
	v_add3_u32 v30, v20, v13, v1
	v_xor_b32_e32 v29, s38, v20
	v_xor_b32_e32 v12, v28, v25
	v_add3_u32 v34, v22, v19, v1
	v_mul_lo_u32 v25, v26, s29
	v_add_co_u32 v10, vcc_lo, s10, v10
	v_add_co_ci_u32_e32 v11, vcc_lo, s11, v11, vcc_lo
	v_xor_b32_e32 v20, v30, v20
	v_mul_hi_u32 v30, v12, v2
	v_add_nc_u32_e32 v28, 1, v26
	global_load_u16 v10, v[10:11], off
	v_sub_nc_u32_e32 v11, v17, v25
	v_xor_b32_e32 v33, s38, v22
	v_xor_b32_e32 v22, v34, v22
	s_delay_alu instid0(VALU_DEP_3) | instskip(SKIP_2) | instid1(VALU_DEP_4)
	v_subrev_nc_u32_e32 v42, s29, v11
	v_cmp_le_u32_e32 vcc_lo, s29, v11
	v_mul_lo_u32 v17, v30, s29
	v_mul_hi_u32 v35, v22, v2
	s_delay_alu instid0(VALU_DEP_4) | instskip(NEXT) | instid1(VALU_DEP_3)
	v_dual_cndmask_b32 v26, v26, v28 :: v_dual_cndmask_b32 v11, v11, v42
	v_sub_nc_u32_e32 v12, v12, v17
	s_delay_alu instid0(VALU_DEP_2) | instskip(NEXT) | instid1(VALU_DEP_3)
	v_add_nc_u32_e32 v28, 1, v26
	v_cmp_le_u32_e32 vcc_lo, s29, v11
	v_mul_lo_u32 v40, v35, s29
	v_add_nc_u32_e32 v41, 1, v35
	s_delay_alu instid0(VALU_DEP_4) | instskip(SKIP_2) | instid1(VALU_DEP_3)
	v_cndmask_b32_e32 v11, v26, v28, vcc_lo
	v_cmp_le_u32_e32 vcc_lo, s29, v12
	v_add_nc_u32_e32 v21, v1, v16
	v_xor_b32_e32 v11, v11, v14
	s_delay_alu instid0(VALU_DEP_2) | instskip(NEXT) | instid1(VALU_DEP_2)
	v_ashrrev_i32_e32 v21, 31, v21
	v_sub_nc_u32_e32 v14, v11, v14
	s_delay_alu instid0(VALU_DEP_2) | instskip(SKIP_1) | instid1(VALU_DEP_2)
	v_add3_u32 v32, v21, v16, v1
	v_xor_b32_e32 v31, s38, v21
	v_xor_b32_e32 v21, v32, v21
	v_mul_hi_u32 v32, v20, v2
	s_delay_alu instid0(VALU_DEP_2) | instskip(NEXT) | instid1(VALU_DEP_2)
	v_mul_hi_u32 v34, v21, v2
	v_mul_lo_u32 v36, v32, s29
	v_add_nc_u32_e32 v37, 1, v32
	s_delay_alu instid0(VALU_DEP_3) | instskip(SKIP_1) | instid1(VALU_DEP_4)
	v_mul_lo_u32 v38, v34, s29
	v_add_nc_u32_e32 v39, 1, v34
	v_sub_nc_u32_e32 v17, v20, v36
	s_delay_alu instid0(VALU_DEP_3) | instskip(NEXT) | instid1(VALU_DEP_2)
	v_sub_nc_u32_e32 v20, v21, v38
	v_cmp_le_u32_e64 s0, s29, v17
	v_subrev_nc_u32_e32 v28, s29, v17
	v_sub_nc_u32_e32 v21, v22, v40
	s_delay_alu instid0(VALU_DEP_4) | instskip(NEXT) | instid1(VALU_DEP_4)
	v_cmp_le_u32_e64 s1, s29, v20
	v_cndmask_b32_e64 v26, v32, v37, s0
	s_delay_alu instid0(VALU_DEP_4) | instskip(SKIP_2) | instid1(VALU_DEP_4)
	v_cndmask_b32_e64 v17, v17, v28, s0
	v_subrev_nc_u32_e32 v32, s29, v20
	v_cmp_le_u32_e64 s2, s29, v21
	v_add_nc_u32_e32 v28, 1, v26
	v_add_nc_u32_e32 v25, 1, v30
	s_delay_alu instid0(VALU_DEP_4) | instskip(NEXT) | instid1(VALU_DEP_2)
	v_cndmask_b32_e64 v20, v20, v32, s1
	v_cndmask_b32_e32 v22, v30, v25, vcc_lo
	v_subrev_nc_u32_e32 v25, s29, v12
	v_cndmask_b32_e64 v30, v34, v39, s1
	v_cndmask_b32_e64 v34, v35, v41, s2
	v_subrev_nc_u32_e32 v35, s29, v21
	s_delay_alu instid0(VALU_DEP_4) | instskip(NEXT) | instid1(VALU_DEP_4)
	v_dual_cndmask_b32 v12, v12, v25 :: v_dual_add_nc_u32 v25, 1, v22
	v_add_nc_u32_e32 v32, 1, v30
	s_delay_alu instid0(VALU_DEP_3) | instskip(SKIP_1) | instid1(VALU_DEP_4)
	v_cndmask_b32_e64 v21, v21, v35, s2
	v_add_nc_u32_e32 v35, 1, v34
	v_cmp_le_u32_e32 vcc_lo, s29, v12
	v_cndmask_b32_e32 v11, v22, v25, vcc_lo
	v_cmp_le_u32_e32 vcc_lo, s29, v17
	s_delay_alu instid0(VALU_DEP_2) | instskip(SKIP_2) | instid1(VALU_DEP_3)
	v_xor_b32_e32 v11, v11, v27
	v_cndmask_b32_e32 v12, v26, v28, vcc_lo
	v_cmp_le_u32_e32 vcc_lo, s29, v20
	v_sub_nc_u32_e32 v22, v11, v27
	s_delay_alu instid0(VALU_DEP_3) | instskip(SKIP_3) | instid1(VALU_DEP_4)
	v_xor_b32_e32 v12, v12, v29
	v_cndmask_b32_e32 v17, v30, v32, vcc_lo
	v_cmp_le_u32_e32 vcc_lo, s29, v21
	v_mul_lo_u32 v21, v14, s26
	v_sub_nc_u32_e32 v25, v12, v29
	s_delay_alu instid0(VALU_DEP_4) | instskip(SKIP_2) | instid1(VALU_DEP_3)
	v_xor_b32_e32 v17, v17, v31
	v_cndmask_b32_e32 v20, v34, v35, vcc_lo
	v_mul_lo_u32 v12, v22, s26
	v_sub_nc_u32_e32 v26, v17, v31
	s_delay_alu instid0(VALU_DEP_3) | instskip(SKIP_2) | instid1(VALU_DEP_4)
	v_xor_b32_e32 v20, v20, v33
	v_sub_nc_u32_e32 v11, v15, v21
	v_mul_lo_u32 v15, v25, s26
	v_mul_lo_u32 v17, v26, s26
	s_delay_alu instid0(VALU_DEP_4) | instskip(NEXT) | instid1(VALU_DEP_4)
	v_sub_nc_u32_e32 v27, v20, v33
	v_add_nc_u32_e32 v11, v1, v11
	v_sub_nc_u32_e32 v12, v18, v12
	s_delay_alu instid0(VALU_DEP_3) | instskip(NEXT) | instid1(VALU_DEP_3)
	v_mul_lo_u32 v20, v27, s26
	v_mul_lo_u32 v11, v11, s25
	v_sub_nc_u32_e32 v13, v13, v15
	v_sub_nc_u32_e32 v15, v16, v17
	v_add_nc_u32_e32 v17, v1, v12
	s_delay_alu instid0(VALU_DEP_3) | instskip(SKIP_1) | instid1(VALU_DEP_4)
	v_add_nc_u32_e32 v18, v1, v13
	v_sub_nc_u32_e32 v16, v19, v20
	v_add_nc_u32_e32 v15, v1, v15
	v_mad_u64_u32 v[12:13], null, v14, s24, v[11:12]
	v_mul_lo_u32 v11, v17, s25
	s_delay_alu instid0(VALU_DEP_4) | instskip(SKIP_2) | instid1(VALU_DEP_3)
	v_add_nc_u32_e32 v16, v1, v16
	v_mul_lo_u32 v14, v18, s25
	v_mul_lo_u32 v15, v15, s25
	v_mul_lo_u32 v16, v16, s25
	v_ashrrev_i32_e32 v13, 31, v12
	v_mad_u64_u32 v[17:18], null, v22, s24, v[11:12]
	s_delay_alu instid0(VALU_DEP_4) | instskip(NEXT) | instid1(VALU_DEP_3)
	v_mad_u64_u32 v[19:20], null, v25, s24, v[14:15]
	v_lshlrev_b64 v[11:12], 1, v[12:13]
	v_mad_u64_u32 v[21:22], null, v26, s24, v[15:16]
	s_delay_alu instid0(VALU_DEP_4) | instskip(SKIP_3) | instid1(VALU_DEP_4)
	v_ashrrev_i32_e32 v18, 31, v17
	v_mad_u64_u32 v[14:15], null, v27, s24, v[16:17]
	v_ashrrev_i32_e32 v20, 31, v19
	v_add_co_u32 v11, vcc_lo, s16, v11
	v_lshlrev_b64 v[16:17], 1, v[17:18]
	v_ashrrev_i32_e32 v22, 31, v21
	v_add_co_ci_u32_e32 v12, vcc_lo, s17, v12, vcc_lo
	v_lshlrev_b64 v[18:19], 1, v[19:20]
	v_ashrrev_i32_e32 v15, 31, v14
	s_delay_alu instid0(VALU_DEP_4)
	v_lshlrev_b64 v[20:21], 1, v[21:22]
	global_load_u16 v26, v[11:12], off
	v_add_co_u32 v11, vcc_lo, s16, v16
	v_add_co_ci_u32_e32 v12, vcc_lo, s17, v17, vcc_lo
	v_lshlrev_b64 v[13:14], 1, v[14:15]
	v_add_co_u32 v15, vcc_lo, s16, v18
	v_add_co_ci_u32_e32 v16, vcc_lo, s17, v19, vcc_lo
	v_add_co_u32 v17, vcc_lo, s16, v20
	v_add_co_ci_u32_e32 v18, vcc_lo, s17, v21, vcc_lo
	;; [unrolled: 2-line block ×3, first 2 shown]
	s_clause 0x3
	global_load_u16 v27, v[17:18], off
	global_load_u16 v28, v[11:12], off
	;; [unrolled: 1-line block ×4, first 2 shown]
	v_mul_hi_u32 v11, v7, v6
	s_delay_alu instid0(VALU_DEP_1) | instskip(SKIP_1) | instid1(VALU_DEP_2)
	v_mul_lo_u32 v12, v11, s35
	v_add_nc_u32_e32 v13, 1, v11
	v_sub_nc_u32_e32 v7, v7, v12
	s_delay_alu instid0(VALU_DEP_1) | instskip(SKIP_1) | instid1(VALU_DEP_4)
	v_subrev_nc_u32_e32 v12, s35, v7
	v_cmp_le_u32_e32 vcc_lo, s35, v7
	v_cndmask_b32_e32 v11, v11, v13, vcc_lo
	s_delay_alu instid0(VALU_DEP_3) | instskip(SKIP_1) | instid1(VALU_DEP_3)
	v_cndmask_b32_e32 v7, v7, v12, vcc_lo
	v_mul_lo_u32 v13, s44, v24
	v_add_nc_u32_e32 v12, 1, v11
	s_delay_alu instid0(VALU_DEP_3) | instskip(NEXT) | instid1(VALU_DEP_2)
	v_cmp_le_u32_e32 vcc_lo, s35, v7
	v_cndmask_b32_e32 v7, v11, v12, vcc_lo
	v_lshlrev_b32_e32 v11, 1, v23
	s_delay_alu instid0(VALU_DEP_2) | instskip(NEXT) | instid1(VALU_DEP_2)
	v_xor_b32_e32 v7, v7, v8
	v_sub_nc_u32_e32 v9, v11, v9
	v_add_nc_u32_e32 v11, v1, v13
	s_delay_alu instid0(VALU_DEP_3) | instskip(NEXT) | instid1(VALU_DEP_2)
	v_sub_nc_u32_e32 v12, v7, v8
	v_ashrrev_i32_e32 v11, 31, v11
	s_delay_alu instid0(VALU_DEP_2) | instskip(SKIP_2) | instid1(VALU_DEP_4)
	v_mad_u64_u32 v[7:8], null, s46, v12, v[1:2]
	v_or_b32_e32 v8, 1, v9
	v_add_nc_u32_e32 v9, 2, v9
	v_xor_b32_e32 v17, s41, v11
	s_delay_alu instid0(VALU_DEP_3) | instskip(SKIP_1) | instid1(VALU_DEP_4)
	v_mul_lo_u32 v14, s4, v8
	v_mul_lo_u32 v7, v7, s23
	;; [unrolled: 1-line block ×3, first 2 shown]
	s_delay_alu instid0(VALU_DEP_2) | instskip(SKIP_2) | instid1(VALU_DEP_4)
	v_mad_u64_u32 v[8:9], null, v12, s22, v[7:8]
	v_add3_u32 v7, v11, v13, v1
	v_add_nc_u32_e32 v9, v1, v14
	v_add_nc_u32_e32 v16, v1, v15
	v_xor_b32_e32 v12, s40, v11
	s_delay_alu instid0(VALU_DEP_4) | instskip(NEXT) | instid1(VALU_DEP_4)
	v_xor_b32_e32 v11, v7, v11
	v_ashrrev_i32_e32 v18, 31, v9
	s_delay_alu instid0(VALU_DEP_4) | instskip(SKIP_1) | instid1(VALU_DEP_4)
	v_ashrrev_i32_e32 v16, 31, v16
	v_ashrrev_i32_e32 v9, 31, v8
	v_mul_hi_u32 v19, v11, v4
	v_mul_hi_u32 v24, v11, v5
	v_add3_u32 v21, v18, v14, v1
	v_add3_u32 v23, v16, v15, v1
	v_xor_b32_e32 v20, s40, v18
	v_xor_b32_e32 v22, s40, v16
	;; [unrolled: 1-line block ×4, first 2 shown]
	v_lshlrev_b64 v[7:8], 1, v[8:9]
	v_xor_b32_e32 v9, v21, v18
	v_xor_b32_e32 v16, v23, v16
	v_mul_lo_u32 v18, v19, s33
	v_mul_lo_u32 v23, v24, s34
	v_add_nc_u32_e32 v21, 1, v19
	v_add_co_u32 v7, vcc_lo, s14, v7
	v_add_co_ci_u32_e32 v8, vcc_lo, s15, v8, vcc_lo
	v_mul_hi_u32 v33, v9, v4
	v_sub_nc_u32_e32 v18, v11, v18
	v_sub_nc_u32_e32 v11, v11, v23
	v_mul_hi_u32 v35, v9, v5
	v_add_nc_u32_e32 v32, 1, v24
	v_mul_hi_u32 v34, v16, v4
	v_cmp_le_u32_e32 vcc_lo, s33, v18
	v_cmp_le_u32_e64 s0, s34, v11
	v_mul_lo_u32 v23, v33, s33
	v_subrev_nc_u32_e32 v44, s33, v18
	v_mul_hi_u32 v36, v16, v5
	v_cndmask_b32_e32 v19, v19, v21, vcc_lo
	v_cndmask_b32_e64 v21, v24, v32, s0
	v_subrev_nc_u32_e32 v24, s34, v11
	v_mul_lo_u32 v40, v35, s34
	v_add_nc_u32_e32 v41, 1, v35
	v_sub_nc_u32_e32 v23, v9, v23
	v_mul_lo_u32 v38, v34, s33
	v_cndmask_b32_e64 v11, v11, v24, s0
	v_add_nc_u32_e32 v24, 1, v21
	v_cndmask_b32_e32 v18, v18, v44, vcc_lo
	v_mul_lo_u32 v42, v36, s34
	v_sub_nc_u32_e32 v9, v9, v40
	v_cmp_le_u32_e64 s1, s34, v11
	v_add_nc_u32_e32 v37, 1, v33
	v_sub_nc_u32_e32 v38, v16, v38
	v_cmp_le_u32_e32 vcc_lo, s33, v18
	v_add_nc_u32_e32 v39, 1, v34
	v_cndmask_b32_e64 v11, v21, v24, s1
	v_cmp_le_u32_e64 s1, s34, v9
	v_subrev_nc_u32_e32 v24, s34, v9
	v_cmp_le_u32_e64 s0, s33, v38
	v_sub_nc_u32_e32 v16, v16, v42
	v_add_nc_u32_e32 v43, 1, v36
	v_cndmask_b32_e64 v21, v35, v41, s1
	v_cndmask_b32_e64 v9, v9, v24, s1
	v_xor_b32_e32 v11, v11, v17
	v_cmp_le_u32_e64 s2, s34, v16
	s_delay_alu instid0(VALU_DEP_4) | instskip(SKIP_1) | instid1(VALU_DEP_4)
	v_add_nc_u32_e32 v24, 1, v21
	v_add_nc_u32_e32 v32, 1, v19
	v_sub_nc_u32_e32 v17, v11, v17
	s_delay_alu instid0(VALU_DEP_4) | instskip(SKIP_1) | instid1(VALU_DEP_4)
	v_cndmask_b32_e64 v35, v36, v43, s2
	v_subrev_nc_u32_e32 v36, s34, v16
	v_cndmask_b32_e32 v18, v19, v32, vcc_lo
	v_cmp_le_u32_e32 vcc_lo, s33, v23
	v_subrev_nc_u32_e32 v32, s33, v23
	s_delay_alu instid0(VALU_DEP_4)
	v_cndmask_b32_e64 v16, v16, v36, s2
	v_add_nc_u32_e32 v36, 1, v35
	v_xor_b32_e32 v18, v18, v12
	v_cndmask_b32_e32 v19, v33, v37, vcc_lo
	v_cndmask_b32_e64 v33, v34, v39, s0
	v_subrev_nc_u32_e32 v34, s33, v38
	v_cndmask_b32_e32 v23, v23, v32, vcc_lo
	v_sub_nc_u32_e32 v18, v18, v12
	v_add_nc_u32_e32 v32, 1, v19
	v_add_nc_u32_e32 v37, 1, v33
	v_cndmask_b32_e64 v34, v38, v34, s0
	v_cmp_le_u32_e32 vcc_lo, s33, v23
	s_delay_alu instid0(VALU_DEP_4) | instskip(NEXT) | instid1(VALU_DEP_3)
	v_cndmask_b32_e32 v12, v19, v32, vcc_lo
	v_cmp_le_u32_e32 vcc_lo, s33, v34
	s_delay_alu instid0(VALU_DEP_2) | instskip(SKIP_2) | instid1(VALU_DEP_3)
	v_xor_b32_e32 v12, v12, v20
	v_cndmask_b32_e32 v19, v33, v37, vcc_lo
	v_cmp_le_u32_e32 vcc_lo, s34, v9
	v_sub_nc_u32_e32 v20, v12, v20
	s_delay_alu instid0(VALU_DEP_3)
	v_xor_b32_e32 v19, v19, v22
	v_cndmask_b32_e32 v9, v21, v24, vcc_lo
	v_cmp_le_u32_e32 vcc_lo, s34, v16
	v_mul_lo_u32 v16, v18, s27
	v_mul_lo_u32 v21, v17, s28
	v_sub_nc_u32_e32 v22, v19, v22
	v_xor_b32_e32 v9, v9, v25
	v_cndmask_b32_e32 v11, v35, v36, vcc_lo
	v_mul_lo_u32 v12, v20, s27
	s_delay_alu instid0(VALU_DEP_3) | instskip(NEXT) | instid1(VALU_DEP_3)
	v_sub_nc_u32_e32 v24, v9, v25
	v_xor_b32_e32 v11, v11, v31
	v_sub_nc_u32_e32 v9, v13, v16
	s_delay_alu instid0(VALU_DEP_3) | instskip(NEXT) | instid1(VALU_DEP_3)
	v_mul_lo_u32 v16, v24, s28
	v_sub_nc_u32_e32 v31, v11, v31
	v_sub_nc_u32_e32 v11, v13, v21
	v_mul_lo_u32 v13, v22, s27
	v_add_nc_u32_e32 v9, v1, v9
	v_sub_nc_u32_e32 v12, v14, v12
	v_mul_lo_u32 v19, v31, s28
	v_add_nc_u32_e32 v11, v1, v11
	v_sub_nc_u32_e32 v14, v14, v16
	v_mul_lo_u32 v9, v9, s19
	v_sub_nc_u32_e32 v13, v15, v13
	s_delay_alu instid0(VALU_DEP_4) | instskip(NEXT) | instid1(VALU_DEP_4)
	v_mul_lo_u32 v11, v11, s9
	v_add_nc_u32_e32 v21, v1, v14
	v_sub_nc_u32_e32 v15, v15, v19
	s_delay_alu instid0(VALU_DEP_4) | instskip(NEXT) | instid1(VALU_DEP_2)
	v_add_nc_u32_e32 v19, v1, v13
	v_add_nc_u32_e32 v23, v1, v15
	s_waitcnt vmcnt(0)
	v_cvt_f32_f16_e32 v30, v30
	v_add_nc_u32_e32 v16, v1, v12
	v_mad_u64_u32 v[12:13], null, v18, s18, v[9:10]
	v_add_nc_u32_e32 v1, s31, v1
	s_delay_alu instid0(VALU_DEP_3) | instskip(SKIP_1) | instid1(VALU_DEP_3)
	v_mul_lo_u32 v9, v16, s19
	v_mul_lo_u32 v16, v21, s9
	v_cmp_le_i32_e32 vcc_lo, s5, v1
	v_mad_u64_u32 v[14:15], null, v17, s8, v[11:12]
	v_mul_lo_u32 v11, v19, s19
	v_mul_lo_u32 v17, v23, s9
	v_mad_u64_u32 v[18:19], null, v20, s18, v[9:10]
	v_ashrrev_i32_e32 v13, 31, v12
	v_cvt_f32_f16_e32 v9, v10
	v_ashrrev_i32_e32 v15, 31, v14
	s_or_b32 s37, vcc_lo, s37
	v_mad_u64_u32 v[20:21], null, v22, s18, v[11:12]
	v_mad_u64_u32 v[22:23], null, v24, s8, v[16:17]
	;; [unrolled: 1-line block ×3, first 2 shown]
	v_ashrrev_i32_e32 v19, 31, v18
	v_lshlrev_b64 v[11:12], 1, v[12:13]
	v_ashrrev_i32_e32 v21, 31, v20
	v_lshlrev_b64 v[13:14], 1, v[14:15]
	;; [unrolled: 2-line block ×4, first 2 shown]
	v_add_co_u32 v11, vcc_lo, s6, v11
	v_lshlrev_b64 v[19:20], 1, v[22:23]
	s_delay_alu instid0(VALU_DEP_4)
	v_lshlrev_b64 v[21:22], 1, v[24:25]
	v_cvt_f32_f16_e32 v25, v28
	v_cvt_f32_f16_e32 v24, v27
	;; [unrolled: 1-line block ×3, first 2 shown]
	v_fma_mix_f32 v29, -v29, v29, s47 op_sel_hi:[1,1,0]
	v_cvt_f32_f16_e32 v23, v26
	v_sub_f32_e32 v25, 1.0, v25
	v_add_co_ci_u32_e32 v12, vcc_lo, s7, v12, vcc_lo
	v_sub_f32_e32 v24, v24, v27
	s_delay_alu instid0(VALU_DEP_4) | instskip(NEXT) | instid1(VALU_DEP_4)
	v_sub_f32_e32 v23, 1.0, v23
	v_mul_f32_e32 v27, v25, v9
	v_add_co_u32 v13, vcc_lo, s20, v13
	s_delay_alu instid0(VALU_DEP_4) | instskip(SKIP_1) | instid1(VALU_DEP_4)
	v_mul_f32_e32 v9, v24, v9
	v_add_co_ci_u32_e32 v14, vcc_lo, s21, v14, vcc_lo
	v_mul_f32_e32 v24, v29, v27
	v_add_co_u32 v15, vcc_lo, s6, v15
	s_delay_alu instid0(VALU_DEP_4) | instskip(SKIP_1) | instid1(VALU_DEP_4)
	v_mul_f32_e32 v9, v25, v9
	v_fma_mixlo_f16 v25, v29, v27, 0
	v_mul_f32_e32 v27, v24, v30
	v_add_co_ci_u32_e32 v16, vcc_lo, s7, v16, vcc_lo
	v_add_co_u32 v17, vcc_lo, s6, v17
	s_delay_alu instid0(VALU_DEP_3) | instskip(SKIP_2) | instid1(VALU_DEP_3)
	v_mul_f32_e32 v23, v23, v27
	v_add_co_ci_u32_e32 v18, vcc_lo, s7, v18, vcc_lo
	v_add_co_u32 v19, vcc_lo, s20, v19
	v_fma_mixlo_f16 v23, v23, v26, 0 op_sel_hi:[0,1,0]
	v_fma_mixlo_f16 v9, v9, v28, 0 op_sel_hi:[0,1,0]
	v_add_co_ci_u32_e32 v20, vcc_lo, s21, v20, vcc_lo
	v_add_co_u32 v21, vcc_lo, s20, v21
	v_add_co_ci_u32_e32 v22, vcc_lo, s21, v22, vcc_lo
	v_mul_f16_e32 v10, v28, v10
	v_fma_mixlo_f16 v24, v24, v26, 0 op_sel_hi:[0,1,0]
	s_clause 0x2
	global_store_b16 v[11:12], v23, off
	global_store_b16 v[15:16], v9, off
	;; [unrolled: 1-line block ×3, first 2 shown]
	s_clause 0x2
	global_store_b16 v[13:14], v23, off
	global_store_b16 v[19:20], v9, off
	;; [unrolled: 1-line block ×4, first 2 shown]
	s_and_not1_b32 exec_lo, exec_lo, s37
	s_cbranch_execnz .LBB57_2
.LBB57_3:
	s_nop 0
	s_sendmsg sendmsg(MSG_DEALLOC_VGPRS)
	s_endpgm
	.section	.rodata,"a",@progbits
	.p2align	6, 0x0
	.amdhsa_kernel _ZN2at6native12_GLOBAL__N_16kernel17gru_cell_backwardIN3c104HalfEfiLi2EEEvNS_4cuda6detail10TensorInfoIT_T1_EESB_SB_SB_SB_SA_SA_
		.amdhsa_group_segment_fixed_size 0
		.amdhsa_private_segment_fixed_size 0
		.amdhsa_kernarg_size 1344
		.amdhsa_user_sgpr_count 15
		.amdhsa_user_sgpr_dispatch_ptr 0
		.amdhsa_user_sgpr_queue_ptr 0
		.amdhsa_user_sgpr_kernarg_segment_ptr 1
		.amdhsa_user_sgpr_dispatch_id 0
		.amdhsa_user_sgpr_private_segment_size 0
		.amdhsa_wavefront_size32 1
		.amdhsa_uses_dynamic_stack 0
		.amdhsa_enable_private_segment 0
		.amdhsa_system_sgpr_workgroup_id_x 1
		.amdhsa_system_sgpr_workgroup_id_y 0
		.amdhsa_system_sgpr_workgroup_id_z 0
		.amdhsa_system_sgpr_workgroup_info 0
		.amdhsa_system_vgpr_workitem_id 0
		.amdhsa_next_free_vgpr 45
		.amdhsa_next_free_sgpr 48
		.amdhsa_reserve_vcc 1
		.amdhsa_float_round_mode_32 0
		.amdhsa_float_round_mode_16_64 0
		.amdhsa_float_denorm_mode_32 3
		.amdhsa_float_denorm_mode_16_64 3
		.amdhsa_dx10_clamp 1
		.amdhsa_ieee_mode 1
		.amdhsa_fp16_overflow 0
		.amdhsa_workgroup_processor_mode 1
		.amdhsa_memory_ordered 1
		.amdhsa_forward_progress 0
		.amdhsa_shared_vgpr_count 0
		.amdhsa_exception_fp_ieee_invalid_op 0
		.amdhsa_exception_fp_denorm_src 0
		.amdhsa_exception_fp_ieee_div_zero 0
		.amdhsa_exception_fp_ieee_overflow 0
		.amdhsa_exception_fp_ieee_underflow 0
		.amdhsa_exception_fp_ieee_inexact 0
		.amdhsa_exception_int_div_zero 0
	.end_amdhsa_kernel
	.section	.text._ZN2at6native12_GLOBAL__N_16kernel17gru_cell_backwardIN3c104HalfEfiLi2EEEvNS_4cuda6detail10TensorInfoIT_T1_EESB_SB_SB_SB_SA_SA_,"axG",@progbits,_ZN2at6native12_GLOBAL__N_16kernel17gru_cell_backwardIN3c104HalfEfiLi2EEEvNS_4cuda6detail10TensorInfoIT_T1_EESB_SB_SB_SB_SA_SA_,comdat
.Lfunc_end57:
	.size	_ZN2at6native12_GLOBAL__N_16kernel17gru_cell_backwardIN3c104HalfEfiLi2EEEvNS_4cuda6detail10TensorInfoIT_T1_EESB_SB_SB_SB_SA_SA_, .Lfunc_end57-_ZN2at6native12_GLOBAL__N_16kernel17gru_cell_backwardIN3c104HalfEfiLi2EEEvNS_4cuda6detail10TensorInfoIT_T1_EESB_SB_SB_SB_SA_SA_
                                        ; -- End function
	.section	.AMDGPU.csdata,"",@progbits
; Kernel info:
; codeLenInByte = 3068
; NumSgprs: 50
; NumVgprs: 45
; ScratchSize: 0
; MemoryBound: 0
; FloatMode: 240
; IeeeMode: 1
; LDSByteSize: 0 bytes/workgroup (compile time only)
; SGPRBlocks: 6
; VGPRBlocks: 5
; NumSGPRsForWavesPerEU: 50
; NumVGPRsForWavesPerEU: 45
; Occupancy: 16
; WaveLimiterHint : 1
; COMPUTE_PGM_RSRC2:SCRATCH_EN: 0
; COMPUTE_PGM_RSRC2:USER_SGPR: 15
; COMPUTE_PGM_RSRC2:TRAP_HANDLER: 0
; COMPUTE_PGM_RSRC2:TGID_X_EN: 1
; COMPUTE_PGM_RSRC2:TGID_Y_EN: 0
; COMPUTE_PGM_RSRC2:TGID_Z_EN: 0
; COMPUTE_PGM_RSRC2:TIDIG_COMP_CNT: 0
	.section	.text._ZN2at6native12_GLOBAL__N_16kernel17gru_cell_backwardIN3c104HalfEflLi1EEEvNS_4cuda6detail10TensorInfoIT_T1_EESB_SB_SB_SB_SA_SA_,"axG",@progbits,_ZN2at6native12_GLOBAL__N_16kernel17gru_cell_backwardIN3c104HalfEflLi1EEEvNS_4cuda6detail10TensorInfoIT_T1_EESB_SB_SB_SB_SA_SA_,comdat
	.globl	_ZN2at6native12_GLOBAL__N_16kernel17gru_cell_backwardIN3c104HalfEflLi1EEEvNS_4cuda6detail10TensorInfoIT_T1_EESB_SB_SB_SB_SA_SA_ ; -- Begin function _ZN2at6native12_GLOBAL__N_16kernel17gru_cell_backwardIN3c104HalfEflLi1EEEvNS_4cuda6detail10TensorInfoIT_T1_EESB_SB_SB_SB_SA_SA_
	.p2align	8
	.type	_ZN2at6native12_GLOBAL__N_16kernel17gru_cell_backwardIN3c104HalfEflLi1EEEvNS_4cuda6detail10TensorInfoIT_T1_EESB_SB_SB_SB_SA_SA_,@function
_ZN2at6native12_GLOBAL__N_16kernel17gru_cell_backwardIN3c104HalfEflLi1EEEvNS_4cuda6detail10TensorInfoIT_T1_EESB_SB_SB_SB_SA_SA_: ; @_ZN2at6native12_GLOBAL__N_16kernel17gru_cell_backwardIN3c104HalfEflLi1EEEvNS_4cuda6detail10TensorInfoIT_T1_EESB_SB_SB_SB_SA_SA_
; %bb.0:
	s_clause 0x1
	s_load_b32 s8, s[0:1], 0x83c
	s_load_b128 s[4:7], s[0:1], 0x820
	v_mov_b32_e32 v1, 0
	s_add_u32 s2, s0, 0x830
	s_addc_u32 s3, s1, 0
	s_waitcnt lgkmcnt(0)
	s_and_b32 s22, s8, 0xffff
	s_mov_b32 s8, exec_lo
	v_mad_u64_u32 v[3:4], null, s15, s22, v[0:1]
	v_mov_b32_e32 v4, v1
	s_delay_alu instid0(VALU_DEP_1)
	v_cmpx_gt_i64_e64 s[6:7], v[3:4]
	s_cbranch_execz .LBB58_7
; %bb.1:
	s_clause 0x1
	s_load_b64 s[24:25], s[0:1], 0x410
	s_load_b64 s[26:27], s[0:1], 0x340
	s_load_b32 s23, s[2:3], 0x0
	s_clause 0x1
	s_load_b64 s[28:29], s[0:1], 0x5b0
	s_load_b64 s[34:35], s[0:1], 0x4e0
	v_cvt_f32_u32_e32 v0, s4
	s_clause 0x5
	s_load_b64 s[2:3], s[0:1], 0x0
	s_load_b64 s[8:9], s[0:1], 0xd0
	;; [unrolled: 1-line block ×6, first 2 shown]
	s_sub_i32 s0, 0, s4
	s_mov_b32 s1, 0
	v_rcp_iflag_f32_e32 v0, v0
	s_lshl_b64 s[18:19], s[4:5], 2
	s_lshl_b64 s[20:21], s[4:5], 1
	s_mov_b32 s31, 1.0
	s_waitcnt_depctr 0xfff
	v_mul_f32_e32 v0, 0x4f7ffffe, v0
	s_waitcnt lgkmcnt(0)
	v_mul_lo_u32 v2, 0, s24
	v_mul_lo_u32 v7, v3, s25
	v_mad_u64_u32 v[5:6], null, v3, s24, 0
	v_mul_lo_u32 v9, 0, s28
	v_mul_lo_u32 v10, v3, s29
	v_cvt_u32_f32_e32 v0, v0
	s_mul_i32 s30, s23, s22
	s_delay_alu instid0(SALU_CYCLE_1) | instskip(NEXT) | instid1(VALU_DEP_4)
	s_mul_i32 s23, s30, s25
	v_add3_u32 v6, v6, v7, v2
	v_mad_u64_u32 v[7:8], null, v3, s28, 0
	v_mul_lo_u32 v2, s0, v0
	s_mul_hi_u32 s25, s30, s24
	s_delay_alu instid0(VALU_DEP_3) | instskip(SKIP_3) | instid1(VALU_DEP_3)
	v_lshlrev_b64 v[5:6], 1, v[5:6]
	s_mul_i32 s22, s30, s24
	s_mul_i32 s0, s30, s29
	s_mul_hi_u32 s24, s30, s28
	v_add3_u32 v8, v8, v10, v9
	s_add_i32 s23, s25, s23
	v_mul_hi_u32 v2, v0, v2
	v_add_co_u32 v5, vcc_lo, s26, v5
	s_delay_alu instid0(VALU_DEP_3) | instskip(SKIP_3) | instid1(VALU_DEP_4)
	v_lshlrev_b64 v[7:8], 1, v[7:8]
	v_add_co_ci_u32_e32 v6, vcc_lo, s27, v6, vcc_lo
	s_add_i32 s25, s24, s0
	s_mul_i32 s24, s30, s28
	v_add_nc_u32_e32 v0, v0, v2
	s_delay_alu instid0(VALU_DEP_3)
	v_add_co_u32 v7, vcc_lo, s34, v7
	v_add_co_ci_u32_e32 v8, vcc_lo, s35, v8, vcc_lo
	s_lshl_b64 s[22:23], s[22:23], 1
	s_lshl_b64 s[24:25], s[24:25], 1
	s_ashr_i32 s26, s5, 31
	s_branch .LBB58_3
.LBB58_2:                               ;   in Loop: Header=BB58_3 Depth=1
	s_or_b32 exec_lo, exec_lo, s0
	s_delay_alu instid0(VALU_DEP_1) | instskip(SKIP_3) | instid1(VALU_DEP_4)
	v_lshlrev_b64 v[11:12], 2, v[9:10]
	v_mad_u64_u32 v[13:14], null, s18, v9, v[3:4]
	v_mul_lo_u32 v17, s18, v10
	v_mul_lo_u32 v18, s19, v9
	v_or_b32_e32 v2, 1, v11
	v_mul_lo_u32 v23, s4, v12
	v_or_b32_e32 v19, 2, v11
	v_mul_lo_u32 v25, v13, s17
	s_delay_alu instid0(VALU_DEP_4)
	v_mul_lo_u32 v20, s5, v2
	v_mad_u64_u32 v[15:16], null, s4, v2, v[3:4]
	v_add3_u32 v24, v18, v14, v17
	v_mul_lo_u32 v21, s5, v19
	v_mad_u64_u32 v[17:18], null, s4, v19, v[3:4]
	v_or_b32_e32 v2, 3, v11
	v_add3_u32 v14, v20, v16, v23
	v_mul_lo_u32 v16, v15, s17
	v_mad_u64_u32 v[19:20], null, v15, s16, 0
	s_delay_alu instid0(VALU_DEP_3)
	v_mul_lo_u32 v26, v14, s16
	v_mad_u64_u32 v[14:15], null, v13, s16, 0
	v_add3_u32 v13, v21, v18, v23
	v_mul_lo_u32 v18, s5, v2
	v_mad_u64_u32 v[21:22], null, s4, v2, v[3:4]
	v_mul_lo_u32 v2, v24, s16
	v_add_co_u32 v24, vcc_lo, v11, 4
	v_add3_u32 v20, v20, v16, v26
	v_add_co_ci_u32_e32 v16, vcc_lo, 0, v12, vcc_lo
	v_add3_u32 v22, v18, v22, v23
	v_mul_lo_u32 v13, v13, s16
	v_mul_lo_u32 v26, v17, s17
	v_mad_u64_u32 v[11:12], null, v17, s16, 0
	v_mul_lo_u32 v27, s4, v16
	v_mul_lo_u32 v28, s5, v24
	v_mad_u64_u32 v[16:17], null, s4, v24, v[3:4]
	v_add3_u32 v15, v15, v25, v2
	v_lshlrev_b64 v[18:19], 1, v[19:20]
	v_mul_lo_u32 v2, v22, s16
	v_mul_lo_u32 v20, v21, s17
	v_mad_u64_u32 v[22:23], null, v21, s16, 0
	v_add3_u32 v12, v12, v26, v13
	v_add3_u32 v13, v28, v17, v27
	v_add_co_u32 v17, vcc_lo, s14, v18
	v_add_co_ci_u32_e32 v18, vcc_lo, s15, v19, vcc_lo
	v_add3_u32 v23, v23, v20, v2
	v_lshlrev_b64 v[11:12], 1, v[11:12]
	v_mul_lo_u32 v2, v13, s16
	v_mul_lo_u32 v21, v16, s17
	v_mad_u64_u32 v[19:20], null, v16, s16, 0
	v_lshlrev_b64 v[13:14], 1, v[14:15]
	v_lshlrev_b64 v[15:16], 1, v[22:23]
	v_add_co_u32 v11, vcc_lo, s14, v11
	v_add_co_ci_u32_e32 v12, vcc_lo, s15, v12, vcc_lo
	v_add3_u32 v20, v20, v21, v2
	s_delay_alu instid0(VALU_DEP_4)
	v_add_co_u32 v15, vcc_lo, s14, v15
	v_add_co_ci_u32_e32 v16, vcc_lo, s15, v16, vcc_lo
	global_load_u16 v24, v[17:18], off
	v_lshlrev_b64 v[17:18], 1, v[19:20]
	global_load_u16 v2, v[5:6], off
	s_clause 0x1
	global_load_u16 v25, v[11:12], off
	global_load_u16 v26, v[15:16], off
	v_add_co_u32 v13, vcc_lo, s14, v13
	v_add_co_ci_u32_e32 v14, vcc_lo, s15, v14, vcc_lo
	v_add_co_u32 v11, vcc_lo, s14, v17
	v_add_co_ci_u32_e32 v12, vcc_lo, s15, v18, vcc_lo
	s_clause 0x1
	global_load_u16 v27, v[13:14], off
	global_load_u16 v28, v[11:12], off
	v_lshlrev_b64 v[13:14], 1, v[9:10]
	v_add_co_u32 v5, vcc_lo, v5, s22
	v_mad_u64_u32 v[11:12], null, s20, v9, v[3:4]
	v_mul_lo_u32 v15, s20, v10
	v_mul_lo_u32 v9, s21, v9
	v_add_co_ci_u32_e32 v6, vcc_lo, s23, v6, vcc_lo
	v_add_co_u32 v19, vcc_lo, v13, 2
	v_or_b32_e32 v16, 1, v13
	v_add_co_ci_u32_e32 v20, vcc_lo, 0, v14, vcc_lo
	v_mul_lo_u32 v18, s4, v14
	v_add3_u32 v21, v9, v12, v15
	v_mul_lo_u32 v29, v11, s9
	v_mad_u64_u32 v[9:10], null, v11, s8, 0
	v_mul_lo_u32 v30, v11, s13
	v_mad_u64_u32 v[12:13], null, v11, s12, 0
	;; [unrolled: 2-line block ×3, first 2 shown]
	v_mad_u64_u32 v[16:17], null, s4, v19, v[3:4]
	v_mul_lo_u32 v20, s4, v20
	v_mul_lo_u32 v22, s5, v19
	;; [unrolled: 1-line block ×4, first 2 shown]
	v_add3_u32 v11, v11, v15, v18
	v_mul_lo_u32 v33, v14, s9
	v_mad_u64_u32 v[18:19], null, v14, s8, 0
	v_mul_lo_u32 v34, v16, s9
	v_add3_u32 v17, v22, v17, v20
	v_mad_u64_u32 v[20:21], null, v16, s8, 0
	v_mul_lo_u32 v35, v14, s13
	v_mad_u64_u32 v[22:23], null, v14, s12, 0
	v_mul_lo_u32 v36, v16, s13
	v_add3_u32 v10, v10, v29, v31
	v_mad_u64_u32 v[14:15], null, v16, s12, 0
	v_add3_u32 v13, v13, v30, v32
	v_mul_lo_u32 v16, v11, s8
	v_mul_lo_u32 v29, v17, s8
	;; [unrolled: 1-line block ×4, first 2 shown]
	v_lshlrev_b64 v[11:12], 1, v[12:13]
	v_lshlrev_b64 v[9:10], 1, v[9:10]
	v_add_co_u32 v3, vcc_lo, v3, s30
	v_add3_u32 v19, v19, v33, v16
	v_add3_u32 v21, v21, v34, v29
	;; [unrolled: 1-line block ×4, first 2 shown]
	v_add_co_u32 v9, s0, s2, v9
	v_lshlrev_b64 v[16:17], 1, v[18:19]
	v_lshlrev_b64 v[18:19], 1, v[20:21]
	v_lshlrev_b64 v[20:21], 1, v[22:23]
	v_add_co_ci_u32_e64 v10, s0, s3, v10, s0
	v_add_co_u32 v11, s0, s10, v11
	s_delay_alu instid0(VALU_DEP_1) | instskip(SKIP_1) | instid1(VALU_DEP_1)
	v_add_co_ci_u32_e64 v12, s0, s11, v12, s0
	v_add_co_ci_u32_e32 v4, vcc_lo, 0, v4, vcc_lo
	v_cmp_le_i64_e32 vcc_lo, s[6:7], v[3:4]
	s_or_b32 s1, vcc_lo, s1
	s_waitcnt vmcnt(5)
	v_cvt_f32_f16_e32 v13, v24
	s_waitcnt vmcnt(3)
	v_cvt_f32_f16_e32 v29, v25
	;; [unrolled: 2-line block ×3, first 2 shown]
	v_cvt_f32_f16_e32 v22, v2
	v_fma_mix_f32 v25, -v25, v25, s31 op_sel_hi:[1,1,0]
	v_mul_f16_e32 v2, v24, v2
	s_delay_alu instid0(VALU_DEP_4)
	v_sub_f32_e32 v26, v26, v29
	v_sub_f32_e32 v23, 1.0, v13
	v_lshlrev_b64 v[13:14], 1, v[14:15]
	v_add_co_u32 v15, s0, s2, v16
	s_waitcnt vmcnt(1)
	v_cvt_f32_f16_e32 v31, v27
	v_mul_f32_e32 v30, v23, v22
	s_waitcnt vmcnt(0)
	v_cvt_f32_f16_e32 v28, v28
	v_add_co_ci_u32_e64 v16, s0, s3, v17, s0
	v_sub_f32_e32 v31, 1.0, v31
	v_mul_f32_e32 v29, v25, v30
	v_add_co_u32 v17, s0, s2, v18
	v_mul_f32_e32 v22, v26, v22
	v_add_co_ci_u32_e64 v18, s0, s3, v19, s0
	s_delay_alu instid0(VALU_DEP_4) | instskip(SKIP_1) | instid1(VALU_DEP_1)
	v_mul_f32_e32 v26, v29, v28
	v_add_co_u32 v19, s0, s10, v20
	v_add_co_ci_u32_e64 v20, s0, s11, v21, s0
	v_mul_f32_e32 v21, v23, v22
	s_delay_alu instid0(VALU_DEP_4) | instskip(SKIP_2) | instid1(VALU_DEP_4)
	v_mul_f32_e32 v22, v31, v26
	v_add_co_u32 v13, s0, s10, v13
	v_fma_mixlo_f16 v23, v25, v30, 0
	v_fma_mixlo_f16 v21, v21, v24, 0 op_sel_hi:[0,1,0]
	s_delay_alu instid0(VALU_DEP_4)
	v_fma_mixlo_f16 v22, v22, v27, 0 op_sel_hi:[0,1,0]
	v_add_co_ci_u32_e64 v14, s0, s11, v14, s0
	v_fma_mixlo_f16 v24, v29, v27, 0 op_sel_hi:[0,1,0]
	s_clause 0x2
	global_store_b16 v[9:10], v22, off
	global_store_b16 v[15:16], v21, off
	;; [unrolled: 1-line block ×3, first 2 shown]
	s_clause 0x2
	global_store_b16 v[11:12], v22, off
	global_store_b16 v[19:20], v21, off
	;; [unrolled: 1-line block ×4, first 2 shown]
	v_add_co_u32 v7, s0, v7, s24
	s_delay_alu instid0(VALU_DEP_1)
	v_add_co_ci_u32_e64 v8, s0, s25, v8, s0
	s_and_not1_b32 exec_lo, exec_lo, s1
	s_cbranch_execz .LBB58_7
.LBB58_3:                               ; =>This Inner Loop Header: Depth=1
	v_or_b32_e32 v2, s5, v4
                                        ; implicit-def: $vgpr9_vgpr10
	s_mov_b32 s0, exec_lo
	s_delay_alu instid0(VALU_DEP_1)
	v_cmpx_ne_u64_e32 0, v[1:2]
	s_xor_b32 s33, exec_lo, s0
	s_cbranch_execz .LBB58_5
; %bb.4:                                ;   in Loop: Header=BB58_3 Depth=1
	s_add_u32 s28, s4, s26
	s_mov_b32 s27, s26
	s_addc_u32 s29, s5, s26
	s_delay_alu instid0(SALU_CYCLE_1) | instskip(NEXT) | instid1(SALU_CYCLE_1)
	s_xor_b64 s[28:29], s[28:29], s[26:27]
	v_cvt_f32_u32_e32 v2, s28
	v_cvt_f32_u32_e32 v9, s29
	s_sub_u32 s0, 0, s28
	s_subb_u32 s27, 0, s29
	s_delay_alu instid0(VALU_DEP_1) | instskip(NEXT) | instid1(VALU_DEP_1)
	v_fmac_f32_e32 v2, 0x4f800000, v9
	v_rcp_f32_e32 v2, v2
	s_waitcnt_depctr 0xfff
	v_mul_f32_e32 v2, 0x5f7ffffc, v2
	s_delay_alu instid0(VALU_DEP_1) | instskip(NEXT) | instid1(VALU_DEP_1)
	v_mul_f32_e32 v9, 0x2f800000, v2
	v_trunc_f32_e32 v9, v9
	s_delay_alu instid0(VALU_DEP_1) | instskip(SKIP_1) | instid1(VALU_DEP_2)
	v_fmac_f32_e32 v2, 0xcf800000, v9
	v_cvt_u32_f32_e32 v9, v9
	v_cvt_u32_f32_e32 v2, v2
	s_delay_alu instid0(VALU_DEP_2) | instskip(NEXT) | instid1(VALU_DEP_2)
	v_mul_lo_u32 v10, s0, v9
	v_mul_hi_u32 v11, s0, v2
	v_mul_lo_u32 v12, s27, v2
	s_delay_alu instid0(VALU_DEP_2) | instskip(SKIP_1) | instid1(VALU_DEP_2)
	v_add_nc_u32_e32 v10, v11, v10
	v_mul_lo_u32 v11, s0, v2
	v_add_nc_u32_e32 v10, v10, v12
	s_delay_alu instid0(VALU_DEP_2) | instskip(NEXT) | instid1(VALU_DEP_2)
	v_mul_hi_u32 v12, v2, v11
	v_mul_lo_u32 v13, v2, v10
	v_mul_hi_u32 v14, v2, v10
	v_mul_hi_u32 v15, v9, v11
	v_mul_lo_u32 v11, v9, v11
	v_mul_hi_u32 v16, v9, v10
	v_mul_lo_u32 v10, v9, v10
	v_add_co_u32 v12, vcc_lo, v12, v13
	v_add_co_ci_u32_e32 v13, vcc_lo, 0, v14, vcc_lo
	s_delay_alu instid0(VALU_DEP_2) | instskip(NEXT) | instid1(VALU_DEP_2)
	v_add_co_u32 v11, vcc_lo, v12, v11
	v_add_co_ci_u32_e32 v11, vcc_lo, v13, v15, vcc_lo
	v_add_co_ci_u32_e32 v12, vcc_lo, 0, v16, vcc_lo
	v_ashrrev_i32_e32 v15, 31, v4
	s_delay_alu instid0(VALU_DEP_3) | instskip(NEXT) | instid1(VALU_DEP_3)
	v_add_co_u32 v10, vcc_lo, v11, v10
	v_add_co_ci_u32_e32 v11, vcc_lo, 0, v12, vcc_lo
	s_delay_alu instid0(VALU_DEP_2) | instskip(NEXT) | instid1(VALU_DEP_2)
	v_add_co_u32 v2, vcc_lo, v2, v10
	v_add_co_ci_u32_e32 v9, vcc_lo, v9, v11, vcc_lo
	s_delay_alu instid0(VALU_DEP_2) | instskip(SKIP_1) | instid1(VALU_DEP_3)
	v_mul_hi_u32 v10, s0, v2
	v_mul_lo_u32 v12, s27, v2
	v_mul_lo_u32 v11, s0, v9
	s_delay_alu instid0(VALU_DEP_1) | instskip(SKIP_1) | instid1(VALU_DEP_2)
	v_add_nc_u32_e32 v10, v10, v11
	v_mul_lo_u32 v11, s0, v2
	v_add_nc_u32_e32 v10, v10, v12
	s_delay_alu instid0(VALU_DEP_2) | instskip(NEXT) | instid1(VALU_DEP_2)
	v_mul_hi_u32 v12, v2, v11
	v_mul_lo_u32 v13, v2, v10
	v_mul_hi_u32 v14, v2, v10
	v_mul_hi_u32 v16, v9, v11
	v_mul_lo_u32 v11, v9, v11
	v_mul_hi_u32 v17, v9, v10
	v_mul_lo_u32 v10, v9, v10
	v_add_co_u32 v12, vcc_lo, v12, v13
	v_add_co_ci_u32_e32 v13, vcc_lo, 0, v14, vcc_lo
	s_delay_alu instid0(VALU_DEP_2) | instskip(NEXT) | instid1(VALU_DEP_2)
	v_add_co_u32 v11, vcc_lo, v12, v11
	v_add_co_ci_u32_e32 v11, vcc_lo, v13, v16, vcc_lo
	v_add_co_ci_u32_e32 v12, vcc_lo, 0, v17, vcc_lo
	v_add_co_u32 v13, vcc_lo, v3, v15
	v_add_co_ci_u32_e32 v14, vcc_lo, v4, v15, vcc_lo
	s_delay_alu instid0(VALU_DEP_4) | instskip(NEXT) | instid1(VALU_DEP_4)
	v_add_co_u32 v10, vcc_lo, v11, v10
	v_add_co_ci_u32_e32 v11, vcc_lo, 0, v12, vcc_lo
	s_delay_alu instid0(VALU_DEP_4) | instskip(NEXT) | instid1(VALU_DEP_3)
	v_xor_b32_e32 v16, v13, v15
	v_add_co_u32 v2, vcc_lo, v2, v10
	s_delay_alu instid0(VALU_DEP_3) | instskip(SKIP_1) | instid1(VALU_DEP_3)
	v_add_co_ci_u32_e32 v17, vcc_lo, v9, v11, vcc_lo
	v_xor_b32_e32 v18, v14, v15
	v_mul_hi_u32 v19, v16, v2
	s_delay_alu instid0(VALU_DEP_3) | instskip(NEXT) | instid1(VALU_DEP_3)
	v_mad_u64_u32 v[9:10], null, v16, v17, 0
	v_mad_u64_u32 v[11:12], null, v18, v2, 0
	;; [unrolled: 1-line block ×3, first 2 shown]
	s_delay_alu instid0(VALU_DEP_3) | instskip(NEXT) | instid1(VALU_DEP_4)
	v_add_co_u32 v2, vcc_lo, v19, v9
	v_add_co_ci_u32_e32 v9, vcc_lo, 0, v10, vcc_lo
	s_delay_alu instid0(VALU_DEP_2) | instskip(NEXT) | instid1(VALU_DEP_2)
	v_add_co_u32 v2, vcc_lo, v2, v11
	v_add_co_ci_u32_e32 v2, vcc_lo, v9, v12, vcc_lo
	v_add_co_ci_u32_e32 v9, vcc_lo, 0, v14, vcc_lo
	s_delay_alu instid0(VALU_DEP_2) | instskip(NEXT) | instid1(VALU_DEP_2)
	v_add_co_u32 v2, vcc_lo, v2, v13
	v_add_co_ci_u32_e32 v11, vcc_lo, 0, v9, vcc_lo
	s_delay_alu instid0(VALU_DEP_2) | instskip(SKIP_1) | instid1(VALU_DEP_3)
	v_mul_lo_u32 v12, s29, v2
	v_mad_u64_u32 v[9:10], null, s28, v2, 0
	v_mul_lo_u32 v13, s28, v11
	s_delay_alu instid0(VALU_DEP_2) | instskip(NEXT) | instid1(VALU_DEP_2)
	v_sub_co_u32 v9, vcc_lo, v16, v9
	v_add3_u32 v10, v10, v13, v12
	s_delay_alu instid0(VALU_DEP_1) | instskip(NEXT) | instid1(VALU_DEP_1)
	v_sub_nc_u32_e32 v12, v18, v10
	v_subrev_co_ci_u32_e64 v12, s0, s29, v12, vcc_lo
	v_add_co_u32 v13, s0, v2, 2
	s_delay_alu instid0(VALU_DEP_1) | instskip(SKIP_3) | instid1(VALU_DEP_3)
	v_add_co_ci_u32_e64 v14, s0, 0, v11, s0
	v_sub_co_u32 v16, s0, v9, s28
	v_sub_co_ci_u32_e32 v10, vcc_lo, v18, v10, vcc_lo
	v_subrev_co_ci_u32_e64 v12, s0, 0, v12, s0
	v_cmp_le_u32_e32 vcc_lo, s28, v16
	s_delay_alu instid0(VALU_DEP_3) | instskip(SKIP_1) | instid1(VALU_DEP_4)
	v_cmp_eq_u32_e64 s0, s29, v10
	v_cndmask_b32_e64 v16, 0, -1, vcc_lo
	v_cmp_le_u32_e32 vcc_lo, s29, v12
	v_cndmask_b32_e64 v17, 0, -1, vcc_lo
	v_cmp_le_u32_e32 vcc_lo, s28, v9
	;; [unrolled: 2-line block ×3, first 2 shown]
	v_cndmask_b32_e64 v18, 0, -1, vcc_lo
	v_cmp_eq_u32_e32 vcc_lo, s29, v12
	s_delay_alu instid0(VALU_DEP_2) | instskip(SKIP_3) | instid1(VALU_DEP_3)
	v_cndmask_b32_e64 v9, v18, v9, s0
	v_cndmask_b32_e32 v12, v17, v16, vcc_lo
	v_add_co_u32 v16, vcc_lo, v2, 1
	v_add_co_ci_u32_e32 v17, vcc_lo, 0, v11, vcc_lo
	v_cmp_ne_u32_e32 vcc_lo, 0, v12
	s_delay_alu instid0(VALU_DEP_2) | instskip(NEXT) | instid1(VALU_DEP_4)
	v_cndmask_b32_e32 v10, v17, v14, vcc_lo
	v_cndmask_b32_e32 v12, v16, v13, vcc_lo
	v_cmp_ne_u32_e32 vcc_lo, 0, v9
	v_xor_b32_e32 v13, s26, v15
	s_delay_alu instid0(VALU_DEP_3) | instskip(NEXT) | instid1(VALU_DEP_1)
	v_dual_cndmask_b32 v2, v2, v12 :: v_dual_cndmask_b32 v9, v11, v10
	v_xor_b32_e32 v2, v2, v13
	s_delay_alu instid0(VALU_DEP_2) | instskip(NEXT) | instid1(VALU_DEP_2)
	v_xor_b32_e32 v10, v9, v13
	v_sub_co_u32 v9, vcc_lo, v2, v13
	s_delay_alu instid0(VALU_DEP_2)
	v_sub_co_ci_u32_e32 v10, vcc_lo, v10, v13, vcc_lo
.LBB58_5:                               ;   in Loop: Header=BB58_3 Depth=1
	s_and_not1_saveexec_b32 s0, s33
	s_cbranch_execz .LBB58_2
; %bb.6:                                ;   in Loop: Header=BB58_3 Depth=1
	v_mul_hi_u32 v2, v3, v0
	s_delay_alu instid0(VALU_DEP_1) | instskip(NEXT) | instid1(VALU_DEP_1)
	v_mul_lo_u32 v9, v2, s4
	v_sub_nc_u32_e32 v9, v3, v9
	s_delay_alu instid0(VALU_DEP_1) | instskip(SKIP_1) | instid1(VALU_DEP_2)
	v_subrev_nc_u32_e32 v11, s4, v9
	v_cmp_le_u32_e32 vcc_lo, s4, v9
	v_dual_cndmask_b32 v9, v9, v11 :: v_dual_add_nc_u32 v10, 1, v2
	s_delay_alu instid0(VALU_DEP_1) | instskip(NEXT) | instid1(VALU_DEP_2)
	v_cndmask_b32_e32 v2, v2, v10, vcc_lo
	v_cmp_le_u32_e32 vcc_lo, s4, v9
	s_delay_alu instid0(VALU_DEP_2) | instskip(NEXT) | instid1(VALU_DEP_1)
	v_add_nc_u32_e32 v10, 1, v2
	v_dual_cndmask_b32 v9, v2, v10 :: v_dual_mov_b32 v10, v1
	s_branch .LBB58_2
.LBB58_7:
	s_nop 0
	s_sendmsg sendmsg(MSG_DEALLOC_VGPRS)
	s_endpgm
	.section	.rodata,"a",@progbits
	.p2align	6, 0x0
	.amdhsa_kernel _ZN2at6native12_GLOBAL__N_16kernel17gru_cell_backwardIN3c104HalfEflLi1EEEvNS_4cuda6detail10TensorInfoIT_T1_EESB_SB_SB_SB_SA_SA_
		.amdhsa_group_segment_fixed_size 0
		.amdhsa_private_segment_fixed_size 0
		.amdhsa_kernarg_size 2352
		.amdhsa_user_sgpr_count 15
		.amdhsa_user_sgpr_dispatch_ptr 0
		.amdhsa_user_sgpr_queue_ptr 0
		.amdhsa_user_sgpr_kernarg_segment_ptr 1
		.amdhsa_user_sgpr_dispatch_id 0
		.amdhsa_user_sgpr_private_segment_size 0
		.amdhsa_wavefront_size32 1
		.amdhsa_uses_dynamic_stack 0
		.amdhsa_enable_private_segment 0
		.amdhsa_system_sgpr_workgroup_id_x 1
		.amdhsa_system_sgpr_workgroup_id_y 0
		.amdhsa_system_sgpr_workgroup_id_z 0
		.amdhsa_system_sgpr_workgroup_info 0
		.amdhsa_system_vgpr_workitem_id 0
		.amdhsa_next_free_vgpr 37
		.amdhsa_next_free_sgpr 36
		.amdhsa_reserve_vcc 1
		.amdhsa_float_round_mode_32 0
		.amdhsa_float_round_mode_16_64 0
		.amdhsa_float_denorm_mode_32 3
		.amdhsa_float_denorm_mode_16_64 3
		.amdhsa_dx10_clamp 1
		.amdhsa_ieee_mode 1
		.amdhsa_fp16_overflow 0
		.amdhsa_workgroup_processor_mode 1
		.amdhsa_memory_ordered 1
		.amdhsa_forward_progress 0
		.amdhsa_shared_vgpr_count 0
		.amdhsa_exception_fp_ieee_invalid_op 0
		.amdhsa_exception_fp_denorm_src 0
		.amdhsa_exception_fp_ieee_div_zero 0
		.amdhsa_exception_fp_ieee_overflow 0
		.amdhsa_exception_fp_ieee_underflow 0
		.amdhsa_exception_fp_ieee_inexact 0
		.amdhsa_exception_int_div_zero 0
	.end_amdhsa_kernel
	.section	.text._ZN2at6native12_GLOBAL__N_16kernel17gru_cell_backwardIN3c104HalfEflLi1EEEvNS_4cuda6detail10TensorInfoIT_T1_EESB_SB_SB_SB_SA_SA_,"axG",@progbits,_ZN2at6native12_GLOBAL__N_16kernel17gru_cell_backwardIN3c104HalfEflLi1EEEvNS_4cuda6detail10TensorInfoIT_T1_EESB_SB_SB_SB_SA_SA_,comdat
.Lfunc_end58:
	.size	_ZN2at6native12_GLOBAL__N_16kernel17gru_cell_backwardIN3c104HalfEflLi1EEEvNS_4cuda6detail10TensorInfoIT_T1_EESB_SB_SB_SB_SA_SA_, .Lfunc_end58-_ZN2at6native12_GLOBAL__N_16kernel17gru_cell_backwardIN3c104HalfEflLi1EEEvNS_4cuda6detail10TensorInfoIT_T1_EESB_SB_SB_SB_SA_SA_
                                        ; -- End function
	.section	.AMDGPU.csdata,"",@progbits
; Kernel info:
; codeLenInByte = 2596
; NumSgprs: 38
; NumVgprs: 37
; ScratchSize: 0
; MemoryBound: 0
; FloatMode: 240
; IeeeMode: 1
; LDSByteSize: 0 bytes/workgroup (compile time only)
; SGPRBlocks: 4
; VGPRBlocks: 4
; NumSGPRsForWavesPerEU: 38
; NumVGPRsForWavesPerEU: 37
; Occupancy: 16
; WaveLimiterHint : 1
; COMPUTE_PGM_RSRC2:SCRATCH_EN: 0
; COMPUTE_PGM_RSRC2:USER_SGPR: 15
; COMPUTE_PGM_RSRC2:TRAP_HANDLER: 0
; COMPUTE_PGM_RSRC2:TGID_X_EN: 1
; COMPUTE_PGM_RSRC2:TGID_Y_EN: 0
; COMPUTE_PGM_RSRC2:TGID_Z_EN: 0
; COMPUTE_PGM_RSRC2:TIDIG_COMP_CNT: 0
	.section	.text._ZN2at6native12_GLOBAL__N_16kernel17gru_cell_backwardIN3c104HalfEflLi2EEEvNS_4cuda6detail10TensorInfoIT_T1_EESB_SB_SB_SB_SA_SA_,"axG",@progbits,_ZN2at6native12_GLOBAL__N_16kernel17gru_cell_backwardIN3c104HalfEflLi2EEEvNS_4cuda6detail10TensorInfoIT_T1_EESB_SB_SB_SB_SA_SA_,comdat
	.globl	_ZN2at6native12_GLOBAL__N_16kernel17gru_cell_backwardIN3c104HalfEflLi2EEEvNS_4cuda6detail10TensorInfoIT_T1_EESB_SB_SB_SB_SA_SA_ ; -- Begin function _ZN2at6native12_GLOBAL__N_16kernel17gru_cell_backwardIN3c104HalfEflLi2EEEvNS_4cuda6detail10TensorInfoIT_T1_EESB_SB_SB_SB_SA_SA_
	.p2align	8
	.type	_ZN2at6native12_GLOBAL__N_16kernel17gru_cell_backwardIN3c104HalfEflLi2EEEvNS_4cuda6detail10TensorInfoIT_T1_EESB_SB_SB_SB_SA_SA_,@function
_ZN2at6native12_GLOBAL__N_16kernel17gru_cell_backwardIN3c104HalfEflLi2EEEvNS_4cuda6detail10TensorInfoIT_T1_EESB_SB_SB_SB_SA_SA_: ; @_ZN2at6native12_GLOBAL__N_16kernel17gru_cell_backwardIN3c104HalfEflLi2EEEvNS_4cuda6detail10TensorInfoIT_T1_EESB_SB_SB_SB_SA_SA_
; %bb.0:
	s_clause 0x1
	s_load_b32 s2, s[0:1], 0x83c
	s_load_b128 s[4:7], s[0:1], 0x820
	v_mov_b32_e32 v1, 0
	s_add_u32 s16, s0, 0x830
	s_addc_u32 s17, s1, 0
	s_waitcnt lgkmcnt(0)
	s_and_b32 s33, s2, 0xffff
	s_mov_b32 s2, exec_lo
	v_mad_u64_u32 v[3:4], null, s15, s33, v[0:1]
	v_mov_b32_e32 v4, v1
	s_delay_alu instid0(VALU_DEP_1)
	v_cmpx_gt_i64_e64 s[6:7], v[3:4]
	s_cbranch_execz .LBB59_59
; %bb.1:
	v_cvt_f32_u32_e32 v0, s4
	s_clause 0x5
	s_load_b64 s[2:3], s[0:1], 0x0
	s_load_b64 s[28:29], s[0:1], 0x10
	s_load_b128 s[8:11], s[0:1], 0xd0
	s_load_b64 s[30:31], s[0:1], 0x1a0
	s_load_b64 s[34:35], s[0:1], 0x1b0
	s_load_b128 s[12:15], s[0:1], 0x270
	s_load_b32 s50, s[16:17], 0x0
	s_clause 0x8
	s_load_b64 s[36:37], s[0:1], 0x340
	s_load_b64 s[38:39], s[0:1], 0x350
	s_load_b128 s[16:19], s[0:1], 0x410
	s_load_b64 s[40:41], s[0:1], 0x4e0
	s_load_b64 s[42:43], s[0:1], 0x4f0
	s_load_b128 s[20:23], s[0:1], 0x5b0
	;; [unrolled: 3-line block ×3, first 2 shown]
	s_lshl_b64 s[48:49], s[4:5], 2
	s_mov_b32 s1, 0
	v_rcp_iflag_f32_e32 v0, v0
	s_mov_b32 s62, 1.0
	s_waitcnt_depctr 0xfff
	v_mul_f32_e32 v0, 0x4f7ffffe, v0
	s_waitcnt lgkmcnt(0)
	s_mul_i32 s33, s50, s33
	s_lshl_b64 s[50:51], s[4:5], 1
	s_sub_u32 s58, 0, s38
	s_subb_u32 s59, 0, s39
	v_cvt_u32_f32_e32 v0, v0
	s_sub_u32 s60, 0, s42
	s_subb_u32 s61, 0, s43
	s_ashr_i32 s52, s5, 31
	s_branch .LBB59_3
.LBB59_2:                               ;   in Loop: Header=BB59_3 Depth=1
	s_or_b32 exec_lo, exec_lo, s0
	s_delay_alu instid0(VALU_DEP_1) | instskip(NEXT) | instid1(VALU_DEP_2)
	v_mad_u64_u32 v[7:8], null, s60, v5, v[3:4]
	v_mul_lo_u32 v2, s60, v6
	v_mul_lo_u32 v11, s61, v5
	;; [unrolled: 1-line block ×4, first 2 shown]
	v_mad_u64_u32 v[9:10], null, v5, s20, 0
	v_mad_u64_u32 v[5:6], null, v7, s22, 0
	v_add_co_u32 v3, vcc_lo, v3, s33
	v_add3_u32 v2, v11, v8, v2
	v_mul_lo_u32 v11, v7, s23
	v_add3_u32 v10, v10, v13, v12
	v_add_co_ci_u32_e32 v4, vcc_lo, 0, v4, vcc_lo
	s_delay_alu instid0(VALU_DEP_4) | instskip(SKIP_1) | instid1(VALU_DEP_4)
	v_mul_lo_u32 v2, v2, s22
	v_mul_f16_e32 v12, v14, v15
	v_lshlrev_b64 v[7:8], 1, v[9:10]
	s_delay_alu instid0(VALU_DEP_3) | instskip(NEXT) | instid1(VALU_DEP_2)
	v_add3_u32 v6, v6, v11, v2
	v_add_co_u32 v2, vcc_lo, s40, v7
	s_delay_alu instid0(VALU_DEP_3) | instskip(NEXT) | instid1(VALU_DEP_3)
	v_add_co_ci_u32_e32 v7, vcc_lo, s41, v8, vcc_lo
	v_lshlrev_b64 v[5:6], 1, v[5:6]
	v_cmp_le_i64_e32 vcc_lo, s[6:7], v[3:4]
	s_delay_alu instid0(VALU_DEP_2) | instskip(NEXT) | instid1(VALU_DEP_1)
	v_add_co_u32 v5, s0, v2, v5
	v_add_co_ci_u32_e64 v6, s0, v7, v6, s0
	s_or_b32 s1, vcc_lo, s1
	global_store_b16 v[5:6], v12, off
	s_and_not1_b32 exec_lo, exec_lo, s1
	s_cbranch_execz .LBB59_59
.LBB59_3:                               ; =>This Inner Loop Header: Depth=1
	v_or_b32_e32 v2, s5, v4
	v_ashrrev_i32_e32 v13, 31, v4
                                        ; implicit-def: $vgpr5_vgpr6
	s_mov_b32 s0, exec_lo
	s_delay_alu instid0(VALU_DEP_2)
	v_cmpx_ne_u64_e32 0, v[1:2]
	s_xor_b32 s56, exec_lo, s0
	s_cbranch_execz .LBB59_5
; %bb.4:                                ;   in Loop: Header=BB59_3 Depth=1
	s_add_u32 s54, s4, s52
	s_mov_b32 s53, s52
	s_addc_u32 s55, s5, s52
	s_delay_alu instid0(SALU_CYCLE_1) | instskip(NEXT) | instid1(SALU_CYCLE_1)
	s_xor_b64 s[54:55], s[54:55], s[52:53]
	v_cvt_f32_u32_e32 v2, s54
	v_cvt_f32_u32_e32 v5, s55
	s_sub_u32 s0, 0, s54
	s_subb_u32 s53, 0, s55
	s_delay_alu instid0(VALU_DEP_1) | instskip(NEXT) | instid1(VALU_DEP_1)
	v_fmac_f32_e32 v2, 0x4f800000, v5
	v_rcp_f32_e32 v2, v2
	s_waitcnt_depctr 0xfff
	v_mul_f32_e32 v2, 0x5f7ffffc, v2
	s_delay_alu instid0(VALU_DEP_1) | instskip(NEXT) | instid1(VALU_DEP_1)
	v_mul_f32_e32 v5, 0x2f800000, v2
	v_trunc_f32_e32 v5, v5
	s_delay_alu instid0(VALU_DEP_1) | instskip(SKIP_1) | instid1(VALU_DEP_2)
	v_fmac_f32_e32 v2, 0xcf800000, v5
	v_cvt_u32_f32_e32 v5, v5
	v_cvt_u32_f32_e32 v2, v2
	s_delay_alu instid0(VALU_DEP_2) | instskip(NEXT) | instid1(VALU_DEP_2)
	v_mul_lo_u32 v6, s0, v5
	v_mul_hi_u32 v7, s0, v2
	v_mul_lo_u32 v8, s53, v2
	s_delay_alu instid0(VALU_DEP_2) | instskip(SKIP_1) | instid1(VALU_DEP_2)
	v_add_nc_u32_e32 v6, v7, v6
	v_mul_lo_u32 v7, s0, v2
	v_add_nc_u32_e32 v6, v6, v8
	s_delay_alu instid0(VALU_DEP_2) | instskip(NEXT) | instid1(VALU_DEP_2)
	v_mul_hi_u32 v8, v2, v7
	v_mul_lo_u32 v9, v2, v6
	v_mul_hi_u32 v10, v2, v6
	v_mul_hi_u32 v11, v5, v7
	v_mul_lo_u32 v7, v5, v7
	v_mul_hi_u32 v12, v5, v6
	v_mul_lo_u32 v6, v5, v6
	v_add_co_u32 v8, vcc_lo, v8, v9
	v_add_co_ci_u32_e32 v9, vcc_lo, 0, v10, vcc_lo
	s_delay_alu instid0(VALU_DEP_2) | instskip(NEXT) | instid1(VALU_DEP_2)
	v_add_co_u32 v7, vcc_lo, v8, v7
	v_add_co_ci_u32_e32 v7, vcc_lo, v9, v11, vcc_lo
	v_add_co_ci_u32_e32 v8, vcc_lo, 0, v12, vcc_lo
	s_delay_alu instid0(VALU_DEP_2) | instskip(NEXT) | instid1(VALU_DEP_2)
	v_add_co_u32 v6, vcc_lo, v7, v6
	v_add_co_ci_u32_e32 v7, vcc_lo, 0, v8, vcc_lo
	s_delay_alu instid0(VALU_DEP_2) | instskip(NEXT) | instid1(VALU_DEP_2)
	v_add_co_u32 v2, vcc_lo, v2, v6
	v_add_co_ci_u32_e32 v5, vcc_lo, v5, v7, vcc_lo
	s_delay_alu instid0(VALU_DEP_2) | instskip(SKIP_1) | instid1(VALU_DEP_3)
	v_mul_hi_u32 v6, s0, v2
	v_mul_lo_u32 v8, s53, v2
	v_mul_lo_u32 v7, s0, v5
	s_delay_alu instid0(VALU_DEP_1) | instskip(SKIP_1) | instid1(VALU_DEP_2)
	v_add_nc_u32_e32 v6, v6, v7
	v_mul_lo_u32 v7, s0, v2
	v_add_nc_u32_e32 v6, v6, v8
	s_delay_alu instid0(VALU_DEP_2) | instskip(NEXT) | instid1(VALU_DEP_2)
	v_mul_hi_u32 v8, v2, v7
	v_mul_lo_u32 v9, v2, v6
	v_mul_hi_u32 v10, v2, v6
	v_mul_hi_u32 v11, v5, v7
	v_mul_lo_u32 v7, v5, v7
	v_mul_hi_u32 v12, v5, v6
	v_mul_lo_u32 v6, v5, v6
	v_add_co_u32 v8, vcc_lo, v8, v9
	v_add_co_ci_u32_e32 v9, vcc_lo, 0, v10, vcc_lo
	s_delay_alu instid0(VALU_DEP_2) | instskip(NEXT) | instid1(VALU_DEP_2)
	v_add_co_u32 v7, vcc_lo, v8, v7
	v_add_co_ci_u32_e32 v7, vcc_lo, v9, v11, vcc_lo
	v_add_co_ci_u32_e32 v8, vcc_lo, 0, v12, vcc_lo
	v_add_co_u32 v9, vcc_lo, v3, v13
	v_add_co_ci_u32_e32 v10, vcc_lo, v4, v13, vcc_lo
	s_delay_alu instid0(VALU_DEP_4) | instskip(NEXT) | instid1(VALU_DEP_4)
	v_add_co_u32 v6, vcc_lo, v7, v6
	v_add_co_ci_u32_e32 v7, vcc_lo, 0, v8, vcc_lo
	s_delay_alu instid0(VALU_DEP_4) | instskip(NEXT) | instid1(VALU_DEP_3)
	v_xor_b32_e32 v11, v9, v13
	v_add_co_u32 v2, vcc_lo, v2, v6
	s_delay_alu instid0(VALU_DEP_3) | instskip(SKIP_1) | instid1(VALU_DEP_3)
	v_add_co_ci_u32_e32 v12, vcc_lo, v5, v7, vcc_lo
	v_xor_b32_e32 v14, v10, v13
	v_mul_hi_u32 v15, v11, v2
	s_delay_alu instid0(VALU_DEP_3) | instskip(NEXT) | instid1(VALU_DEP_3)
	v_mad_u64_u32 v[5:6], null, v11, v12, 0
	v_mad_u64_u32 v[7:8], null, v14, v2, 0
	;; [unrolled: 1-line block ×3, first 2 shown]
	s_delay_alu instid0(VALU_DEP_3) | instskip(NEXT) | instid1(VALU_DEP_4)
	v_add_co_u32 v2, vcc_lo, v15, v5
	v_add_co_ci_u32_e32 v5, vcc_lo, 0, v6, vcc_lo
	s_delay_alu instid0(VALU_DEP_2) | instskip(NEXT) | instid1(VALU_DEP_2)
	v_add_co_u32 v2, vcc_lo, v2, v7
	v_add_co_ci_u32_e32 v2, vcc_lo, v5, v8, vcc_lo
	v_add_co_ci_u32_e32 v5, vcc_lo, 0, v10, vcc_lo
	s_delay_alu instid0(VALU_DEP_2) | instskip(NEXT) | instid1(VALU_DEP_2)
	v_add_co_u32 v2, vcc_lo, v2, v9
	v_add_co_ci_u32_e32 v7, vcc_lo, 0, v5, vcc_lo
	s_delay_alu instid0(VALU_DEP_2) | instskip(SKIP_1) | instid1(VALU_DEP_3)
	v_mul_lo_u32 v8, s55, v2
	v_mad_u64_u32 v[5:6], null, s54, v2, 0
	v_mul_lo_u32 v9, s54, v7
	s_delay_alu instid0(VALU_DEP_2) | instskip(NEXT) | instid1(VALU_DEP_2)
	v_sub_co_u32 v5, vcc_lo, v11, v5
	v_add3_u32 v6, v6, v9, v8
	s_delay_alu instid0(VALU_DEP_1) | instskip(NEXT) | instid1(VALU_DEP_1)
	v_sub_nc_u32_e32 v8, v14, v6
	v_subrev_co_ci_u32_e64 v8, s0, s55, v8, vcc_lo
	v_add_co_u32 v9, s0, v2, 2
	s_delay_alu instid0(VALU_DEP_1) | instskip(SKIP_3) | instid1(VALU_DEP_3)
	v_add_co_ci_u32_e64 v10, s0, 0, v7, s0
	v_sub_co_u32 v11, s0, v5, s54
	v_sub_co_ci_u32_e32 v6, vcc_lo, v14, v6, vcc_lo
	v_subrev_co_ci_u32_e64 v8, s0, 0, v8, s0
	v_cmp_le_u32_e32 vcc_lo, s54, v11
	s_delay_alu instid0(VALU_DEP_3) | instskip(SKIP_1) | instid1(VALU_DEP_4)
	v_cmp_eq_u32_e64 s0, s55, v6
	v_cndmask_b32_e64 v11, 0, -1, vcc_lo
	v_cmp_le_u32_e32 vcc_lo, s55, v8
	v_cndmask_b32_e64 v12, 0, -1, vcc_lo
	v_cmp_le_u32_e32 vcc_lo, s54, v5
	;; [unrolled: 2-line block ×3, first 2 shown]
	v_cndmask_b32_e64 v14, 0, -1, vcc_lo
	v_cmp_eq_u32_e32 vcc_lo, s55, v8
	s_delay_alu instid0(VALU_DEP_2) | instskip(SKIP_3) | instid1(VALU_DEP_3)
	v_cndmask_b32_e64 v5, v14, v5, s0
	v_cndmask_b32_e32 v8, v12, v11, vcc_lo
	v_add_co_u32 v11, vcc_lo, v2, 1
	v_add_co_ci_u32_e32 v12, vcc_lo, 0, v7, vcc_lo
	v_cmp_ne_u32_e32 vcc_lo, 0, v8
	s_delay_alu instid0(VALU_DEP_2) | instskip(NEXT) | instid1(VALU_DEP_4)
	v_cndmask_b32_e32 v6, v12, v10, vcc_lo
	v_cndmask_b32_e32 v8, v11, v9, vcc_lo
	v_cmp_ne_u32_e32 vcc_lo, 0, v5
	v_xor_b32_e32 v9, s52, v13
	s_delay_alu instid0(VALU_DEP_3) | instskip(NEXT) | instid1(VALU_DEP_1)
	v_dual_cndmask_b32 v2, v2, v8 :: v_dual_cndmask_b32 v5, v7, v6
	v_xor_b32_e32 v2, v2, v9
	s_delay_alu instid0(VALU_DEP_2) | instskip(NEXT) | instid1(VALU_DEP_2)
	v_xor_b32_e32 v6, v5, v9
	v_sub_co_u32 v5, vcc_lo, v2, v9
	s_delay_alu instid0(VALU_DEP_2)
	v_sub_co_ci_u32_e32 v6, vcc_lo, v6, v9, vcc_lo
.LBB59_5:                               ;   in Loop: Header=BB59_3 Depth=1
	s_and_not1_saveexec_b32 s0, s56
	s_cbranch_execz .LBB59_7
; %bb.6:                                ;   in Loop: Header=BB59_3 Depth=1
	s_sub_i32 s53, 0, s4
	s_delay_alu instid0(SALU_CYCLE_1) | instskip(NEXT) | instid1(VALU_DEP_1)
	v_mul_lo_u32 v2, s53, v0
	v_mul_hi_u32 v2, v0, v2
	s_delay_alu instid0(VALU_DEP_1) | instskip(NEXT) | instid1(VALU_DEP_1)
	v_add_nc_u32_e32 v2, v0, v2
	v_mul_hi_u32 v2, v3, v2
	s_delay_alu instid0(VALU_DEP_1) | instskip(SKIP_1) | instid1(VALU_DEP_2)
	v_mul_lo_u32 v5, v2, s4
	v_add_nc_u32_e32 v6, 1, v2
	v_sub_nc_u32_e32 v5, v3, v5
	s_delay_alu instid0(VALU_DEP_1) | instskip(SKIP_1) | instid1(VALU_DEP_2)
	v_subrev_nc_u32_e32 v7, s4, v5
	v_cmp_le_u32_e32 vcc_lo, s4, v5
	v_dual_cndmask_b32 v5, v5, v7 :: v_dual_cndmask_b32 v2, v2, v6
	s_delay_alu instid0(VALU_DEP_1) | instskip(NEXT) | instid1(VALU_DEP_2)
	v_cmp_le_u32_e32 vcc_lo, s4, v5
	v_add_nc_u32_e32 v6, 1, v2
	s_delay_alu instid0(VALU_DEP_1)
	v_dual_cndmask_b32 v5, v2, v6 :: v_dual_mov_b32 v6, v1
.LBB59_7:                               ;   in Loop: Header=BB59_3 Depth=1
	s_or_b32 exec_lo, exec_lo, s0
	s_delay_alu instid0(VALU_DEP_1) | instskip(NEXT) | instid1(VALU_DEP_2)
	v_mul_lo_u32 v2, s49, v5
	v_mul_lo_u32 v9, s48, v6
	v_mad_u64_u32 v[7:8], null, s48, v5, 0
	s_mov_b32 s0, exec_lo
	s_delay_alu instid0(VALU_DEP_1) | instskip(NEXT) | instid1(VALU_DEP_2)
	v_add3_u32 v8, v8, v9, v2
	v_add_co_u32 v11, vcc_lo, v3, v7
                                        ; implicit-def: $vgpr9_vgpr10
	s_delay_alu instid0(VALU_DEP_2) | instskip(NEXT) | instid1(VALU_DEP_1)
	v_add_co_ci_u32_e32 v12, vcc_lo, v4, v8, vcc_lo
	v_or_b32_e32 v2, s47, v12
	s_delay_alu instid0(VALU_DEP_1)
	v_cmpx_ne_u64_e32 0, v[1:2]
	s_xor_b32 s53, exec_lo, s0
	s_cbranch_execz .LBB59_9
; %bb.8:                                ;   in Loop: Header=BB59_3 Depth=1
	s_ashr_i32 s54, s47, 31
	s_delay_alu instid0(SALU_CYCLE_1) | instskip(SKIP_2) | instid1(SALU_CYCLE_1)
	s_add_u32 s56, s46, s54
	s_mov_b32 s55, s54
	s_addc_u32 s57, s47, s54
	s_xor_b64 s[56:57], s[56:57], s[54:55]
	s_delay_alu instid0(SALU_CYCLE_1) | instskip(SKIP_3) | instid1(VALU_DEP_1)
	v_cvt_f32_u32_e32 v2, s56
	v_cvt_f32_u32_e32 v9, s57
	s_sub_u32 s0, 0, s56
	s_subb_u32 s55, 0, s57
	v_fmac_f32_e32 v2, 0x4f800000, v9
	s_delay_alu instid0(VALU_DEP_1) | instskip(SKIP_2) | instid1(VALU_DEP_1)
	v_rcp_f32_e32 v2, v2
	s_waitcnt_depctr 0xfff
	v_mul_f32_e32 v2, 0x5f7ffffc, v2
	v_mul_f32_e32 v9, 0x2f800000, v2
	s_delay_alu instid0(VALU_DEP_1) | instskip(NEXT) | instid1(VALU_DEP_1)
	v_trunc_f32_e32 v9, v9
	v_fmac_f32_e32 v2, 0xcf800000, v9
	v_cvt_u32_f32_e32 v9, v9
	s_delay_alu instid0(VALU_DEP_2) | instskip(NEXT) | instid1(VALU_DEP_2)
	v_cvt_u32_f32_e32 v2, v2
	v_mul_lo_u32 v10, s0, v9
	s_delay_alu instid0(VALU_DEP_2) | instskip(SKIP_1) | instid1(VALU_DEP_2)
	v_mul_hi_u32 v14, s0, v2
	v_mul_lo_u32 v15, s55, v2
	v_add_nc_u32_e32 v10, v14, v10
	v_mul_lo_u32 v14, s0, v2
	s_delay_alu instid0(VALU_DEP_2) | instskip(NEXT) | instid1(VALU_DEP_2)
	v_add_nc_u32_e32 v10, v10, v15
	v_mul_hi_u32 v15, v2, v14
	s_delay_alu instid0(VALU_DEP_2)
	v_mul_lo_u32 v16, v2, v10
	v_mul_hi_u32 v17, v2, v10
	v_mul_hi_u32 v18, v9, v14
	v_mul_lo_u32 v14, v9, v14
	v_mul_hi_u32 v19, v9, v10
	v_mul_lo_u32 v10, v9, v10
	v_add_co_u32 v15, vcc_lo, v15, v16
	v_add_co_ci_u32_e32 v16, vcc_lo, 0, v17, vcc_lo
	s_delay_alu instid0(VALU_DEP_2) | instskip(NEXT) | instid1(VALU_DEP_2)
	v_add_co_u32 v14, vcc_lo, v15, v14
	v_add_co_ci_u32_e32 v14, vcc_lo, v16, v18, vcc_lo
	v_add_co_ci_u32_e32 v15, vcc_lo, 0, v19, vcc_lo
	v_ashrrev_i32_e32 v18, 31, v12
	s_delay_alu instid0(VALU_DEP_3) | instskip(NEXT) | instid1(VALU_DEP_3)
	v_add_co_u32 v10, vcc_lo, v14, v10
	v_add_co_ci_u32_e32 v14, vcc_lo, 0, v15, vcc_lo
	s_delay_alu instid0(VALU_DEP_2) | instskip(NEXT) | instid1(VALU_DEP_2)
	v_add_co_u32 v2, vcc_lo, v2, v10
	v_add_co_ci_u32_e32 v9, vcc_lo, v9, v14, vcc_lo
	s_delay_alu instid0(VALU_DEP_2) | instskip(SKIP_1) | instid1(VALU_DEP_3)
	v_mul_hi_u32 v10, s0, v2
	v_mul_lo_u32 v15, s55, v2
	v_mul_lo_u32 v14, s0, v9
	s_delay_alu instid0(VALU_DEP_1) | instskip(SKIP_1) | instid1(VALU_DEP_2)
	v_add_nc_u32_e32 v10, v10, v14
	v_mul_lo_u32 v14, s0, v2
	v_add_nc_u32_e32 v10, v10, v15
	s_delay_alu instid0(VALU_DEP_2) | instskip(NEXT) | instid1(VALU_DEP_2)
	v_mul_hi_u32 v15, v2, v14
	v_mul_lo_u32 v16, v2, v10
	v_mul_hi_u32 v17, v2, v10
	v_mul_hi_u32 v19, v9, v14
	v_mul_lo_u32 v14, v9, v14
	v_mul_hi_u32 v20, v9, v10
	v_mul_lo_u32 v10, v9, v10
	v_add_co_u32 v15, vcc_lo, v15, v16
	v_add_co_ci_u32_e32 v16, vcc_lo, 0, v17, vcc_lo
	s_delay_alu instid0(VALU_DEP_2) | instskip(NEXT) | instid1(VALU_DEP_2)
	v_add_co_u32 v14, vcc_lo, v15, v14
	v_add_co_ci_u32_e32 v14, vcc_lo, v16, v19, vcc_lo
	v_add_co_ci_u32_e32 v15, vcc_lo, 0, v20, vcc_lo
	v_add_co_u32 v11, vcc_lo, v11, v18
	v_add_co_ci_u32_e32 v12, vcc_lo, v12, v18, vcc_lo
	s_delay_alu instid0(VALU_DEP_4) | instskip(NEXT) | instid1(VALU_DEP_4)
	v_add_co_u32 v10, vcc_lo, v14, v10
	v_add_co_ci_u32_e32 v14, vcc_lo, 0, v15, vcc_lo
	s_delay_alu instid0(VALU_DEP_4) | instskip(NEXT) | instid1(VALU_DEP_3)
	v_xor_b32_e32 v16, v11, v18
	v_add_co_u32 v2, vcc_lo, v2, v10
	s_delay_alu instid0(VALU_DEP_3) | instskip(SKIP_1) | instid1(VALU_DEP_3)
	v_add_co_ci_u32_e32 v17, vcc_lo, v9, v14, vcc_lo
	v_xor_b32_e32 v19, v12, v18
	v_mul_hi_u32 v20, v16, v2
	s_delay_alu instid0(VALU_DEP_3) | instskip(NEXT) | instid1(VALU_DEP_3)
	v_mad_u64_u32 v[9:10], null, v16, v17, 0
	v_mad_u64_u32 v[11:12], null, v19, v2, 0
	;; [unrolled: 1-line block ×3, first 2 shown]
	s_delay_alu instid0(VALU_DEP_3) | instskip(NEXT) | instid1(VALU_DEP_4)
	v_add_co_u32 v2, vcc_lo, v20, v9
	v_add_co_ci_u32_e32 v9, vcc_lo, 0, v10, vcc_lo
	s_delay_alu instid0(VALU_DEP_2) | instskip(NEXT) | instid1(VALU_DEP_2)
	v_add_co_u32 v2, vcc_lo, v2, v11
	v_add_co_ci_u32_e32 v2, vcc_lo, v9, v12, vcc_lo
	v_add_co_ci_u32_e32 v9, vcc_lo, 0, v15, vcc_lo
	s_delay_alu instid0(VALU_DEP_2) | instskip(NEXT) | instid1(VALU_DEP_2)
	v_add_co_u32 v2, vcc_lo, v2, v14
	v_add_co_ci_u32_e32 v11, vcc_lo, 0, v9, vcc_lo
	s_delay_alu instid0(VALU_DEP_2) | instskip(SKIP_1) | instid1(VALU_DEP_3)
	v_mul_lo_u32 v12, s57, v2
	v_mad_u64_u32 v[9:10], null, s56, v2, 0
	v_mul_lo_u32 v14, s56, v11
	s_delay_alu instid0(VALU_DEP_2) | instskip(NEXT) | instid1(VALU_DEP_2)
	v_sub_co_u32 v9, vcc_lo, v16, v9
	v_add3_u32 v10, v10, v14, v12
	s_delay_alu instid0(VALU_DEP_1) | instskip(NEXT) | instid1(VALU_DEP_1)
	v_sub_nc_u32_e32 v12, v19, v10
	v_subrev_co_ci_u32_e64 v12, s0, s57, v12, vcc_lo
	v_add_co_u32 v14, s0, v2, 2
	s_delay_alu instid0(VALU_DEP_1) | instskip(SKIP_3) | instid1(VALU_DEP_3)
	v_add_co_ci_u32_e64 v15, s0, 0, v11, s0
	v_sub_co_u32 v16, s0, v9, s56
	v_sub_co_ci_u32_e32 v10, vcc_lo, v19, v10, vcc_lo
	v_subrev_co_ci_u32_e64 v12, s0, 0, v12, s0
	v_cmp_le_u32_e32 vcc_lo, s56, v16
	s_delay_alu instid0(VALU_DEP_3) | instskip(SKIP_1) | instid1(VALU_DEP_4)
	v_cmp_eq_u32_e64 s0, s57, v10
	v_cndmask_b32_e64 v16, 0, -1, vcc_lo
	v_cmp_le_u32_e32 vcc_lo, s57, v12
	v_cndmask_b32_e64 v17, 0, -1, vcc_lo
	v_cmp_le_u32_e32 vcc_lo, s56, v9
	;; [unrolled: 2-line block ×3, first 2 shown]
	v_cndmask_b32_e64 v19, 0, -1, vcc_lo
	v_cmp_eq_u32_e32 vcc_lo, s57, v12
	s_delay_alu instid0(VALU_DEP_2) | instskip(SKIP_3) | instid1(VALU_DEP_3)
	v_cndmask_b32_e64 v9, v19, v9, s0
	v_cndmask_b32_e32 v12, v17, v16, vcc_lo
	v_add_co_u32 v16, vcc_lo, v2, 1
	v_add_co_ci_u32_e32 v17, vcc_lo, 0, v11, vcc_lo
	v_cmp_ne_u32_e32 vcc_lo, 0, v12
	s_delay_alu instid0(VALU_DEP_2) | instskip(NEXT) | instid1(VALU_DEP_4)
	v_cndmask_b32_e32 v10, v17, v15, vcc_lo
	v_cndmask_b32_e32 v12, v16, v14, vcc_lo
	v_cmp_ne_u32_e32 vcc_lo, 0, v9
	v_xor_b32_e32 v14, s54, v18
	s_delay_alu instid0(VALU_DEP_3) | instskip(NEXT) | instid1(VALU_DEP_1)
	v_dual_cndmask_b32 v2, v2, v12 :: v_dual_cndmask_b32 v9, v11, v10
                                        ; implicit-def: $vgpr11
	v_xor_b32_e32 v2, v2, v14
	s_delay_alu instid0(VALU_DEP_2) | instskip(NEXT) | instid1(VALU_DEP_2)
	v_xor_b32_e32 v10, v9, v14
	v_sub_co_u32 v9, vcc_lo, v2, v14
	s_delay_alu instid0(VALU_DEP_2)
	v_sub_co_ci_u32_e32 v10, vcc_lo, v10, v14, vcc_lo
.LBB59_9:                               ;   in Loop: Header=BB59_3 Depth=1
	s_or_saveexec_b32 s0, s53
	v_cvt_f32_u32_e32 v15, s46
	s_xor_b32 exec_lo, exec_lo, s0
	s_cbranch_execz .LBB59_11
; %bb.10:                               ;   in Loop: Header=BB59_3 Depth=1
	s_delay_alu instid0(VALU_DEP_1) | instskip(SKIP_3) | instid1(VALU_DEP_1)
	v_rcp_iflag_f32_e32 v2, v15
	s_sub_i32 s53, 0, s46
	s_waitcnt_depctr 0xfff
	v_mul_f32_e32 v2, 0x4f7ffffe, v2
	v_cvt_u32_f32_e32 v2, v2
	s_delay_alu instid0(VALU_DEP_1) | instskip(NEXT) | instid1(VALU_DEP_1)
	v_mul_lo_u32 v9, s53, v2
	v_mul_hi_u32 v9, v2, v9
	s_delay_alu instid0(VALU_DEP_1) | instskip(NEXT) | instid1(VALU_DEP_1)
	v_add_nc_u32_e32 v2, v2, v9
	v_mul_hi_u32 v2, v11, v2
	s_delay_alu instid0(VALU_DEP_1) | instskip(SKIP_1) | instid1(VALU_DEP_2)
	v_mul_lo_u32 v9, v2, s46
	v_add_nc_u32_e32 v10, 1, v2
	v_sub_nc_u32_e32 v9, v11, v9
	s_delay_alu instid0(VALU_DEP_1) | instskip(SKIP_1) | instid1(VALU_DEP_2)
	v_subrev_nc_u32_e32 v11, s46, v9
	v_cmp_le_u32_e32 vcc_lo, s46, v9
	v_dual_cndmask_b32 v9, v9, v11 :: v_dual_cndmask_b32 v2, v2, v10
	s_delay_alu instid0(VALU_DEP_1) | instskip(NEXT) | instid1(VALU_DEP_2)
	v_cmp_le_u32_e32 vcc_lo, s46, v9
	v_add_nc_u32_e32 v10, 1, v2
	s_delay_alu instid0(VALU_DEP_1)
	v_dual_cndmask_b32 v9, v2, v10 :: v_dual_mov_b32 v10, v1
.LBB59_11:                              ;   in Loop: Header=BB59_3 Depth=1
	s_or_b32 exec_lo, exec_lo, s0
	s_delay_alu instid0(VALU_DEP_1) | instskip(NEXT) | instid1(VALU_DEP_2)
	v_mul_lo_u32 v2, v10, s46
	v_mul_lo_u32 v14, v9, s47
	v_mad_u64_u32 v[11:12], null, v9, s46, 0
	s_mov_b32 s0, exec_lo
	s_delay_alu instid0(VALU_DEP_1) | instskip(NEXT) | instid1(VALU_DEP_2)
	v_add3_u32 v2, v12, v14, v2
	v_sub_co_u32 v7, vcc_lo, v7, v11
	v_mul_lo_u32 v12, v10, s24
	v_mul_lo_u32 v11, v9, s25
	s_delay_alu instid0(VALU_DEP_4) | instskip(NEXT) | instid1(VALU_DEP_4)
	v_sub_co_ci_u32_e32 v2, vcc_lo, v8, v2, vcc_lo
	v_add_co_u32 v14, vcc_lo, v3, v7
	v_mad_u64_u32 v[7:8], null, v9, s24, 0
	s_delay_alu instid0(VALU_DEP_3) | instskip(NEXT) | instid1(VALU_DEP_3)
	v_add_co_ci_u32_e32 v2, vcc_lo, v4, v2, vcc_lo
	v_mul_lo_u32 v16, v14, s27
	v_mad_u64_u32 v[9:10], null, v14, s26, 0
	s_delay_alu instid0(VALU_DEP_3) | instskip(SKIP_1) | instid1(VALU_DEP_1)
	v_mul_lo_u32 v2, v2, s26
	v_add3_u32 v8, v8, v11, v12
	v_lshlrev_b64 v[7:8], 1, v[7:8]
	s_delay_alu instid0(VALU_DEP_3) | instskip(NEXT) | instid1(VALU_DEP_2)
	v_add3_u32 v10, v10, v16, v2
	v_add_co_u32 v2, vcc_lo, s44, v7
	s_delay_alu instid0(VALU_DEP_2) | instskip(NEXT) | instid1(VALU_DEP_4)
	v_lshlrev_b64 v[9:10], 1, v[9:10]
	v_add_co_ci_u32_e32 v8, vcc_lo, s45, v8, vcc_lo
	s_delay_alu instid0(VALU_DEP_2) | instskip(NEXT) | instid1(VALU_DEP_2)
	v_add_co_u32 v7, vcc_lo, v2, v9
	v_add_co_ci_u32_e32 v8, vcc_lo, v8, v10, vcc_lo
	v_alignbit_b32 v2, v6, v5, 30
	global_load_u16 v16, v[7:8], off
	v_lshlrev_b64 v[7:8], 2, v[5:6]
	v_mul_lo_u32 v2, s4, v2
	s_delay_alu instid0(VALU_DEP_2) | instskip(SKIP_1) | instid1(VALU_DEP_1)
	v_mul_lo_u32 v11, s5, v7
	v_mad_u64_u32 v[9:10], null, s4, v7, s[4:5]
	v_add3_u32 v10, v11, v10, v2
	s_delay_alu instid0(VALU_DEP_2) | instskip(NEXT) | instid1(VALU_DEP_2)
	v_add_co_u32 v14, vcc_lo, v3, v9
                                        ; implicit-def: $vgpr11_vgpr12
	v_add_co_ci_u32_e32 v17, vcc_lo, v4, v10, vcc_lo
	s_delay_alu instid0(VALU_DEP_1) | instskip(NEXT) | instid1(VALU_DEP_1)
	v_or_b32_e32 v2, s47, v17
	v_cmpx_ne_u64_e32 0, v[1:2]
	s_xor_b32 s53, exec_lo, s0
	s_cbranch_execz .LBB59_13
; %bb.12:                               ;   in Loop: Header=BB59_3 Depth=1
	s_ashr_i32 s54, s47, 31
	s_delay_alu instid0(SALU_CYCLE_1) | instskip(SKIP_2) | instid1(SALU_CYCLE_1)
	s_add_u32 s56, s46, s54
	s_mov_b32 s55, s54
	s_addc_u32 s57, s47, s54
	s_xor_b64 s[56:57], s[56:57], s[54:55]
	s_delay_alu instid0(SALU_CYCLE_1) | instskip(SKIP_3) | instid1(VALU_DEP_1)
	v_cvt_f32_u32_e32 v2, s56
	v_cvt_f32_u32_e32 v11, s57
	s_sub_u32 s0, 0, s56
	s_subb_u32 s55, 0, s57
	v_fmac_f32_e32 v2, 0x4f800000, v11
	s_delay_alu instid0(VALU_DEP_1) | instskip(SKIP_2) | instid1(VALU_DEP_1)
	v_rcp_f32_e32 v2, v2
	s_waitcnt_depctr 0xfff
	v_mul_f32_e32 v2, 0x5f7ffffc, v2
	v_mul_f32_e32 v11, 0x2f800000, v2
	s_delay_alu instid0(VALU_DEP_1) | instskip(NEXT) | instid1(VALU_DEP_1)
	v_trunc_f32_e32 v11, v11
	v_fmac_f32_e32 v2, 0xcf800000, v11
	v_cvt_u32_f32_e32 v11, v11
	s_delay_alu instid0(VALU_DEP_2) | instskip(NEXT) | instid1(VALU_DEP_2)
	v_cvt_u32_f32_e32 v2, v2
	v_mul_lo_u32 v12, s0, v11
	s_delay_alu instid0(VALU_DEP_2) | instskip(SKIP_1) | instid1(VALU_DEP_2)
	v_mul_hi_u32 v18, s0, v2
	v_mul_lo_u32 v19, s55, v2
	v_add_nc_u32_e32 v12, v18, v12
	v_mul_lo_u32 v18, s0, v2
	s_delay_alu instid0(VALU_DEP_2) | instskip(NEXT) | instid1(VALU_DEP_2)
	v_add_nc_u32_e32 v12, v12, v19
	v_mul_hi_u32 v19, v2, v18
	s_delay_alu instid0(VALU_DEP_2)
	v_mul_lo_u32 v20, v2, v12
	v_mul_hi_u32 v21, v2, v12
	v_mul_hi_u32 v22, v11, v18
	v_mul_lo_u32 v18, v11, v18
	v_mul_hi_u32 v23, v11, v12
	v_mul_lo_u32 v12, v11, v12
	v_add_co_u32 v19, vcc_lo, v19, v20
	v_add_co_ci_u32_e32 v20, vcc_lo, 0, v21, vcc_lo
	s_delay_alu instid0(VALU_DEP_2) | instskip(NEXT) | instid1(VALU_DEP_2)
	v_add_co_u32 v18, vcc_lo, v19, v18
	v_add_co_ci_u32_e32 v18, vcc_lo, v20, v22, vcc_lo
	v_add_co_ci_u32_e32 v19, vcc_lo, 0, v23, vcc_lo
	v_ashrrev_i32_e32 v22, 31, v17
	s_delay_alu instid0(VALU_DEP_3) | instskip(NEXT) | instid1(VALU_DEP_3)
	v_add_co_u32 v12, vcc_lo, v18, v12
	v_add_co_ci_u32_e32 v18, vcc_lo, 0, v19, vcc_lo
	s_delay_alu instid0(VALU_DEP_2) | instskip(NEXT) | instid1(VALU_DEP_2)
	v_add_co_u32 v2, vcc_lo, v2, v12
	v_add_co_ci_u32_e32 v11, vcc_lo, v11, v18, vcc_lo
	s_delay_alu instid0(VALU_DEP_2) | instskip(SKIP_1) | instid1(VALU_DEP_3)
	v_mul_hi_u32 v12, s0, v2
	v_mul_lo_u32 v19, s55, v2
	v_mul_lo_u32 v18, s0, v11
	s_delay_alu instid0(VALU_DEP_1) | instskip(SKIP_1) | instid1(VALU_DEP_2)
	v_add_nc_u32_e32 v12, v12, v18
	v_mul_lo_u32 v18, s0, v2
	v_add_nc_u32_e32 v12, v12, v19
	s_delay_alu instid0(VALU_DEP_2) | instskip(NEXT) | instid1(VALU_DEP_2)
	v_mul_hi_u32 v19, v2, v18
	v_mul_lo_u32 v20, v2, v12
	v_mul_hi_u32 v21, v2, v12
	v_mul_hi_u32 v23, v11, v18
	v_mul_lo_u32 v18, v11, v18
	v_mul_hi_u32 v24, v11, v12
	v_mul_lo_u32 v12, v11, v12
	v_add_co_u32 v19, vcc_lo, v19, v20
	v_add_co_ci_u32_e32 v20, vcc_lo, 0, v21, vcc_lo
	s_delay_alu instid0(VALU_DEP_2) | instskip(NEXT) | instid1(VALU_DEP_2)
	v_add_co_u32 v18, vcc_lo, v19, v18
	v_add_co_ci_u32_e32 v18, vcc_lo, v20, v23, vcc_lo
	v_add_co_ci_u32_e32 v19, vcc_lo, 0, v24, vcc_lo
	v_add_co_u32 v14, vcc_lo, v14, v22
	v_add_co_ci_u32_e32 v17, vcc_lo, v17, v22, vcc_lo
	s_delay_alu instid0(VALU_DEP_4) | instskip(NEXT) | instid1(VALU_DEP_4)
	v_add_co_u32 v12, vcc_lo, v18, v12
	v_add_co_ci_u32_e32 v18, vcc_lo, 0, v19, vcc_lo
	s_delay_alu instid0(VALU_DEP_4) | instskip(NEXT) | instid1(VALU_DEP_3)
	v_xor_b32_e32 v14, v14, v22
	v_add_co_u32 v2, vcc_lo, v2, v12
	s_delay_alu instid0(VALU_DEP_3) | instskip(SKIP_1) | instid1(VALU_DEP_3)
	v_add_co_ci_u32_e32 v21, vcc_lo, v11, v18, vcc_lo
	v_xor_b32_e32 v23, v17, v22
	v_mul_hi_u32 v24, v14, v2
	s_delay_alu instid0(VALU_DEP_3) | instskip(NEXT) | instid1(VALU_DEP_3)
	v_mad_u64_u32 v[11:12], null, v14, v21, 0
	v_mad_u64_u32 v[17:18], null, v23, v2, 0
	v_mad_u64_u32 v[19:20], null, v23, v21, 0
	s_delay_alu instid0(VALU_DEP_3) | instskip(NEXT) | instid1(VALU_DEP_4)
	v_add_co_u32 v2, vcc_lo, v24, v11
	v_add_co_ci_u32_e32 v11, vcc_lo, 0, v12, vcc_lo
	s_delay_alu instid0(VALU_DEP_2) | instskip(NEXT) | instid1(VALU_DEP_2)
	v_add_co_u32 v2, vcc_lo, v2, v17
	v_add_co_ci_u32_e32 v2, vcc_lo, v11, v18, vcc_lo
	v_add_co_ci_u32_e32 v11, vcc_lo, 0, v20, vcc_lo
	s_delay_alu instid0(VALU_DEP_2) | instskip(NEXT) | instid1(VALU_DEP_2)
	v_add_co_u32 v2, vcc_lo, v2, v19
	v_add_co_ci_u32_e32 v17, vcc_lo, 0, v11, vcc_lo
	s_delay_alu instid0(VALU_DEP_2) | instskip(SKIP_1) | instid1(VALU_DEP_3)
	v_mul_lo_u32 v18, s57, v2
	v_mad_u64_u32 v[11:12], null, s56, v2, 0
	v_mul_lo_u32 v19, s56, v17
	s_delay_alu instid0(VALU_DEP_2) | instskip(NEXT) | instid1(VALU_DEP_2)
	v_sub_co_u32 v11, vcc_lo, v14, v11
	v_add3_u32 v12, v12, v19, v18
	s_delay_alu instid0(VALU_DEP_1) | instskip(NEXT) | instid1(VALU_DEP_1)
	v_sub_nc_u32_e32 v18, v23, v12
	v_subrev_co_ci_u32_e64 v14, s0, s57, v18, vcc_lo
	v_add_co_u32 v18, s0, v2, 2
	s_delay_alu instid0(VALU_DEP_1) | instskip(SKIP_3) | instid1(VALU_DEP_3)
	v_add_co_ci_u32_e64 v19, s0, 0, v17, s0
	v_sub_co_u32 v20, s0, v11, s56
	v_sub_co_ci_u32_e32 v12, vcc_lo, v23, v12, vcc_lo
	v_subrev_co_ci_u32_e64 v14, s0, 0, v14, s0
	v_cmp_le_u32_e32 vcc_lo, s56, v20
	s_delay_alu instid0(VALU_DEP_3) | instskip(SKIP_1) | instid1(VALU_DEP_4)
	v_cmp_eq_u32_e64 s0, s57, v12
	v_cndmask_b32_e64 v20, 0, -1, vcc_lo
	v_cmp_le_u32_e32 vcc_lo, s57, v14
	v_cndmask_b32_e64 v21, 0, -1, vcc_lo
	v_cmp_le_u32_e32 vcc_lo, s56, v11
	;; [unrolled: 2-line block ×3, first 2 shown]
	v_cndmask_b32_e64 v23, 0, -1, vcc_lo
	v_cmp_eq_u32_e32 vcc_lo, s57, v14
	s_delay_alu instid0(VALU_DEP_2) | instskip(SKIP_3) | instid1(VALU_DEP_3)
	v_cndmask_b32_e64 v11, v23, v11, s0
	v_cndmask_b32_e32 v14, v21, v20, vcc_lo
	v_add_co_u32 v20, vcc_lo, v2, 1
	v_add_co_ci_u32_e32 v21, vcc_lo, 0, v17, vcc_lo
	v_cmp_ne_u32_e32 vcc_lo, 0, v14
	s_delay_alu instid0(VALU_DEP_2) | instskip(NEXT) | instid1(VALU_DEP_4)
	v_cndmask_b32_e32 v12, v21, v19, vcc_lo
	v_cndmask_b32_e32 v14, v20, v18, vcc_lo
	v_cmp_ne_u32_e32 vcc_lo, 0, v11
	v_xor_b32_e32 v18, s54, v22
	s_delay_alu instid0(VALU_DEP_3) | instskip(NEXT) | instid1(VALU_DEP_1)
	v_dual_cndmask_b32 v2, v2, v14 :: v_dual_cndmask_b32 v11, v17, v12
                                        ; implicit-def: $vgpr14
	v_xor_b32_e32 v2, v2, v18
	s_delay_alu instid0(VALU_DEP_2) | instskip(NEXT) | instid1(VALU_DEP_2)
	v_xor_b32_e32 v12, v11, v18
	v_sub_co_u32 v11, vcc_lo, v2, v18
	s_delay_alu instid0(VALU_DEP_2)
	v_sub_co_ci_u32_e32 v12, vcc_lo, v12, v18, vcc_lo
.LBB59_13:                              ;   in Loop: Header=BB59_3 Depth=1
	s_and_not1_saveexec_b32 s0, s53
	s_cbranch_execz .LBB59_15
; %bb.14:                               ;   in Loop: Header=BB59_3 Depth=1
	v_rcp_iflag_f32_e32 v2, v15
	s_sub_i32 s53, 0, s46
	s_waitcnt_depctr 0xfff
	v_mul_f32_e32 v2, 0x4f7ffffe, v2
	s_delay_alu instid0(VALU_DEP_1) | instskip(NEXT) | instid1(VALU_DEP_1)
	v_cvt_u32_f32_e32 v2, v2
	v_mul_lo_u32 v11, s53, v2
	s_delay_alu instid0(VALU_DEP_1) | instskip(NEXT) | instid1(VALU_DEP_1)
	v_mul_hi_u32 v11, v2, v11
	v_add_nc_u32_e32 v2, v2, v11
	s_delay_alu instid0(VALU_DEP_1) | instskip(NEXT) | instid1(VALU_DEP_1)
	v_mul_hi_u32 v2, v14, v2
	v_mul_lo_u32 v11, v2, s46
	v_add_nc_u32_e32 v12, 1, v2
	s_delay_alu instid0(VALU_DEP_2) | instskip(NEXT) | instid1(VALU_DEP_1)
	v_sub_nc_u32_e32 v11, v14, v11
	v_subrev_nc_u32_e32 v14, s46, v11
	v_cmp_le_u32_e32 vcc_lo, s46, v11
	s_delay_alu instid0(VALU_DEP_2) | instskip(NEXT) | instid1(VALU_DEP_1)
	v_dual_cndmask_b32 v11, v11, v14 :: v_dual_cndmask_b32 v2, v2, v12
	v_cmp_le_u32_e32 vcc_lo, s46, v11
	s_delay_alu instid0(VALU_DEP_2) | instskip(NEXT) | instid1(VALU_DEP_1)
	v_add_nc_u32_e32 v12, 1, v2
	v_dual_cndmask_b32 v11, v2, v12 :: v_dual_mov_b32 v12, v1
.LBB59_15:                              ;   in Loop: Header=BB59_3 Depth=1
	s_or_b32 exec_lo, exec_lo, s0
	s_delay_alu instid0(VALU_DEP_1) | instskip(NEXT) | instid1(VALU_DEP_2)
	v_mul_lo_u32 v2, v12, s46
	v_mul_lo_u32 v14, v11, s47
	v_mad_u64_u32 v[17:18], null, v11, s46, 0
	s_mov_b32 s0, exec_lo
	s_delay_alu instid0(VALU_DEP_1) | instskip(NEXT) | instid1(VALU_DEP_2)
	v_add3_u32 v2, v18, v14, v2
	v_sub_co_u32 v9, vcc_lo, v9, v17
	v_mul_lo_u32 v14, v12, s24
	v_mul_lo_u32 v17, v11, s25
	s_delay_alu instid0(VALU_DEP_4) | instskip(NEXT) | instid1(VALU_DEP_4)
	v_sub_co_ci_u32_e32 v2, vcc_lo, v10, v2, vcc_lo
	v_add_co_u32 v18, vcc_lo, v3, v9
	v_mad_u64_u32 v[9:10], null, v11, s24, 0
	s_delay_alu instid0(VALU_DEP_3) | instskip(NEXT) | instid1(VALU_DEP_3)
	v_add_co_ci_u32_e32 v2, vcc_lo, v4, v2, vcc_lo
	v_mul_lo_u32 v19, v18, s27
	v_mad_u64_u32 v[11:12], null, v18, s26, 0
	s_delay_alu instid0(VALU_DEP_3) | instskip(SKIP_1) | instid1(VALU_DEP_1)
	v_mul_lo_u32 v2, v2, s26
	v_add3_u32 v10, v10, v17, v14
	v_lshlrev_b64 v[9:10], 1, v[9:10]
	s_delay_alu instid0(VALU_DEP_3) | instskip(NEXT) | instid1(VALU_DEP_2)
	v_add3_u32 v12, v12, v19, v2
	v_add_co_u32 v2, vcc_lo, s44, v9
	s_delay_alu instid0(VALU_DEP_2) | instskip(NEXT) | instid1(VALU_DEP_4)
	v_lshlrev_b64 v[11:12], 1, v[11:12]
	v_add_co_ci_u32_e32 v10, vcc_lo, s45, v10, vcc_lo
	s_delay_alu instid0(VALU_DEP_2) | instskip(NEXT) | instid1(VALU_DEP_2)
	v_add_co_u32 v9, vcc_lo, v2, v11
	v_add_co_ci_u32_e32 v10, vcc_lo, v10, v12, vcc_lo
	v_add_co_u32 v2, vcc_lo, v7, 2
	global_load_u16 v14, v[9:10], off
	v_add_co_ci_u32_e32 v9, vcc_lo, 0, v8, vcc_lo
	v_mul_lo_u32 v11, s5, v2
	s_delay_alu instid0(VALU_DEP_2) | instskip(SKIP_1) | instid1(VALU_DEP_1)
	v_mul_lo_u32 v12, s4, v9
	v_mad_u64_u32 v[9:10], null, s4, v2, 0
	v_add3_u32 v10, v10, v12, v11
	s_delay_alu instid0(VALU_DEP_2) | instskip(NEXT) | instid1(VALU_DEP_2)
	v_add_co_u32 v17, vcc_lo, v3, v9
                                        ; implicit-def: $vgpr11_vgpr12
	v_add_co_ci_u32_e32 v18, vcc_lo, v4, v10, vcc_lo
	s_delay_alu instid0(VALU_DEP_1) | instskip(NEXT) | instid1(VALU_DEP_1)
	v_or_b32_e32 v2, s47, v18
	v_cmpx_ne_u64_e32 0, v[1:2]
	s_xor_b32 s53, exec_lo, s0
	s_cbranch_execz .LBB59_17
; %bb.16:                               ;   in Loop: Header=BB59_3 Depth=1
	s_ashr_i32 s54, s47, 31
	s_delay_alu instid0(SALU_CYCLE_1) | instskip(SKIP_2) | instid1(SALU_CYCLE_1)
	s_add_u32 s56, s46, s54
	s_mov_b32 s55, s54
	s_addc_u32 s57, s47, s54
	s_xor_b64 s[56:57], s[56:57], s[54:55]
	s_delay_alu instid0(SALU_CYCLE_1) | instskip(SKIP_3) | instid1(VALU_DEP_1)
	v_cvt_f32_u32_e32 v2, s56
	v_cvt_f32_u32_e32 v11, s57
	s_sub_u32 s0, 0, s56
	s_subb_u32 s55, 0, s57
	v_fmac_f32_e32 v2, 0x4f800000, v11
	s_delay_alu instid0(VALU_DEP_1) | instskip(SKIP_2) | instid1(VALU_DEP_1)
	v_rcp_f32_e32 v2, v2
	s_waitcnt_depctr 0xfff
	v_mul_f32_e32 v2, 0x5f7ffffc, v2
	v_mul_f32_e32 v11, 0x2f800000, v2
	s_delay_alu instid0(VALU_DEP_1) | instskip(NEXT) | instid1(VALU_DEP_1)
	v_trunc_f32_e32 v11, v11
	v_fmac_f32_e32 v2, 0xcf800000, v11
	v_cvt_u32_f32_e32 v11, v11
	s_delay_alu instid0(VALU_DEP_2) | instskip(NEXT) | instid1(VALU_DEP_2)
	v_cvt_u32_f32_e32 v2, v2
	v_mul_lo_u32 v12, s0, v11
	s_delay_alu instid0(VALU_DEP_2) | instskip(SKIP_1) | instid1(VALU_DEP_2)
	v_mul_hi_u32 v19, s0, v2
	v_mul_lo_u32 v20, s55, v2
	v_add_nc_u32_e32 v12, v19, v12
	v_mul_lo_u32 v19, s0, v2
	s_delay_alu instid0(VALU_DEP_2) | instskip(NEXT) | instid1(VALU_DEP_2)
	v_add_nc_u32_e32 v12, v12, v20
	v_mul_hi_u32 v20, v2, v19
	s_delay_alu instid0(VALU_DEP_2)
	v_mul_lo_u32 v21, v2, v12
	v_mul_hi_u32 v22, v2, v12
	v_mul_hi_u32 v23, v11, v19
	v_mul_lo_u32 v19, v11, v19
	v_mul_hi_u32 v24, v11, v12
	v_mul_lo_u32 v12, v11, v12
	v_add_co_u32 v20, vcc_lo, v20, v21
	v_add_co_ci_u32_e32 v21, vcc_lo, 0, v22, vcc_lo
	s_delay_alu instid0(VALU_DEP_2) | instskip(NEXT) | instid1(VALU_DEP_2)
	v_add_co_u32 v19, vcc_lo, v20, v19
	v_add_co_ci_u32_e32 v19, vcc_lo, v21, v23, vcc_lo
	v_add_co_ci_u32_e32 v20, vcc_lo, 0, v24, vcc_lo
	v_ashrrev_i32_e32 v23, 31, v18
	s_delay_alu instid0(VALU_DEP_3) | instskip(NEXT) | instid1(VALU_DEP_3)
	v_add_co_u32 v12, vcc_lo, v19, v12
	v_add_co_ci_u32_e32 v19, vcc_lo, 0, v20, vcc_lo
	s_delay_alu instid0(VALU_DEP_2) | instskip(NEXT) | instid1(VALU_DEP_2)
	v_add_co_u32 v2, vcc_lo, v2, v12
	v_add_co_ci_u32_e32 v11, vcc_lo, v11, v19, vcc_lo
	s_delay_alu instid0(VALU_DEP_2) | instskip(SKIP_1) | instid1(VALU_DEP_3)
	v_mul_hi_u32 v12, s0, v2
	v_mul_lo_u32 v20, s55, v2
	v_mul_lo_u32 v19, s0, v11
	s_delay_alu instid0(VALU_DEP_1) | instskip(SKIP_1) | instid1(VALU_DEP_2)
	v_add_nc_u32_e32 v12, v12, v19
	v_mul_lo_u32 v19, s0, v2
	v_add_nc_u32_e32 v12, v12, v20
	s_delay_alu instid0(VALU_DEP_2) | instskip(NEXT) | instid1(VALU_DEP_2)
	v_mul_hi_u32 v20, v2, v19
	v_mul_lo_u32 v21, v2, v12
	v_mul_hi_u32 v22, v2, v12
	v_mul_hi_u32 v24, v11, v19
	v_mul_lo_u32 v19, v11, v19
	v_mul_hi_u32 v25, v11, v12
	v_mul_lo_u32 v12, v11, v12
	v_add_co_u32 v20, vcc_lo, v20, v21
	v_add_co_ci_u32_e32 v21, vcc_lo, 0, v22, vcc_lo
	s_delay_alu instid0(VALU_DEP_2) | instskip(NEXT) | instid1(VALU_DEP_2)
	v_add_co_u32 v19, vcc_lo, v20, v19
	v_add_co_ci_u32_e32 v19, vcc_lo, v21, v24, vcc_lo
	v_add_co_ci_u32_e32 v20, vcc_lo, 0, v25, vcc_lo
	v_add_co_u32 v17, vcc_lo, v17, v23
	v_add_co_ci_u32_e32 v18, vcc_lo, v18, v23, vcc_lo
	s_delay_alu instid0(VALU_DEP_4) | instskip(NEXT) | instid1(VALU_DEP_4)
	v_add_co_u32 v12, vcc_lo, v19, v12
	v_add_co_ci_u32_e32 v19, vcc_lo, 0, v20, vcc_lo
	s_delay_alu instid0(VALU_DEP_4) | instskip(NEXT) | instid1(VALU_DEP_3)
	v_xor_b32_e32 v21, v17, v23
	v_add_co_u32 v2, vcc_lo, v2, v12
	s_delay_alu instid0(VALU_DEP_3) | instskip(SKIP_1) | instid1(VALU_DEP_3)
	v_add_co_ci_u32_e32 v22, vcc_lo, v11, v19, vcc_lo
	v_xor_b32_e32 v24, v18, v23
	v_mul_hi_u32 v25, v21, v2
	s_delay_alu instid0(VALU_DEP_3) | instskip(NEXT) | instid1(VALU_DEP_3)
	v_mad_u64_u32 v[11:12], null, v21, v22, 0
	v_mad_u64_u32 v[17:18], null, v24, v2, 0
	;; [unrolled: 1-line block ×3, first 2 shown]
	s_delay_alu instid0(VALU_DEP_3) | instskip(NEXT) | instid1(VALU_DEP_4)
	v_add_co_u32 v2, vcc_lo, v25, v11
	v_add_co_ci_u32_e32 v11, vcc_lo, 0, v12, vcc_lo
	s_delay_alu instid0(VALU_DEP_2) | instskip(NEXT) | instid1(VALU_DEP_2)
	v_add_co_u32 v2, vcc_lo, v2, v17
	v_add_co_ci_u32_e32 v2, vcc_lo, v11, v18, vcc_lo
	v_add_co_ci_u32_e32 v11, vcc_lo, 0, v20, vcc_lo
	s_delay_alu instid0(VALU_DEP_2) | instskip(NEXT) | instid1(VALU_DEP_2)
	v_add_co_u32 v2, vcc_lo, v2, v19
	v_add_co_ci_u32_e32 v17, vcc_lo, 0, v11, vcc_lo
	s_delay_alu instid0(VALU_DEP_2) | instskip(SKIP_1) | instid1(VALU_DEP_3)
	v_mul_lo_u32 v18, s57, v2
	v_mad_u64_u32 v[11:12], null, s56, v2, 0
	v_mul_lo_u32 v19, s56, v17
	s_delay_alu instid0(VALU_DEP_2) | instskip(NEXT) | instid1(VALU_DEP_2)
	v_sub_co_u32 v11, vcc_lo, v21, v11
	v_add3_u32 v12, v12, v19, v18
	s_delay_alu instid0(VALU_DEP_1) | instskip(NEXT) | instid1(VALU_DEP_1)
	v_sub_nc_u32_e32 v18, v24, v12
	v_subrev_co_ci_u32_e64 v18, s0, s57, v18, vcc_lo
	v_add_co_u32 v19, s0, v2, 2
	s_delay_alu instid0(VALU_DEP_1) | instskip(SKIP_3) | instid1(VALU_DEP_3)
	v_add_co_ci_u32_e64 v20, s0, 0, v17, s0
	v_sub_co_u32 v21, s0, v11, s56
	v_sub_co_ci_u32_e32 v12, vcc_lo, v24, v12, vcc_lo
	v_subrev_co_ci_u32_e64 v18, s0, 0, v18, s0
	v_cmp_le_u32_e32 vcc_lo, s56, v21
	s_delay_alu instid0(VALU_DEP_3) | instskip(SKIP_1) | instid1(VALU_DEP_4)
	v_cmp_eq_u32_e64 s0, s57, v12
	v_cndmask_b32_e64 v21, 0, -1, vcc_lo
	v_cmp_le_u32_e32 vcc_lo, s57, v18
	v_cndmask_b32_e64 v22, 0, -1, vcc_lo
	v_cmp_le_u32_e32 vcc_lo, s56, v11
	v_cndmask_b32_e64 v11, 0, -1, vcc_lo
	v_cmp_le_u32_e32 vcc_lo, s57, v12
	v_cndmask_b32_e64 v24, 0, -1, vcc_lo
	v_cmp_eq_u32_e32 vcc_lo, s57, v18
	s_delay_alu instid0(VALU_DEP_2) | instskip(SKIP_3) | instid1(VALU_DEP_3)
	v_cndmask_b32_e64 v11, v24, v11, s0
	v_cndmask_b32_e32 v18, v22, v21, vcc_lo
	v_add_co_u32 v21, vcc_lo, v2, 1
	v_add_co_ci_u32_e32 v22, vcc_lo, 0, v17, vcc_lo
	v_cmp_ne_u32_e32 vcc_lo, 0, v18
	s_delay_alu instid0(VALU_DEP_2) | instskip(NEXT) | instid1(VALU_DEP_4)
	v_cndmask_b32_e32 v12, v22, v20, vcc_lo
	v_cndmask_b32_e32 v18, v21, v19, vcc_lo
	v_cmp_ne_u32_e32 vcc_lo, 0, v11
	v_xor_b32_e32 v19, s54, v23
	s_delay_alu instid0(VALU_DEP_3) | instskip(NEXT) | instid1(VALU_DEP_1)
	v_dual_cndmask_b32 v2, v2, v18 :: v_dual_cndmask_b32 v11, v17, v12
                                        ; implicit-def: $vgpr17
	v_xor_b32_e32 v2, v2, v19
	s_delay_alu instid0(VALU_DEP_2) | instskip(NEXT) | instid1(VALU_DEP_2)
	v_xor_b32_e32 v12, v11, v19
	v_sub_co_u32 v11, vcc_lo, v2, v19
	s_delay_alu instid0(VALU_DEP_2)
	v_sub_co_ci_u32_e32 v12, vcc_lo, v12, v19, vcc_lo
.LBB59_17:                              ;   in Loop: Header=BB59_3 Depth=1
	s_and_not1_saveexec_b32 s0, s53
	s_cbranch_execz .LBB59_19
; %bb.18:                               ;   in Loop: Header=BB59_3 Depth=1
	v_rcp_iflag_f32_e32 v2, v15
	s_sub_i32 s53, 0, s46
	s_waitcnt_depctr 0xfff
	v_mul_f32_e32 v2, 0x4f7ffffe, v2
	s_delay_alu instid0(VALU_DEP_1) | instskip(NEXT) | instid1(VALU_DEP_1)
	v_cvt_u32_f32_e32 v2, v2
	v_mul_lo_u32 v11, s53, v2
	s_delay_alu instid0(VALU_DEP_1) | instskip(NEXT) | instid1(VALU_DEP_1)
	v_mul_hi_u32 v11, v2, v11
	v_add_nc_u32_e32 v2, v2, v11
	s_delay_alu instid0(VALU_DEP_1) | instskip(NEXT) | instid1(VALU_DEP_1)
	v_mul_hi_u32 v2, v17, v2
	v_mul_lo_u32 v11, v2, s46
	v_add_nc_u32_e32 v12, 1, v2
	s_delay_alu instid0(VALU_DEP_2) | instskip(NEXT) | instid1(VALU_DEP_1)
	v_sub_nc_u32_e32 v11, v17, v11
	v_subrev_nc_u32_e32 v17, s46, v11
	v_cmp_le_u32_e32 vcc_lo, s46, v11
	s_delay_alu instid0(VALU_DEP_2) | instskip(NEXT) | instid1(VALU_DEP_1)
	v_dual_cndmask_b32 v11, v11, v17 :: v_dual_cndmask_b32 v2, v2, v12
	v_cmp_le_u32_e32 vcc_lo, s46, v11
	s_delay_alu instid0(VALU_DEP_2) | instskip(NEXT) | instid1(VALU_DEP_1)
	v_add_nc_u32_e32 v12, 1, v2
	v_dual_cndmask_b32 v11, v2, v12 :: v_dual_mov_b32 v12, v1
.LBB59_19:                              ;   in Loop: Header=BB59_3 Depth=1
	s_or_b32 exec_lo, exec_lo, s0
	s_delay_alu instid0(VALU_DEP_1) | instskip(NEXT) | instid1(VALU_DEP_2)
	v_mul_lo_u32 v2, v12, s46
	v_mul_lo_u32 v19, v11, s47
	v_mad_u64_u32 v[17:18], null, v11, s46, 0
	s_mov_b32 s0, exec_lo
	s_delay_alu instid0(VALU_DEP_1) | instskip(NEXT) | instid1(VALU_DEP_2)
	v_add3_u32 v2, v18, v19, v2
	v_sub_co_u32 v9, vcc_lo, v9, v17
	v_mul_lo_u32 v18, v12, s24
	v_mul_lo_u32 v17, v11, s25
	s_delay_alu instid0(VALU_DEP_4) | instskip(NEXT) | instid1(VALU_DEP_4)
	v_sub_co_ci_u32_e32 v2, vcc_lo, v10, v2, vcc_lo
	v_add_co_u32 v19, vcc_lo, v3, v9
	v_mad_u64_u32 v[9:10], null, v11, s24, 0
	s_delay_alu instid0(VALU_DEP_3) | instskip(NEXT) | instid1(VALU_DEP_3)
	v_add_co_ci_u32_e32 v2, vcc_lo, v4, v2, vcc_lo
	v_mul_lo_u32 v20, v19, s27
	v_mad_u64_u32 v[11:12], null, v19, s26, 0
	s_delay_alu instid0(VALU_DEP_3) | instskip(SKIP_1) | instid1(VALU_DEP_1)
	v_mul_lo_u32 v2, v2, s26
	v_add3_u32 v10, v10, v17, v18
	v_lshlrev_b64 v[9:10], 1, v[9:10]
	s_delay_alu instid0(VALU_DEP_3) | instskip(NEXT) | instid1(VALU_DEP_2)
	v_add3_u32 v12, v12, v20, v2
	v_add_co_u32 v2, vcc_lo, s44, v9
	s_delay_alu instid0(VALU_DEP_2) | instskip(NEXT) | instid1(VALU_DEP_4)
	v_lshlrev_b64 v[11:12], 1, v[11:12]
	v_add_co_ci_u32_e32 v10, vcc_lo, s45, v10, vcc_lo
	s_delay_alu instid0(VALU_DEP_2) | instskip(NEXT) | instid1(VALU_DEP_2)
	v_add_co_u32 v9, vcc_lo, v2, v11
	v_add_co_ci_u32_e32 v10, vcc_lo, v10, v12, vcc_lo
	v_add_co_u32 v2, vcc_lo, v7, 3
	global_load_u16 v19, v[9:10], off
	v_add_co_ci_u32_e32 v9, vcc_lo, 0, v8, vcc_lo
	v_mul_lo_u32 v11, s5, v2
	s_delay_alu instid0(VALU_DEP_2) | instskip(SKIP_1) | instid1(VALU_DEP_1)
	v_mul_lo_u32 v12, s4, v9
	v_mad_u64_u32 v[9:10], null, s4, v2, 0
	v_add3_u32 v10, v10, v12, v11
	s_delay_alu instid0(VALU_DEP_2) | instskip(NEXT) | instid1(VALU_DEP_2)
	v_add_co_u32 v17, vcc_lo, v3, v9
                                        ; implicit-def: $vgpr11_vgpr12
	v_add_co_ci_u32_e32 v18, vcc_lo, v4, v10, vcc_lo
	s_delay_alu instid0(VALU_DEP_1) | instskip(NEXT) | instid1(VALU_DEP_1)
	v_or_b32_e32 v2, s47, v18
	v_cmpx_ne_u64_e32 0, v[1:2]
	s_xor_b32 s53, exec_lo, s0
	s_cbranch_execz .LBB59_21
; %bb.20:                               ;   in Loop: Header=BB59_3 Depth=1
	s_ashr_i32 s54, s47, 31
	s_delay_alu instid0(SALU_CYCLE_1) | instskip(SKIP_2) | instid1(SALU_CYCLE_1)
	s_add_u32 s56, s46, s54
	s_mov_b32 s55, s54
	s_addc_u32 s57, s47, s54
	s_xor_b64 s[56:57], s[56:57], s[54:55]
	s_delay_alu instid0(SALU_CYCLE_1) | instskip(SKIP_3) | instid1(VALU_DEP_1)
	v_cvt_f32_u32_e32 v2, s56
	v_cvt_f32_u32_e32 v11, s57
	s_sub_u32 s0, 0, s56
	s_subb_u32 s55, 0, s57
	v_fmac_f32_e32 v2, 0x4f800000, v11
	s_delay_alu instid0(VALU_DEP_1) | instskip(SKIP_2) | instid1(VALU_DEP_1)
	v_rcp_f32_e32 v2, v2
	s_waitcnt_depctr 0xfff
	v_mul_f32_e32 v2, 0x5f7ffffc, v2
	v_mul_f32_e32 v11, 0x2f800000, v2
	s_delay_alu instid0(VALU_DEP_1) | instskip(NEXT) | instid1(VALU_DEP_1)
	v_trunc_f32_e32 v11, v11
	v_fmac_f32_e32 v2, 0xcf800000, v11
	v_cvt_u32_f32_e32 v11, v11
	s_delay_alu instid0(VALU_DEP_2) | instskip(NEXT) | instid1(VALU_DEP_2)
	v_cvt_u32_f32_e32 v2, v2
	v_mul_lo_u32 v12, s0, v11
	s_delay_alu instid0(VALU_DEP_2) | instskip(SKIP_1) | instid1(VALU_DEP_2)
	v_mul_hi_u32 v20, s0, v2
	v_mul_lo_u32 v21, s55, v2
	v_add_nc_u32_e32 v12, v20, v12
	v_mul_lo_u32 v20, s0, v2
	s_delay_alu instid0(VALU_DEP_2) | instskip(NEXT) | instid1(VALU_DEP_2)
	v_add_nc_u32_e32 v12, v12, v21
	v_mul_hi_u32 v21, v2, v20
	s_delay_alu instid0(VALU_DEP_2)
	v_mul_lo_u32 v22, v2, v12
	v_mul_hi_u32 v23, v2, v12
	v_mul_hi_u32 v24, v11, v20
	v_mul_lo_u32 v20, v11, v20
	v_mul_hi_u32 v25, v11, v12
	v_mul_lo_u32 v12, v11, v12
	v_add_co_u32 v21, vcc_lo, v21, v22
	v_add_co_ci_u32_e32 v22, vcc_lo, 0, v23, vcc_lo
	s_delay_alu instid0(VALU_DEP_2) | instskip(NEXT) | instid1(VALU_DEP_2)
	v_add_co_u32 v20, vcc_lo, v21, v20
	v_add_co_ci_u32_e32 v20, vcc_lo, v22, v24, vcc_lo
	v_add_co_ci_u32_e32 v21, vcc_lo, 0, v25, vcc_lo
	v_ashrrev_i32_e32 v24, 31, v18
	s_delay_alu instid0(VALU_DEP_3) | instskip(NEXT) | instid1(VALU_DEP_3)
	v_add_co_u32 v12, vcc_lo, v20, v12
	v_add_co_ci_u32_e32 v20, vcc_lo, 0, v21, vcc_lo
	s_delay_alu instid0(VALU_DEP_2) | instskip(NEXT) | instid1(VALU_DEP_2)
	v_add_co_u32 v2, vcc_lo, v2, v12
	v_add_co_ci_u32_e32 v11, vcc_lo, v11, v20, vcc_lo
	s_delay_alu instid0(VALU_DEP_2) | instskip(SKIP_1) | instid1(VALU_DEP_3)
	v_mul_hi_u32 v12, s0, v2
	v_mul_lo_u32 v21, s55, v2
	v_mul_lo_u32 v20, s0, v11
	s_delay_alu instid0(VALU_DEP_1) | instskip(SKIP_1) | instid1(VALU_DEP_2)
	v_add_nc_u32_e32 v12, v12, v20
	v_mul_lo_u32 v20, s0, v2
	v_add_nc_u32_e32 v12, v12, v21
	s_delay_alu instid0(VALU_DEP_2) | instskip(NEXT) | instid1(VALU_DEP_2)
	v_mul_hi_u32 v21, v2, v20
	v_mul_lo_u32 v22, v2, v12
	v_mul_hi_u32 v23, v2, v12
	v_mul_hi_u32 v25, v11, v20
	v_mul_lo_u32 v20, v11, v20
	v_mul_hi_u32 v26, v11, v12
	v_mul_lo_u32 v12, v11, v12
	v_add_co_u32 v21, vcc_lo, v21, v22
	v_add_co_ci_u32_e32 v22, vcc_lo, 0, v23, vcc_lo
	s_delay_alu instid0(VALU_DEP_2) | instskip(NEXT) | instid1(VALU_DEP_2)
	v_add_co_u32 v20, vcc_lo, v21, v20
	v_add_co_ci_u32_e32 v20, vcc_lo, v22, v25, vcc_lo
	v_add_co_ci_u32_e32 v21, vcc_lo, 0, v26, vcc_lo
	v_add_co_u32 v17, vcc_lo, v17, v24
	v_add_co_ci_u32_e32 v18, vcc_lo, v18, v24, vcc_lo
	s_delay_alu instid0(VALU_DEP_4) | instskip(NEXT) | instid1(VALU_DEP_4)
	v_add_co_u32 v12, vcc_lo, v20, v12
	v_add_co_ci_u32_e32 v20, vcc_lo, 0, v21, vcc_lo
	s_delay_alu instid0(VALU_DEP_4) | instskip(NEXT) | instid1(VALU_DEP_3)
	v_xor_b32_e32 v22, v17, v24
	v_add_co_u32 v2, vcc_lo, v2, v12
	s_delay_alu instid0(VALU_DEP_3) | instskip(SKIP_1) | instid1(VALU_DEP_3)
	v_add_co_ci_u32_e32 v23, vcc_lo, v11, v20, vcc_lo
	v_xor_b32_e32 v25, v18, v24
	v_mul_hi_u32 v26, v22, v2
	s_delay_alu instid0(VALU_DEP_3) | instskip(NEXT) | instid1(VALU_DEP_3)
	v_mad_u64_u32 v[11:12], null, v22, v23, 0
	v_mad_u64_u32 v[17:18], null, v25, v2, 0
	;; [unrolled: 1-line block ×3, first 2 shown]
	s_delay_alu instid0(VALU_DEP_3) | instskip(NEXT) | instid1(VALU_DEP_4)
	v_add_co_u32 v2, vcc_lo, v26, v11
	v_add_co_ci_u32_e32 v11, vcc_lo, 0, v12, vcc_lo
	s_delay_alu instid0(VALU_DEP_2) | instskip(NEXT) | instid1(VALU_DEP_2)
	v_add_co_u32 v2, vcc_lo, v2, v17
	v_add_co_ci_u32_e32 v2, vcc_lo, v11, v18, vcc_lo
	v_add_co_ci_u32_e32 v11, vcc_lo, 0, v21, vcc_lo
	s_delay_alu instid0(VALU_DEP_2) | instskip(NEXT) | instid1(VALU_DEP_2)
	v_add_co_u32 v2, vcc_lo, v2, v20
	v_add_co_ci_u32_e32 v17, vcc_lo, 0, v11, vcc_lo
	s_delay_alu instid0(VALU_DEP_2) | instskip(SKIP_1) | instid1(VALU_DEP_3)
	v_mul_lo_u32 v18, s57, v2
	v_mad_u64_u32 v[11:12], null, s56, v2, 0
	v_mul_lo_u32 v20, s56, v17
	s_delay_alu instid0(VALU_DEP_2) | instskip(NEXT) | instid1(VALU_DEP_2)
	v_sub_co_u32 v11, vcc_lo, v22, v11
	v_add3_u32 v12, v12, v20, v18
	s_delay_alu instid0(VALU_DEP_1) | instskip(NEXT) | instid1(VALU_DEP_1)
	v_sub_nc_u32_e32 v18, v25, v12
	v_subrev_co_ci_u32_e64 v18, s0, s57, v18, vcc_lo
	v_add_co_u32 v20, s0, v2, 2
	s_delay_alu instid0(VALU_DEP_1) | instskip(SKIP_3) | instid1(VALU_DEP_3)
	v_add_co_ci_u32_e64 v21, s0, 0, v17, s0
	v_sub_co_u32 v22, s0, v11, s56
	v_sub_co_ci_u32_e32 v12, vcc_lo, v25, v12, vcc_lo
	v_subrev_co_ci_u32_e64 v18, s0, 0, v18, s0
	v_cmp_le_u32_e32 vcc_lo, s56, v22
	s_delay_alu instid0(VALU_DEP_3) | instskip(SKIP_1) | instid1(VALU_DEP_4)
	v_cmp_eq_u32_e64 s0, s57, v12
	v_cndmask_b32_e64 v22, 0, -1, vcc_lo
	v_cmp_le_u32_e32 vcc_lo, s57, v18
	v_cndmask_b32_e64 v23, 0, -1, vcc_lo
	v_cmp_le_u32_e32 vcc_lo, s56, v11
	;; [unrolled: 2-line block ×3, first 2 shown]
	v_cndmask_b32_e64 v25, 0, -1, vcc_lo
	v_cmp_eq_u32_e32 vcc_lo, s57, v18
	s_delay_alu instid0(VALU_DEP_2) | instskip(SKIP_3) | instid1(VALU_DEP_3)
	v_cndmask_b32_e64 v11, v25, v11, s0
	v_cndmask_b32_e32 v18, v23, v22, vcc_lo
	v_add_co_u32 v22, vcc_lo, v2, 1
	v_add_co_ci_u32_e32 v23, vcc_lo, 0, v17, vcc_lo
	v_cmp_ne_u32_e32 vcc_lo, 0, v18
	s_delay_alu instid0(VALU_DEP_2) | instskip(NEXT) | instid1(VALU_DEP_4)
	v_cndmask_b32_e32 v12, v23, v21, vcc_lo
	v_cndmask_b32_e32 v18, v22, v20, vcc_lo
	v_cmp_ne_u32_e32 vcc_lo, 0, v11
	v_xor_b32_e32 v20, s54, v24
	s_delay_alu instid0(VALU_DEP_3) | instskip(NEXT) | instid1(VALU_DEP_1)
	v_dual_cndmask_b32 v2, v2, v18 :: v_dual_cndmask_b32 v11, v17, v12
                                        ; implicit-def: $vgpr17
	v_xor_b32_e32 v2, v2, v20
	s_delay_alu instid0(VALU_DEP_2) | instskip(NEXT) | instid1(VALU_DEP_2)
	v_xor_b32_e32 v12, v11, v20
	v_sub_co_u32 v11, vcc_lo, v2, v20
	s_delay_alu instid0(VALU_DEP_2)
	v_sub_co_ci_u32_e32 v12, vcc_lo, v12, v20, vcc_lo
.LBB59_21:                              ;   in Loop: Header=BB59_3 Depth=1
	s_and_not1_saveexec_b32 s0, s53
	s_cbranch_execz .LBB59_23
; %bb.22:                               ;   in Loop: Header=BB59_3 Depth=1
	v_rcp_iflag_f32_e32 v2, v15
	s_sub_i32 s53, 0, s46
	s_waitcnt_depctr 0xfff
	v_mul_f32_e32 v2, 0x4f7ffffe, v2
	s_delay_alu instid0(VALU_DEP_1) | instskip(NEXT) | instid1(VALU_DEP_1)
	v_cvt_u32_f32_e32 v2, v2
	v_mul_lo_u32 v11, s53, v2
	s_delay_alu instid0(VALU_DEP_1) | instskip(NEXT) | instid1(VALU_DEP_1)
	v_mul_hi_u32 v11, v2, v11
	v_add_nc_u32_e32 v2, v2, v11
	s_delay_alu instid0(VALU_DEP_1) | instskip(NEXT) | instid1(VALU_DEP_1)
	v_mul_hi_u32 v2, v17, v2
	v_mul_lo_u32 v11, v2, s46
	v_add_nc_u32_e32 v12, 1, v2
	s_delay_alu instid0(VALU_DEP_2) | instskip(NEXT) | instid1(VALU_DEP_1)
	v_sub_nc_u32_e32 v11, v17, v11
	v_subrev_nc_u32_e32 v17, s46, v11
	v_cmp_le_u32_e32 vcc_lo, s46, v11
	s_delay_alu instid0(VALU_DEP_2) | instskip(NEXT) | instid1(VALU_DEP_1)
	v_dual_cndmask_b32 v11, v11, v17 :: v_dual_cndmask_b32 v2, v2, v12
	v_cmp_le_u32_e32 vcc_lo, s46, v11
	s_delay_alu instid0(VALU_DEP_2) | instskip(NEXT) | instid1(VALU_DEP_1)
	v_add_nc_u32_e32 v12, 1, v2
	v_dual_cndmask_b32 v11, v2, v12 :: v_dual_mov_b32 v12, v1
.LBB59_23:                              ;   in Loop: Header=BB59_3 Depth=1
	s_or_b32 exec_lo, exec_lo, s0
	s_delay_alu instid0(VALU_DEP_1) | instskip(NEXT) | instid1(VALU_DEP_2)
	v_mul_lo_u32 v2, v12, s46
	v_mul_lo_u32 v20, v11, s47
	v_mad_u64_u32 v[17:18], null, v11, s46, 0
	s_mov_b32 s0, exec_lo
	s_delay_alu instid0(VALU_DEP_1) | instskip(NEXT) | instid1(VALU_DEP_2)
	v_add3_u32 v2, v18, v20, v2
	v_sub_co_u32 v9, vcc_lo, v9, v17
	v_mul_lo_u32 v18, v12, s24
	v_mul_lo_u32 v17, v11, s25
	s_delay_alu instid0(VALU_DEP_4) | instskip(NEXT) | instid1(VALU_DEP_4)
	v_sub_co_ci_u32_e32 v2, vcc_lo, v10, v2, vcc_lo
	v_add_co_u32 v20, vcc_lo, v3, v9
	v_mad_u64_u32 v[9:10], null, v11, s24, 0
	s_delay_alu instid0(VALU_DEP_3) | instskip(NEXT) | instid1(VALU_DEP_3)
	v_add_co_ci_u32_e32 v2, vcc_lo, v4, v2, vcc_lo
	v_mul_lo_u32 v21, v20, s27
	v_mad_u64_u32 v[11:12], null, v20, s26, 0
	s_delay_alu instid0(VALU_DEP_3) | instskip(SKIP_1) | instid1(VALU_DEP_1)
	v_mul_lo_u32 v2, v2, s26
	v_add3_u32 v10, v10, v17, v18
	v_lshlrev_b64 v[9:10], 1, v[9:10]
	s_delay_alu instid0(VALU_DEP_3) | instskip(NEXT) | instid1(VALU_DEP_2)
	v_add3_u32 v12, v12, v21, v2
	v_add_co_u32 v2, vcc_lo, s44, v9
	s_delay_alu instid0(VALU_DEP_2) | instskip(NEXT) | instid1(VALU_DEP_4)
	v_lshlrev_b64 v[11:12], 1, v[11:12]
	v_add_co_ci_u32_e32 v10, vcc_lo, s45, v10, vcc_lo
	s_delay_alu instid0(VALU_DEP_2) | instskip(NEXT) | instid1(VALU_DEP_2)
	v_add_co_u32 v9, vcc_lo, v2, v11
	v_add_co_ci_u32_e32 v10, vcc_lo, v10, v12, vcc_lo
	v_add_co_u32 v2, vcc_lo, v7, 4
	v_add_co_ci_u32_e32 v7, vcc_lo, 0, v8, vcc_lo
	global_load_u16 v20, v[9:10], off
	v_mul_lo_u32 v9, s5, v2
	v_mul_lo_u32 v10, s4, v7
	v_mad_u64_u32 v[7:8], null, s4, v2, 0
	s_delay_alu instid0(VALU_DEP_1) | instskip(NEXT) | instid1(VALU_DEP_2)
	v_add3_u32 v8, v8, v10, v9
	v_add_co_u32 v11, vcc_lo, v3, v7
                                        ; implicit-def: $vgpr9_vgpr10
	s_delay_alu instid0(VALU_DEP_2) | instskip(NEXT) | instid1(VALU_DEP_1)
	v_add_co_ci_u32_e32 v12, vcc_lo, v4, v8, vcc_lo
	v_or_b32_e32 v2, s47, v12
	s_delay_alu instid0(VALU_DEP_1)
	v_cmpx_ne_u64_e32 0, v[1:2]
	s_xor_b32 s53, exec_lo, s0
	s_cbranch_execz .LBB59_25
; %bb.24:                               ;   in Loop: Header=BB59_3 Depth=1
	s_ashr_i32 s54, s47, 31
	s_delay_alu instid0(SALU_CYCLE_1) | instskip(SKIP_2) | instid1(SALU_CYCLE_1)
	s_add_u32 s56, s46, s54
	s_mov_b32 s55, s54
	s_addc_u32 s57, s47, s54
	s_xor_b64 s[56:57], s[56:57], s[54:55]
	s_delay_alu instid0(SALU_CYCLE_1) | instskip(SKIP_3) | instid1(VALU_DEP_1)
	v_cvt_f32_u32_e32 v2, s56
	v_cvt_f32_u32_e32 v9, s57
	s_sub_u32 s0, 0, s56
	s_subb_u32 s55, 0, s57
	v_fmac_f32_e32 v2, 0x4f800000, v9
	s_delay_alu instid0(VALU_DEP_1) | instskip(SKIP_2) | instid1(VALU_DEP_1)
	v_rcp_f32_e32 v2, v2
	s_waitcnt_depctr 0xfff
	v_mul_f32_e32 v2, 0x5f7ffffc, v2
	v_mul_f32_e32 v9, 0x2f800000, v2
	s_delay_alu instid0(VALU_DEP_1) | instskip(NEXT) | instid1(VALU_DEP_1)
	v_trunc_f32_e32 v9, v9
	v_fmac_f32_e32 v2, 0xcf800000, v9
	v_cvt_u32_f32_e32 v9, v9
	s_delay_alu instid0(VALU_DEP_2) | instskip(NEXT) | instid1(VALU_DEP_2)
	v_cvt_u32_f32_e32 v2, v2
	v_mul_lo_u32 v10, s0, v9
	s_delay_alu instid0(VALU_DEP_2) | instskip(SKIP_1) | instid1(VALU_DEP_2)
	v_mul_hi_u32 v15, s0, v2
	v_mul_lo_u32 v17, s55, v2
	v_add_nc_u32_e32 v10, v15, v10
	v_mul_lo_u32 v15, s0, v2
	s_delay_alu instid0(VALU_DEP_2) | instskip(NEXT) | instid1(VALU_DEP_2)
	v_add_nc_u32_e32 v10, v10, v17
	v_mul_hi_u32 v17, v2, v15
	s_delay_alu instid0(VALU_DEP_2)
	v_mul_lo_u32 v18, v2, v10
	v_mul_hi_u32 v21, v2, v10
	v_mul_hi_u32 v22, v9, v15
	v_mul_lo_u32 v15, v9, v15
	v_mul_hi_u32 v23, v9, v10
	v_mul_lo_u32 v10, v9, v10
	v_add_co_u32 v17, vcc_lo, v17, v18
	v_add_co_ci_u32_e32 v18, vcc_lo, 0, v21, vcc_lo
	s_delay_alu instid0(VALU_DEP_2) | instskip(NEXT) | instid1(VALU_DEP_2)
	v_add_co_u32 v15, vcc_lo, v17, v15
	v_add_co_ci_u32_e32 v15, vcc_lo, v18, v22, vcc_lo
	v_add_co_ci_u32_e32 v17, vcc_lo, 0, v23, vcc_lo
	v_ashrrev_i32_e32 v22, 31, v12
	s_delay_alu instid0(VALU_DEP_3) | instskip(NEXT) | instid1(VALU_DEP_3)
	v_add_co_u32 v10, vcc_lo, v15, v10
	v_add_co_ci_u32_e32 v15, vcc_lo, 0, v17, vcc_lo
	s_delay_alu instid0(VALU_DEP_2) | instskip(NEXT) | instid1(VALU_DEP_2)
	v_add_co_u32 v2, vcc_lo, v2, v10
	v_add_co_ci_u32_e32 v9, vcc_lo, v9, v15, vcc_lo
	s_delay_alu instid0(VALU_DEP_2) | instskip(SKIP_1) | instid1(VALU_DEP_3)
	v_mul_hi_u32 v10, s0, v2
	v_mul_lo_u32 v17, s55, v2
	v_mul_lo_u32 v15, s0, v9
	s_delay_alu instid0(VALU_DEP_1) | instskip(SKIP_1) | instid1(VALU_DEP_2)
	v_add_nc_u32_e32 v10, v10, v15
	v_mul_lo_u32 v15, s0, v2
	v_add_nc_u32_e32 v10, v10, v17
	s_delay_alu instid0(VALU_DEP_2) | instskip(NEXT) | instid1(VALU_DEP_2)
	v_mul_hi_u32 v17, v2, v15
	v_mul_lo_u32 v18, v2, v10
	v_mul_hi_u32 v21, v2, v10
	v_mul_hi_u32 v23, v9, v15
	v_mul_lo_u32 v15, v9, v15
	v_mul_hi_u32 v24, v9, v10
	v_mul_lo_u32 v10, v9, v10
	v_add_co_u32 v17, vcc_lo, v17, v18
	v_add_co_ci_u32_e32 v18, vcc_lo, 0, v21, vcc_lo
	s_delay_alu instid0(VALU_DEP_2) | instskip(NEXT) | instid1(VALU_DEP_2)
	v_add_co_u32 v15, vcc_lo, v17, v15
	v_add_co_ci_u32_e32 v15, vcc_lo, v18, v23, vcc_lo
	v_add_co_ci_u32_e32 v17, vcc_lo, 0, v24, vcc_lo
	v_add_co_u32 v11, vcc_lo, v11, v22
	v_add_co_ci_u32_e32 v12, vcc_lo, v12, v22, vcc_lo
	s_delay_alu instid0(VALU_DEP_4) | instskip(NEXT) | instid1(VALU_DEP_4)
	v_add_co_u32 v10, vcc_lo, v15, v10
	v_add_co_ci_u32_e32 v15, vcc_lo, 0, v17, vcc_lo
	s_delay_alu instid0(VALU_DEP_4) | instskip(NEXT) | instid1(VALU_DEP_3)
	v_xor_b32_e32 v21, v11, v22
	v_add_co_u32 v2, vcc_lo, v2, v10
	s_delay_alu instid0(VALU_DEP_3) | instskip(SKIP_1) | instid1(VALU_DEP_3)
	v_add_co_ci_u32_e32 v15, vcc_lo, v9, v15, vcc_lo
	v_xor_b32_e32 v23, v12, v22
	v_mul_hi_u32 v24, v21, v2
	s_delay_alu instid0(VALU_DEP_3) | instskip(NEXT) | instid1(VALU_DEP_3)
	v_mad_u64_u32 v[9:10], null, v21, v15, 0
	v_mad_u64_u32 v[11:12], null, v23, v2, 0
	;; [unrolled: 1-line block ×3, first 2 shown]
	s_delay_alu instid0(VALU_DEP_3) | instskip(NEXT) | instid1(VALU_DEP_4)
	v_add_co_u32 v2, vcc_lo, v24, v9
	v_add_co_ci_u32_e32 v9, vcc_lo, 0, v10, vcc_lo
	s_delay_alu instid0(VALU_DEP_2) | instskip(NEXT) | instid1(VALU_DEP_2)
	v_add_co_u32 v2, vcc_lo, v2, v11
	v_add_co_ci_u32_e32 v2, vcc_lo, v9, v12, vcc_lo
	v_add_co_ci_u32_e32 v9, vcc_lo, 0, v18, vcc_lo
	s_delay_alu instid0(VALU_DEP_2) | instskip(NEXT) | instid1(VALU_DEP_2)
	v_add_co_u32 v2, vcc_lo, v2, v17
	v_add_co_ci_u32_e32 v11, vcc_lo, 0, v9, vcc_lo
	s_delay_alu instid0(VALU_DEP_2) | instskip(SKIP_1) | instid1(VALU_DEP_3)
	v_mul_lo_u32 v12, s57, v2
	v_mad_u64_u32 v[9:10], null, s56, v2, 0
	v_mul_lo_u32 v15, s56, v11
	s_delay_alu instid0(VALU_DEP_2) | instskip(NEXT) | instid1(VALU_DEP_2)
	v_sub_co_u32 v9, vcc_lo, v21, v9
	v_add3_u32 v10, v10, v15, v12
	s_delay_alu instid0(VALU_DEP_1) | instskip(NEXT) | instid1(VALU_DEP_1)
	v_sub_nc_u32_e32 v12, v23, v10
	v_subrev_co_ci_u32_e64 v12, s0, s57, v12, vcc_lo
	v_add_co_u32 v15, s0, v2, 2
	s_delay_alu instid0(VALU_DEP_1) | instskip(SKIP_3) | instid1(VALU_DEP_3)
	v_add_co_ci_u32_e64 v17, s0, 0, v11, s0
	v_sub_co_u32 v18, s0, v9, s56
	v_sub_co_ci_u32_e32 v10, vcc_lo, v23, v10, vcc_lo
	v_subrev_co_ci_u32_e64 v12, s0, 0, v12, s0
	v_cmp_le_u32_e32 vcc_lo, s56, v18
	s_delay_alu instid0(VALU_DEP_3) | instskip(SKIP_1) | instid1(VALU_DEP_4)
	v_cmp_eq_u32_e64 s0, s57, v10
	v_cndmask_b32_e64 v18, 0, -1, vcc_lo
	v_cmp_le_u32_e32 vcc_lo, s57, v12
	v_cndmask_b32_e64 v21, 0, -1, vcc_lo
	v_cmp_le_u32_e32 vcc_lo, s56, v9
	;; [unrolled: 2-line block ×3, first 2 shown]
	v_cndmask_b32_e64 v23, 0, -1, vcc_lo
	v_cmp_eq_u32_e32 vcc_lo, s57, v12
	s_delay_alu instid0(VALU_DEP_2) | instskip(SKIP_3) | instid1(VALU_DEP_3)
	v_cndmask_b32_e64 v9, v23, v9, s0
	v_cndmask_b32_e32 v12, v21, v18, vcc_lo
	v_add_co_u32 v18, vcc_lo, v2, 1
	v_add_co_ci_u32_e32 v21, vcc_lo, 0, v11, vcc_lo
	v_cmp_ne_u32_e32 vcc_lo, 0, v12
	s_delay_alu instid0(VALU_DEP_2) | instskip(NEXT) | instid1(VALU_DEP_4)
	v_cndmask_b32_e32 v10, v21, v17, vcc_lo
	v_cndmask_b32_e32 v12, v18, v15, vcc_lo
	v_cmp_ne_u32_e32 vcc_lo, 0, v9
	v_xor_b32_e32 v15, s54, v22
	s_delay_alu instid0(VALU_DEP_3) | instskip(NEXT) | instid1(VALU_DEP_1)
	v_dual_cndmask_b32 v2, v2, v12 :: v_dual_cndmask_b32 v9, v11, v10
                                        ; implicit-def: $vgpr11
	v_xor_b32_e32 v2, v2, v15
	s_delay_alu instid0(VALU_DEP_2) | instskip(NEXT) | instid1(VALU_DEP_2)
	v_xor_b32_e32 v10, v9, v15
	v_sub_co_u32 v9, vcc_lo, v2, v15
	s_delay_alu instid0(VALU_DEP_2)
	v_sub_co_ci_u32_e32 v10, vcc_lo, v10, v15, vcc_lo
                                        ; implicit-def: $vgpr15
.LBB59_25:                              ;   in Loop: Header=BB59_3 Depth=1
	s_and_not1_saveexec_b32 s0, s53
	s_cbranch_execz .LBB59_27
; %bb.26:                               ;   in Loop: Header=BB59_3 Depth=1
	v_rcp_iflag_f32_e32 v2, v15
	s_sub_i32 s53, 0, s46
	s_waitcnt_depctr 0xfff
	v_mul_f32_e32 v2, 0x4f7ffffe, v2
	s_delay_alu instid0(VALU_DEP_1) | instskip(NEXT) | instid1(VALU_DEP_1)
	v_cvt_u32_f32_e32 v2, v2
	v_mul_lo_u32 v9, s53, v2
	s_delay_alu instid0(VALU_DEP_1) | instskip(NEXT) | instid1(VALU_DEP_1)
	v_mul_hi_u32 v9, v2, v9
	v_add_nc_u32_e32 v2, v2, v9
	s_delay_alu instid0(VALU_DEP_1) | instskip(NEXT) | instid1(VALU_DEP_1)
	v_mul_hi_u32 v2, v11, v2
	v_mul_lo_u32 v9, v2, s46
	v_add_nc_u32_e32 v10, 1, v2
	s_delay_alu instid0(VALU_DEP_2) | instskip(NEXT) | instid1(VALU_DEP_1)
	v_sub_nc_u32_e32 v9, v11, v9
	v_subrev_nc_u32_e32 v11, s46, v9
	v_cmp_le_u32_e32 vcc_lo, s46, v9
	s_delay_alu instid0(VALU_DEP_2) | instskip(NEXT) | instid1(VALU_DEP_1)
	v_dual_cndmask_b32 v9, v9, v11 :: v_dual_cndmask_b32 v2, v2, v10
	v_cmp_le_u32_e32 vcc_lo, s46, v9
	s_delay_alu instid0(VALU_DEP_2) | instskip(NEXT) | instid1(VALU_DEP_1)
	v_add_nc_u32_e32 v10, 1, v2
	v_dual_cndmask_b32 v9, v2, v10 :: v_dual_mov_b32 v10, v1
.LBB59_27:                              ;   in Loop: Header=BB59_3 Depth=1
	s_or_b32 exec_lo, exec_lo, s0
	s_delay_alu instid0(VALU_DEP_1) | instskip(NEXT) | instid1(VALU_DEP_2)
	v_mul_lo_u32 v2, v10, s46
	v_mul_lo_u32 v15, v9, s47
	v_mad_u64_u32 v[11:12], null, v9, s46, 0
	s_mov_b32 s0, exec_lo
	s_delay_alu instid0(VALU_DEP_1) | instskip(NEXT) | instid1(VALU_DEP_2)
	v_add3_u32 v2, v12, v15, v2
	v_sub_co_u32 v7, vcc_lo, v7, v11
	v_mul_lo_u32 v12, v10, s24
	v_mul_lo_u32 v11, v9, s25
	s_delay_alu instid0(VALU_DEP_4) | instskip(NEXT) | instid1(VALU_DEP_4)
	v_sub_co_ci_u32_e32 v2, vcc_lo, v8, v2, vcc_lo
	v_add_co_u32 v15, vcc_lo, v3, v7
	v_mad_u64_u32 v[7:8], null, v9, s24, 0
	s_delay_alu instid0(VALU_DEP_3) | instskip(NEXT) | instid1(VALU_DEP_3)
	v_add_co_ci_u32_e32 v2, vcc_lo, v4, v2, vcc_lo
	v_mul_lo_u32 v17, v15, s27
	v_mad_u64_u32 v[9:10], null, v15, s26, 0
	s_delay_alu instid0(VALU_DEP_3) | instskip(SKIP_1) | instid1(VALU_DEP_1)
	v_mul_lo_u32 v2, v2, s26
	v_add3_u32 v8, v8, v11, v12
	v_lshlrev_b64 v[7:8], 1, v[7:8]
	s_delay_alu instid0(VALU_DEP_3) | instskip(NEXT) | instid1(VALU_DEP_2)
	v_add3_u32 v10, v10, v17, v2
	v_add_co_u32 v2, vcc_lo, s44, v7
	s_delay_alu instid0(VALU_DEP_2) | instskip(NEXT) | instid1(VALU_DEP_4)
	v_lshlrev_b64 v[9:10], 1, v[9:10]
	v_add_co_ci_u32_e32 v8, vcc_lo, s45, v8, vcc_lo
	s_delay_alu instid0(VALU_DEP_2) | instskip(NEXT) | instid1(VALU_DEP_2)
	v_add_co_u32 v7, vcc_lo, v2, v9
	v_add_co_ci_u32_e32 v8, vcc_lo, v8, v10, vcc_lo
	v_or_b32_e32 v2, s39, v4
	global_load_u16 v9, v[7:8], off
                                        ; implicit-def: $vgpr7_vgpr8
	v_cmpx_ne_u64_e32 0, v[1:2]
	s_xor_b32 s53, exec_lo, s0
	s_cbranch_execz .LBB59_29
; %bb.28:                               ;   in Loop: Header=BB59_3 Depth=1
	s_ashr_i32 s54, s39, 31
	s_delay_alu instid0(SALU_CYCLE_1) | instskip(SKIP_2) | instid1(SALU_CYCLE_1)
	s_add_u32 s56, s38, s54
	s_mov_b32 s55, s54
	s_addc_u32 s57, s39, s54
	s_xor_b64 s[56:57], s[56:57], s[54:55]
	s_delay_alu instid0(SALU_CYCLE_1) | instskip(SKIP_3) | instid1(VALU_DEP_1)
	v_cvt_f32_u32_e32 v2, s56
	v_cvt_f32_u32_e32 v7, s57
	s_sub_u32 s0, 0, s56
	s_subb_u32 s55, 0, s57
	v_fmac_f32_e32 v2, 0x4f800000, v7
	s_delay_alu instid0(VALU_DEP_1) | instskip(SKIP_2) | instid1(VALU_DEP_1)
	v_rcp_f32_e32 v2, v2
	s_waitcnt_depctr 0xfff
	v_mul_f32_e32 v2, 0x5f7ffffc, v2
	v_mul_f32_e32 v7, 0x2f800000, v2
	s_delay_alu instid0(VALU_DEP_1) | instskip(NEXT) | instid1(VALU_DEP_1)
	v_trunc_f32_e32 v7, v7
	v_fmac_f32_e32 v2, 0xcf800000, v7
	v_cvt_u32_f32_e32 v7, v7
	s_delay_alu instid0(VALU_DEP_2) | instskip(NEXT) | instid1(VALU_DEP_2)
	v_cvt_u32_f32_e32 v2, v2
	v_mul_lo_u32 v8, s0, v7
	s_delay_alu instid0(VALU_DEP_2) | instskip(SKIP_1) | instid1(VALU_DEP_2)
	v_mul_hi_u32 v10, s0, v2
	v_mul_lo_u32 v11, s55, v2
	v_add_nc_u32_e32 v8, v10, v8
	v_mul_lo_u32 v10, s0, v2
	s_delay_alu instid0(VALU_DEP_2) | instskip(NEXT) | instid1(VALU_DEP_2)
	v_add_nc_u32_e32 v8, v8, v11
	v_mul_hi_u32 v11, v2, v10
	s_delay_alu instid0(VALU_DEP_2)
	v_mul_lo_u32 v12, v2, v8
	v_mul_hi_u32 v15, v2, v8
	v_mul_hi_u32 v17, v7, v10
	v_mul_lo_u32 v10, v7, v10
	v_mul_hi_u32 v18, v7, v8
	v_mul_lo_u32 v8, v7, v8
	v_add_co_u32 v11, vcc_lo, v11, v12
	v_add_co_ci_u32_e32 v12, vcc_lo, 0, v15, vcc_lo
	s_delay_alu instid0(VALU_DEP_2) | instskip(NEXT) | instid1(VALU_DEP_2)
	v_add_co_u32 v10, vcc_lo, v11, v10
	v_add_co_ci_u32_e32 v10, vcc_lo, v12, v17, vcc_lo
	v_add_co_ci_u32_e32 v11, vcc_lo, 0, v18, vcc_lo
	s_delay_alu instid0(VALU_DEP_2) | instskip(NEXT) | instid1(VALU_DEP_2)
	v_add_co_u32 v8, vcc_lo, v10, v8
	v_add_co_ci_u32_e32 v10, vcc_lo, 0, v11, vcc_lo
	s_delay_alu instid0(VALU_DEP_2) | instskip(NEXT) | instid1(VALU_DEP_2)
	v_add_co_u32 v2, vcc_lo, v2, v8
	v_add_co_ci_u32_e32 v7, vcc_lo, v7, v10, vcc_lo
	s_delay_alu instid0(VALU_DEP_2) | instskip(SKIP_1) | instid1(VALU_DEP_3)
	v_mul_hi_u32 v8, s0, v2
	v_mul_lo_u32 v11, s55, v2
	v_mul_lo_u32 v10, s0, v7
	s_delay_alu instid0(VALU_DEP_1) | instskip(SKIP_1) | instid1(VALU_DEP_2)
	v_add_nc_u32_e32 v8, v8, v10
	v_mul_lo_u32 v10, s0, v2
	v_add_nc_u32_e32 v8, v8, v11
	s_delay_alu instid0(VALU_DEP_2) | instskip(NEXT) | instid1(VALU_DEP_2)
	v_mul_hi_u32 v11, v2, v10
	v_mul_lo_u32 v12, v2, v8
	v_mul_hi_u32 v15, v2, v8
	v_mul_hi_u32 v17, v7, v10
	v_mul_lo_u32 v10, v7, v10
	v_mul_hi_u32 v18, v7, v8
	v_mul_lo_u32 v8, v7, v8
	v_add_co_u32 v11, vcc_lo, v11, v12
	v_add_co_ci_u32_e32 v12, vcc_lo, 0, v15, vcc_lo
	s_delay_alu instid0(VALU_DEP_2) | instskip(NEXT) | instid1(VALU_DEP_2)
	v_add_co_u32 v10, vcc_lo, v11, v10
	v_add_co_ci_u32_e32 v10, vcc_lo, v12, v17, vcc_lo
	v_add_co_ci_u32_e32 v11, vcc_lo, 0, v18, vcc_lo
	v_add_co_u32 v12, vcc_lo, v3, v13
	v_add_co_ci_u32_e32 v15, vcc_lo, v4, v13, vcc_lo
	s_delay_alu instid0(VALU_DEP_4) | instskip(NEXT) | instid1(VALU_DEP_4)
	v_add_co_u32 v8, vcc_lo, v10, v8
	v_add_co_ci_u32_e32 v10, vcc_lo, 0, v11, vcc_lo
	s_delay_alu instid0(VALU_DEP_4) | instskip(NEXT) | instid1(VALU_DEP_3)
	v_xor_b32_e32 v12, v12, v13
	v_add_co_u32 v2, vcc_lo, v2, v8
	s_delay_alu instid0(VALU_DEP_3) | instskip(SKIP_1) | instid1(VALU_DEP_3)
	v_add_co_ci_u32_e32 v21, vcc_lo, v7, v10, vcc_lo
	v_xor_b32_e32 v15, v15, v13
	v_mul_hi_u32 v22, v12, v2
	s_delay_alu instid0(VALU_DEP_3) | instskip(NEXT) | instid1(VALU_DEP_3)
	v_mad_u64_u32 v[7:8], null, v12, v21, 0
	v_mad_u64_u32 v[10:11], null, v15, v2, 0
	;; [unrolled: 1-line block ×3, first 2 shown]
	s_delay_alu instid0(VALU_DEP_3) | instskip(NEXT) | instid1(VALU_DEP_4)
	v_add_co_u32 v2, vcc_lo, v22, v7
	v_add_co_ci_u32_e32 v7, vcc_lo, 0, v8, vcc_lo
	s_delay_alu instid0(VALU_DEP_2) | instskip(NEXT) | instid1(VALU_DEP_2)
	v_add_co_u32 v2, vcc_lo, v2, v10
	v_add_co_ci_u32_e32 v2, vcc_lo, v7, v11, vcc_lo
	v_add_co_ci_u32_e32 v7, vcc_lo, 0, v18, vcc_lo
	s_delay_alu instid0(VALU_DEP_2) | instskip(NEXT) | instid1(VALU_DEP_2)
	v_add_co_u32 v2, vcc_lo, v2, v17
	v_add_co_ci_u32_e32 v10, vcc_lo, 0, v7, vcc_lo
	s_delay_alu instid0(VALU_DEP_2) | instskip(SKIP_1) | instid1(VALU_DEP_3)
	v_mul_lo_u32 v11, s57, v2
	v_mad_u64_u32 v[7:8], null, s56, v2, 0
	v_mul_lo_u32 v17, s56, v10
	s_delay_alu instid0(VALU_DEP_2) | instskip(NEXT) | instid1(VALU_DEP_2)
	v_sub_co_u32 v7, vcc_lo, v12, v7
	v_add3_u32 v8, v8, v17, v11
	s_delay_alu instid0(VALU_DEP_1) | instskip(NEXT) | instid1(VALU_DEP_1)
	v_sub_nc_u32_e32 v11, v15, v8
	v_subrev_co_ci_u32_e64 v11, s0, s57, v11, vcc_lo
	v_add_co_u32 v12, s0, v2, 2
	s_delay_alu instid0(VALU_DEP_1) | instskip(SKIP_3) | instid1(VALU_DEP_3)
	v_add_co_ci_u32_e64 v17, s0, 0, v10, s0
	v_sub_co_u32 v18, s0, v7, s56
	v_sub_co_ci_u32_e32 v8, vcc_lo, v15, v8, vcc_lo
	v_subrev_co_ci_u32_e64 v11, s0, 0, v11, s0
	v_cmp_le_u32_e32 vcc_lo, s56, v18
	s_delay_alu instid0(VALU_DEP_3) | instskip(SKIP_1) | instid1(VALU_DEP_4)
	v_cmp_eq_u32_e64 s0, s57, v8
	v_cndmask_b32_e64 v15, 0, -1, vcc_lo
	v_cmp_le_u32_e32 vcc_lo, s57, v11
	v_cndmask_b32_e64 v18, 0, -1, vcc_lo
	v_cmp_le_u32_e32 vcc_lo, s56, v7
	;; [unrolled: 2-line block ×3, first 2 shown]
	v_cndmask_b32_e64 v21, 0, -1, vcc_lo
	v_cmp_eq_u32_e32 vcc_lo, s57, v11
	s_delay_alu instid0(VALU_DEP_2) | instskip(SKIP_3) | instid1(VALU_DEP_3)
	v_cndmask_b32_e64 v7, v21, v7, s0
	v_cndmask_b32_e32 v11, v18, v15, vcc_lo
	v_add_co_u32 v15, vcc_lo, v2, 1
	v_add_co_ci_u32_e32 v18, vcc_lo, 0, v10, vcc_lo
	v_cmp_ne_u32_e32 vcc_lo, 0, v11
	s_delay_alu instid0(VALU_DEP_2) | instskip(SKIP_2) | instid1(VALU_DEP_3)
	v_dual_cndmask_b32 v8, v18, v17 :: v_dual_cndmask_b32 v11, v15, v12
	v_cmp_ne_u32_e32 vcc_lo, 0, v7
	v_xor_b32_e32 v12, s54, v13
	v_cndmask_b32_e32 v7, v10, v8, vcc_lo
	s_delay_alu instid0(VALU_DEP_4) | instskip(NEXT) | instid1(VALU_DEP_2)
	v_cndmask_b32_e32 v2, v2, v11, vcc_lo
	v_xor_b32_e32 v8, v7, v12
	s_delay_alu instid0(VALU_DEP_2) | instskip(NEXT) | instid1(VALU_DEP_1)
	v_xor_b32_e32 v2, v2, v12
	v_sub_co_u32 v7, vcc_lo, v2, v12
	s_delay_alu instid0(VALU_DEP_3)
	v_sub_co_ci_u32_e32 v8, vcc_lo, v8, v12, vcc_lo
.LBB59_29:                              ;   in Loop: Header=BB59_3 Depth=1
	s_and_not1_saveexec_b32 s0, s53
	s_cbranch_execz .LBB59_31
; %bb.30:                               ;   in Loop: Header=BB59_3 Depth=1
	v_cvt_f32_u32_e32 v2, s38
	s_sub_i32 s53, 0, s38
	s_delay_alu instid0(VALU_DEP_1) | instskip(SKIP_2) | instid1(VALU_DEP_1)
	v_rcp_iflag_f32_e32 v2, v2
	s_waitcnt_depctr 0xfff
	v_mul_f32_e32 v2, 0x4f7ffffe, v2
	v_cvt_u32_f32_e32 v2, v2
	s_delay_alu instid0(VALU_DEP_1) | instskip(NEXT) | instid1(VALU_DEP_1)
	v_mul_lo_u32 v7, s53, v2
	v_mul_hi_u32 v7, v2, v7
	s_delay_alu instid0(VALU_DEP_1) | instskip(NEXT) | instid1(VALU_DEP_1)
	v_add_nc_u32_e32 v2, v2, v7
	v_mul_hi_u32 v2, v3, v2
	s_delay_alu instid0(VALU_DEP_1) | instskip(SKIP_1) | instid1(VALU_DEP_2)
	v_mul_lo_u32 v7, v2, s38
	v_add_nc_u32_e32 v8, 1, v2
	v_sub_nc_u32_e32 v7, v3, v7
	s_delay_alu instid0(VALU_DEP_1) | instskip(SKIP_1) | instid1(VALU_DEP_2)
	v_subrev_nc_u32_e32 v10, s38, v7
	v_cmp_le_u32_e32 vcc_lo, s38, v7
	v_dual_cndmask_b32 v7, v7, v10 :: v_dual_cndmask_b32 v2, v2, v8
	s_delay_alu instid0(VALU_DEP_1) | instskip(NEXT) | instid1(VALU_DEP_2)
	v_cmp_le_u32_e32 vcc_lo, s38, v7
	v_add_nc_u32_e32 v8, 1, v2
	s_delay_alu instid0(VALU_DEP_1)
	v_dual_cndmask_b32 v7, v2, v8 :: v_dual_mov_b32 v8, v1
.LBB59_31:                              ;   in Loop: Header=BB59_3 Depth=1
	s_or_b32 exec_lo, exec_lo, s0
	s_delay_alu instid0(VALU_DEP_1) | instskip(NEXT) | instid1(VALU_DEP_2)
	v_mad_u64_u32 v[10:11], null, s58, v7, v[3:4]
	v_mul_lo_u32 v2, s58, v8
	v_mul_lo_u32 v12, s59, v7
	;; [unrolled: 1-line block ×4, first 2 shown]
	s_mov_b32 s0, exec_lo
	v_mul_lo_u32 v18, v10, s19
	s_delay_alu instid0(VALU_DEP_4) | instskip(SKIP_2) | instid1(VALU_DEP_3)
	v_add3_u32 v2, v12, v11, v2
	v_mad_u64_u32 v[11:12], null, v7, s16, 0
	v_mad_u64_u32 v[7:8], null, v10, s18, 0
	v_mul_lo_u32 v2, v2, s18
	s_delay_alu instid0(VALU_DEP_3) | instskip(NEXT) | instid1(VALU_DEP_2)
	v_add3_u32 v12, v12, v17, v15
	v_add3_u32 v8, v8, v18, v2
	s_delay_alu instid0(VALU_DEP_2) | instskip(NEXT) | instid1(VALU_DEP_2)
	v_lshlrev_b64 v[10:11], 1, v[11:12]
	v_lshlrev_b64 v[7:8], 1, v[7:8]
	s_delay_alu instid0(VALU_DEP_2) | instskip(NEXT) | instid1(VALU_DEP_3)
	v_add_co_u32 v2, vcc_lo, s36, v10
	v_add_co_ci_u32_e32 v10, vcc_lo, s37, v11, vcc_lo
                                        ; implicit-def: $vgpr11_vgpr12
	s_delay_alu instid0(VALU_DEP_2) | instskip(NEXT) | instid1(VALU_DEP_2)
	v_add_co_u32 v7, vcc_lo, v2, v7
	v_add_co_ci_u32_e32 v8, vcc_lo, v10, v8, vcc_lo
	v_mul_lo_u32 v2, s51, v5
	v_mul_lo_u32 v10, s50, v6
	global_load_u16 v15, v[7:8], off
	v_mad_u64_u32 v[7:8], null, s50, v5, 0
	s_delay_alu instid0(VALU_DEP_1) | instskip(NEXT) | instid1(VALU_DEP_2)
	v_add3_u32 v8, v8, v10, v2
	v_add_co_u32 v22, vcc_lo, v3, v7
	s_delay_alu instid0(VALU_DEP_2) | instskip(NEXT) | instid1(VALU_DEP_1)
	v_add_co_ci_u32_e32 v23, vcc_lo, v4, v8, vcc_lo
	v_or_b32_e32 v2, s29, v23
	v_ashrrev_i32_e32 v21, 31, v23
	s_delay_alu instid0(VALU_DEP_2)
	v_cmpx_ne_u64_e32 0, v[1:2]
	s_xor_b32 s53, exec_lo, s0
	s_cbranch_execz .LBB59_33
; %bb.32:                               ;   in Loop: Header=BB59_3 Depth=1
	s_ashr_i32 s54, s29, 31
	s_delay_alu instid0(SALU_CYCLE_1) | instskip(SKIP_2) | instid1(SALU_CYCLE_1)
	s_add_u32 s56, s28, s54
	s_mov_b32 s55, s54
	s_addc_u32 s57, s29, s54
	s_xor_b64 s[56:57], s[56:57], s[54:55]
	s_delay_alu instid0(SALU_CYCLE_1) | instskip(SKIP_3) | instid1(VALU_DEP_1)
	v_cvt_f32_u32_e32 v2, s56
	v_cvt_f32_u32_e32 v10, s57
	s_sub_u32 s0, 0, s56
	s_subb_u32 s55, 0, s57
	v_fmac_f32_e32 v2, 0x4f800000, v10
	s_delay_alu instid0(VALU_DEP_1) | instskip(SKIP_2) | instid1(VALU_DEP_1)
	v_rcp_f32_e32 v2, v2
	s_waitcnt_depctr 0xfff
	v_mul_f32_e32 v2, 0x5f7ffffc, v2
	v_mul_f32_e32 v10, 0x2f800000, v2
	s_delay_alu instid0(VALU_DEP_1) | instskip(NEXT) | instid1(VALU_DEP_1)
	v_trunc_f32_e32 v10, v10
	v_fmac_f32_e32 v2, 0xcf800000, v10
	v_cvt_u32_f32_e32 v10, v10
	s_delay_alu instid0(VALU_DEP_2) | instskip(NEXT) | instid1(VALU_DEP_2)
	v_cvt_u32_f32_e32 v2, v2
	v_mul_lo_u32 v11, s0, v10
	s_delay_alu instid0(VALU_DEP_2) | instskip(SKIP_1) | instid1(VALU_DEP_2)
	v_mul_hi_u32 v12, s0, v2
	v_mul_lo_u32 v17, s55, v2
	v_add_nc_u32_e32 v11, v12, v11
	v_mul_lo_u32 v12, s0, v2
	s_delay_alu instid0(VALU_DEP_2) | instskip(NEXT) | instid1(VALU_DEP_2)
	v_add_nc_u32_e32 v11, v11, v17
	v_mul_hi_u32 v17, v2, v12
	s_delay_alu instid0(VALU_DEP_2)
	v_mul_lo_u32 v18, v2, v11
	v_mul_hi_u32 v24, v2, v11
	v_mul_hi_u32 v25, v10, v12
	v_mul_lo_u32 v12, v10, v12
	v_mul_hi_u32 v26, v10, v11
	v_mul_lo_u32 v11, v10, v11
	v_add_co_u32 v17, vcc_lo, v17, v18
	v_add_co_ci_u32_e32 v18, vcc_lo, 0, v24, vcc_lo
	s_delay_alu instid0(VALU_DEP_2) | instskip(NEXT) | instid1(VALU_DEP_2)
	v_add_co_u32 v12, vcc_lo, v17, v12
	v_add_co_ci_u32_e32 v12, vcc_lo, v18, v25, vcc_lo
	v_add_co_ci_u32_e32 v17, vcc_lo, 0, v26, vcc_lo
	s_delay_alu instid0(VALU_DEP_2) | instskip(NEXT) | instid1(VALU_DEP_2)
	v_add_co_u32 v11, vcc_lo, v12, v11
	v_add_co_ci_u32_e32 v12, vcc_lo, 0, v17, vcc_lo
	s_delay_alu instid0(VALU_DEP_2) | instskip(NEXT) | instid1(VALU_DEP_2)
	v_add_co_u32 v2, vcc_lo, v2, v11
	v_add_co_ci_u32_e32 v10, vcc_lo, v10, v12, vcc_lo
	s_delay_alu instid0(VALU_DEP_2) | instskip(SKIP_1) | instid1(VALU_DEP_3)
	v_mul_hi_u32 v11, s0, v2
	v_mul_lo_u32 v17, s55, v2
	v_mul_lo_u32 v12, s0, v10
	s_delay_alu instid0(VALU_DEP_1) | instskip(SKIP_1) | instid1(VALU_DEP_2)
	v_add_nc_u32_e32 v11, v11, v12
	v_mul_lo_u32 v12, s0, v2
	v_add_nc_u32_e32 v11, v11, v17
	s_delay_alu instid0(VALU_DEP_2) | instskip(NEXT) | instid1(VALU_DEP_2)
	v_mul_hi_u32 v17, v2, v12
	v_mul_lo_u32 v18, v2, v11
	v_mul_hi_u32 v24, v2, v11
	v_mul_hi_u32 v25, v10, v12
	v_mul_lo_u32 v12, v10, v12
	v_mul_hi_u32 v26, v10, v11
	v_mul_lo_u32 v11, v10, v11
	v_add_co_u32 v17, vcc_lo, v17, v18
	v_add_co_ci_u32_e32 v18, vcc_lo, 0, v24, vcc_lo
	s_delay_alu instid0(VALU_DEP_2) | instskip(NEXT) | instid1(VALU_DEP_2)
	v_add_co_u32 v12, vcc_lo, v17, v12
	v_add_co_ci_u32_e32 v12, vcc_lo, v18, v25, vcc_lo
	v_add_co_ci_u32_e32 v17, vcc_lo, 0, v26, vcc_lo
	v_add_co_u32 v18, vcc_lo, v22, v21
	v_add_co_ci_u32_e32 v24, vcc_lo, v23, v21, vcc_lo
	s_delay_alu instid0(VALU_DEP_4) | instskip(NEXT) | instid1(VALU_DEP_4)
	v_add_co_u32 v11, vcc_lo, v12, v11
	v_add_co_ci_u32_e32 v12, vcc_lo, 0, v17, vcc_lo
	s_delay_alu instid0(VALU_DEP_4) | instskip(NEXT) | instid1(VALU_DEP_3)
	v_xor_b32_e32 v26, v18, v21
	v_add_co_u32 v2, vcc_lo, v2, v11
	s_delay_alu instid0(VALU_DEP_3) | instskip(SKIP_1) | instid1(VALU_DEP_3)
	v_add_co_ci_u32_e32 v12, vcc_lo, v10, v12, vcc_lo
	v_xor_b32_e32 v27, v24, v21
	v_mul_hi_u32 v28, v26, v2
	s_delay_alu instid0(VALU_DEP_3) | instskip(NEXT) | instid1(VALU_DEP_3)
	v_mad_u64_u32 v[10:11], null, v26, v12, 0
	v_mad_u64_u32 v[17:18], null, v27, v2, 0
	;; [unrolled: 1-line block ×3, first 2 shown]
	s_delay_alu instid0(VALU_DEP_3) | instskip(NEXT) | instid1(VALU_DEP_4)
	v_add_co_u32 v2, vcc_lo, v28, v10
	v_add_co_ci_u32_e32 v10, vcc_lo, 0, v11, vcc_lo
	s_delay_alu instid0(VALU_DEP_2) | instskip(NEXT) | instid1(VALU_DEP_2)
	v_add_co_u32 v2, vcc_lo, v2, v17
	v_add_co_ci_u32_e32 v2, vcc_lo, v10, v18, vcc_lo
	v_add_co_ci_u32_e32 v10, vcc_lo, 0, v25, vcc_lo
	s_delay_alu instid0(VALU_DEP_2) | instskip(NEXT) | instid1(VALU_DEP_2)
	v_add_co_u32 v2, vcc_lo, v2, v24
	v_add_co_ci_u32_e32 v12, vcc_lo, 0, v10, vcc_lo
	s_delay_alu instid0(VALU_DEP_2) | instskip(SKIP_1) | instid1(VALU_DEP_3)
	v_mul_lo_u32 v17, s57, v2
	v_mad_u64_u32 v[10:11], null, s56, v2, 0
	v_mul_lo_u32 v18, s56, v12
	s_delay_alu instid0(VALU_DEP_2) | instskip(NEXT) | instid1(VALU_DEP_2)
	v_sub_co_u32 v10, vcc_lo, v26, v10
	v_add3_u32 v11, v11, v18, v17
	s_delay_alu instid0(VALU_DEP_1) | instskip(NEXT) | instid1(VALU_DEP_1)
	v_sub_nc_u32_e32 v17, v27, v11
	v_subrev_co_ci_u32_e64 v17, s0, s57, v17, vcc_lo
	v_add_co_u32 v18, s0, v2, 2
	s_delay_alu instid0(VALU_DEP_1) | instskip(SKIP_3) | instid1(VALU_DEP_3)
	v_add_co_ci_u32_e64 v24, s0, 0, v12, s0
	v_sub_co_u32 v25, s0, v10, s56
	v_sub_co_ci_u32_e32 v11, vcc_lo, v27, v11, vcc_lo
	v_subrev_co_ci_u32_e64 v17, s0, 0, v17, s0
	v_cmp_le_u32_e32 vcc_lo, s56, v25
	s_delay_alu instid0(VALU_DEP_3) | instskip(SKIP_1) | instid1(VALU_DEP_4)
	v_cmp_eq_u32_e64 s0, s57, v11
	v_cndmask_b32_e64 v25, 0, -1, vcc_lo
	v_cmp_le_u32_e32 vcc_lo, s57, v17
	v_cndmask_b32_e64 v26, 0, -1, vcc_lo
	v_cmp_le_u32_e32 vcc_lo, s56, v10
	;; [unrolled: 2-line block ×3, first 2 shown]
	v_cndmask_b32_e64 v27, 0, -1, vcc_lo
	v_cmp_eq_u32_e32 vcc_lo, s57, v17
	s_delay_alu instid0(VALU_DEP_2) | instskip(SKIP_3) | instid1(VALU_DEP_3)
	v_cndmask_b32_e64 v10, v27, v10, s0
	v_cndmask_b32_e32 v17, v26, v25, vcc_lo
	v_add_co_u32 v25, vcc_lo, v2, 1
	v_add_co_ci_u32_e32 v26, vcc_lo, 0, v12, vcc_lo
	v_cmp_ne_u32_e32 vcc_lo, 0, v17
	s_delay_alu instid0(VALU_DEP_2) | instskip(NEXT) | instid1(VALU_DEP_4)
	v_cndmask_b32_e32 v11, v26, v24, vcc_lo
	v_cndmask_b32_e32 v17, v25, v18, vcc_lo
	v_cmp_ne_u32_e32 vcc_lo, 0, v10
	v_xor_b32_e32 v10, s54, v21
	s_delay_alu instid0(VALU_DEP_3) | instskip(NEXT) | instid1(VALU_DEP_1)
	v_dual_cndmask_b32 v11, v12, v11 :: v_dual_cndmask_b32 v2, v2, v17
	v_xor_b32_e32 v12, v11, v10
	s_delay_alu instid0(VALU_DEP_2) | instskip(NEXT) | instid1(VALU_DEP_1)
	v_xor_b32_e32 v2, v2, v10
	v_sub_co_u32 v11, vcc_lo, v2, v10
	s_delay_alu instid0(VALU_DEP_3)
	v_sub_co_ci_u32_e32 v12, vcc_lo, v12, v10, vcc_lo
.LBB59_33:                              ;   in Loop: Header=BB59_3 Depth=1
	s_or_saveexec_b32 s0, s53
	v_cvt_f32_u32_e32 v29, s28
	s_xor_b32 exec_lo, exec_lo, s0
	s_cbranch_execz .LBB59_35
; %bb.34:                               ;   in Loop: Header=BB59_3 Depth=1
	s_delay_alu instid0(VALU_DEP_1) | instskip(SKIP_3) | instid1(VALU_DEP_1)
	v_rcp_iflag_f32_e32 v2, v29
	s_sub_i32 s53, 0, s28
	s_waitcnt_depctr 0xfff
	v_mul_f32_e32 v2, 0x4f7ffffe, v2
	v_cvt_u32_f32_e32 v2, v2
	s_delay_alu instid0(VALU_DEP_1) | instskip(NEXT) | instid1(VALU_DEP_1)
	v_mul_lo_u32 v10, s53, v2
	v_mul_hi_u32 v10, v2, v10
	s_delay_alu instid0(VALU_DEP_1) | instskip(NEXT) | instid1(VALU_DEP_1)
	v_add_nc_u32_e32 v2, v2, v10
	v_mul_hi_u32 v2, v22, v2
	s_delay_alu instid0(VALU_DEP_1) | instskip(NEXT) | instid1(VALU_DEP_1)
	v_mul_lo_u32 v10, v2, s28
	v_sub_nc_u32_e32 v10, v22, v10
	s_delay_alu instid0(VALU_DEP_1) | instskip(SKIP_1) | instid1(VALU_DEP_2)
	v_subrev_nc_u32_e32 v12, s28, v10
	v_cmp_le_u32_e32 vcc_lo, s28, v10
	v_dual_cndmask_b32 v10, v10, v12 :: v_dual_add_nc_u32 v11, 1, v2
	s_delay_alu instid0(VALU_DEP_1) | instskip(SKIP_1) | instid1(VALU_DEP_3)
	v_cndmask_b32_e32 v2, v2, v11, vcc_lo
	v_mov_b32_e32 v12, v1
	v_cmp_le_u32_e32 vcc_lo, s28, v10
	s_delay_alu instid0(VALU_DEP_3) | instskip(NEXT) | instid1(VALU_DEP_1)
	v_add_nc_u32_e32 v11, 1, v2
	v_cndmask_b32_e32 v11, v2, v11, vcc_lo
.LBB59_35:                              ;   in Loop: Header=BB59_3 Depth=1
	s_or_b32 exec_lo, exec_lo, s0
	s_waitcnt vmcnt(4)
	v_cvt_f32_f16_e32 v26, v14
	v_mul_lo_u32 v2, v12, s28
	v_mul_lo_u32 v10, v11, s29
	v_mad_u64_u32 v[24:25], null, v11, s28, 0
	s_waitcnt vmcnt(0)
	v_cvt_f32_f16_e32 v30, v15
	v_cvt_f32_f16_e32 v17, v16
	v_sub_f32_e32 v28, 1.0, v26
	v_fma_mix_f32 v18, -v19, v19, s62 op_sel_hi:[1,1,0]
	v_cvt_f32_f16_e32 v9, v9
	v_mul_lo_u32 v34, v12, s8
	v_sub_f32_e32 v31, 1.0, v17
	v_add3_u32 v2, v25, v10, v2
	v_mul_f32_e32 v10, v28, v30
	v_sub_co_u32 v24, vcc_lo, v7, v24
	v_mul_lo_u32 v35, v11, s9
	s_delay_alu instid0(VALU_DEP_4) | instskip(NEXT) | instid1(VALU_DEP_4)
	v_sub_co_ci_u32_e32 v2, vcc_lo, v8, v2, vcc_lo
	v_mul_f32_e32 v18, v18, v10
	s_delay_alu instid0(VALU_DEP_4) | instskip(NEXT) | instid1(VALU_DEP_3)
	v_add_co_u32 v27, vcc_lo, v3, v24
	v_add_co_ci_u32_e32 v2, vcc_lo, v4, v2, vcc_lo
	s_delay_alu instid0(VALU_DEP_3)
	v_mul_f32_e32 v32, v18, v9
	v_lshlrev_b64 v[9:10], 1, v[5:6]
	v_alignbit_b32 v5, v6, v5, 31
	v_mad_u64_u32 v[24:25], null, v11, s8, 0
	v_mul_lo_u32 v2, v2, s10
	v_mul_lo_u32 v33, v27, s11
	v_mad_u64_u32 v[11:12], null, v27, s10, 0
	v_mul_f32_e32 v27, v31, v32
	v_mul_lo_u32 v36, s4, v5
	v_mul_lo_u32 v37, s5, v9
	v_mad_u64_u32 v[5:6], null, s4, v9, s[4:5]
	v_add3_u32 v25, v25, v35, v34
	v_add3_u32 v12, v12, v33, v2
	v_fma_mixlo_f16 v27, v27, v16, 0 op_sel_hi:[0,1,0]
	s_mov_b32 s0, exec_lo
	s_delay_alu instid0(VALU_DEP_3) | instskip(SKIP_3) | instid1(VALU_DEP_3)
	v_lshlrev_b64 v[31:32], 1, v[24:25]
	v_add3_u32 v6, v37, v6, v36
	v_add_co_u32 v24, vcc_lo, v3, v5
	v_lshlrev_b64 v[11:12], 1, v[11:12]
	v_add_co_ci_u32_e32 v25, vcc_lo, v4, v6, vcc_lo
	v_add_co_u32 v16, vcc_lo, s2, v31
	v_add_co_ci_u32_e32 v31, vcc_lo, s3, v32, vcc_lo
	s_delay_alu instid0(VALU_DEP_3) | instskip(NEXT) | instid1(VALU_DEP_3)
	v_or_b32_e32 v2, s29, v25
	v_add_co_u32 v11, vcc_lo, v16, v11
	s_delay_alu instid0(VALU_DEP_3)
	v_add_co_ci_u32_e32 v12, vcc_lo, v31, v12, vcc_lo
	v_ashrrev_i32_e32 v16, 31, v25
	global_store_b16 v[11:12], v27, off
                                        ; implicit-def: $vgpr11_vgpr12
	v_cmpx_ne_u64_e32 0, v[1:2]
	s_xor_b32 s53, exec_lo, s0
	s_cbranch_execz .LBB59_37
; %bb.36:                               ;   in Loop: Header=BB59_3 Depth=1
	s_ashr_i32 s54, s29, 31
	s_delay_alu instid0(SALU_CYCLE_1) | instskip(SKIP_2) | instid1(SALU_CYCLE_1)
	s_add_u32 s56, s28, s54
	s_mov_b32 s55, s54
	s_addc_u32 s57, s29, s54
	s_xor_b64 s[56:57], s[56:57], s[54:55]
	s_delay_alu instid0(SALU_CYCLE_1) | instskip(SKIP_3) | instid1(VALU_DEP_1)
	v_cvt_f32_u32_e32 v2, s56
	v_cvt_f32_u32_e32 v11, s57
	s_sub_u32 s0, 0, s56
	s_subb_u32 s55, 0, s57
	v_fmac_f32_e32 v2, 0x4f800000, v11
	s_delay_alu instid0(VALU_DEP_1) | instskip(SKIP_2) | instid1(VALU_DEP_1)
	v_rcp_f32_e32 v2, v2
	s_waitcnt_depctr 0xfff
	v_mul_f32_e32 v2, 0x5f7ffffc, v2
	v_mul_f32_e32 v11, 0x2f800000, v2
	s_delay_alu instid0(VALU_DEP_1) | instskip(NEXT) | instid1(VALU_DEP_1)
	v_trunc_f32_e32 v11, v11
	v_fmac_f32_e32 v2, 0xcf800000, v11
	v_cvt_u32_f32_e32 v11, v11
	s_delay_alu instid0(VALU_DEP_2) | instskip(NEXT) | instid1(VALU_DEP_2)
	v_cvt_u32_f32_e32 v2, v2
	v_mul_lo_u32 v12, s0, v11
	s_delay_alu instid0(VALU_DEP_2) | instskip(SKIP_1) | instid1(VALU_DEP_2)
	v_mul_hi_u32 v31, s0, v2
	v_mul_lo_u32 v32, s55, v2
	v_add_nc_u32_e32 v12, v31, v12
	v_mul_lo_u32 v31, s0, v2
	s_delay_alu instid0(VALU_DEP_2) | instskip(NEXT) | instid1(VALU_DEP_2)
	v_add_nc_u32_e32 v12, v12, v32
	v_mul_hi_u32 v32, v2, v31
	s_delay_alu instid0(VALU_DEP_2)
	v_mul_lo_u32 v33, v2, v12
	v_mul_hi_u32 v34, v2, v12
	v_mul_hi_u32 v35, v11, v31
	v_mul_lo_u32 v31, v11, v31
	v_mul_hi_u32 v36, v11, v12
	v_mul_lo_u32 v12, v11, v12
	v_add_co_u32 v32, vcc_lo, v32, v33
	v_add_co_ci_u32_e32 v33, vcc_lo, 0, v34, vcc_lo
	s_delay_alu instid0(VALU_DEP_2) | instskip(NEXT) | instid1(VALU_DEP_2)
	v_add_co_u32 v31, vcc_lo, v32, v31
	v_add_co_ci_u32_e32 v31, vcc_lo, v33, v35, vcc_lo
	v_add_co_ci_u32_e32 v32, vcc_lo, 0, v36, vcc_lo
	s_delay_alu instid0(VALU_DEP_2) | instskip(NEXT) | instid1(VALU_DEP_2)
	v_add_co_u32 v12, vcc_lo, v31, v12
	v_add_co_ci_u32_e32 v31, vcc_lo, 0, v32, vcc_lo
	s_delay_alu instid0(VALU_DEP_2) | instskip(NEXT) | instid1(VALU_DEP_2)
	v_add_co_u32 v2, vcc_lo, v2, v12
	v_add_co_ci_u32_e32 v11, vcc_lo, v11, v31, vcc_lo
	s_delay_alu instid0(VALU_DEP_2) | instskip(SKIP_1) | instid1(VALU_DEP_3)
	v_mul_hi_u32 v12, s0, v2
	v_mul_lo_u32 v32, s55, v2
	v_mul_lo_u32 v31, s0, v11
	s_delay_alu instid0(VALU_DEP_1) | instskip(SKIP_1) | instid1(VALU_DEP_2)
	v_add_nc_u32_e32 v12, v12, v31
	v_mul_lo_u32 v31, s0, v2
	v_add_nc_u32_e32 v12, v12, v32
	s_delay_alu instid0(VALU_DEP_2) | instskip(NEXT) | instid1(VALU_DEP_2)
	v_mul_hi_u32 v32, v2, v31
	v_mul_lo_u32 v33, v2, v12
	v_mul_hi_u32 v34, v2, v12
	v_mul_hi_u32 v35, v11, v31
	v_mul_lo_u32 v31, v11, v31
	v_mul_hi_u32 v36, v11, v12
	v_mul_lo_u32 v12, v11, v12
	v_add_co_u32 v32, vcc_lo, v32, v33
	v_add_co_ci_u32_e32 v33, vcc_lo, 0, v34, vcc_lo
	s_delay_alu instid0(VALU_DEP_2) | instskip(NEXT) | instid1(VALU_DEP_2)
	v_add_co_u32 v31, vcc_lo, v32, v31
	v_add_co_ci_u32_e32 v31, vcc_lo, v33, v35, vcc_lo
	v_add_co_ci_u32_e32 v32, vcc_lo, 0, v36, vcc_lo
	v_add_co_u32 v33, vcc_lo, v24, v16
	v_add_co_ci_u32_e32 v34, vcc_lo, v25, v16, vcc_lo
	s_delay_alu instid0(VALU_DEP_4) | instskip(NEXT) | instid1(VALU_DEP_4)
	v_add_co_u32 v12, vcc_lo, v31, v12
	v_add_co_ci_u32_e32 v31, vcc_lo, 0, v32, vcc_lo
	s_delay_alu instid0(VALU_DEP_4) | instskip(NEXT) | instid1(VALU_DEP_3)
	v_xor_b32_e32 v35, v33, v16
	v_add_co_u32 v2, vcc_lo, v2, v12
	s_delay_alu instid0(VALU_DEP_3) | instskip(SKIP_1) | instid1(VALU_DEP_3)
	v_add_co_ci_u32_e32 v36, vcc_lo, v11, v31, vcc_lo
	v_xor_b32_e32 v37, v34, v16
	v_mul_hi_u32 v38, v35, v2
	s_delay_alu instid0(VALU_DEP_3) | instskip(NEXT) | instid1(VALU_DEP_3)
	v_mad_u64_u32 v[11:12], null, v35, v36, 0
	v_mad_u64_u32 v[31:32], null, v37, v2, 0
	;; [unrolled: 1-line block ×3, first 2 shown]
	s_delay_alu instid0(VALU_DEP_3) | instskip(NEXT) | instid1(VALU_DEP_4)
	v_add_co_u32 v2, vcc_lo, v38, v11
	v_add_co_ci_u32_e32 v11, vcc_lo, 0, v12, vcc_lo
	s_delay_alu instid0(VALU_DEP_2) | instskip(NEXT) | instid1(VALU_DEP_2)
	v_add_co_u32 v2, vcc_lo, v2, v31
	v_add_co_ci_u32_e32 v2, vcc_lo, v11, v32, vcc_lo
	v_add_co_ci_u32_e32 v11, vcc_lo, 0, v34, vcc_lo
	s_delay_alu instid0(VALU_DEP_2) | instskip(NEXT) | instid1(VALU_DEP_2)
	v_add_co_u32 v2, vcc_lo, v2, v33
	v_add_co_ci_u32_e32 v31, vcc_lo, 0, v11, vcc_lo
	s_delay_alu instid0(VALU_DEP_2) | instskip(SKIP_1) | instid1(VALU_DEP_3)
	v_mul_lo_u32 v32, s57, v2
	v_mad_u64_u32 v[11:12], null, s56, v2, 0
	v_mul_lo_u32 v33, s56, v31
	s_delay_alu instid0(VALU_DEP_2) | instskip(NEXT) | instid1(VALU_DEP_2)
	v_sub_co_u32 v11, vcc_lo, v35, v11
	v_add3_u32 v12, v12, v33, v32
	s_delay_alu instid0(VALU_DEP_1) | instskip(NEXT) | instid1(VALU_DEP_1)
	v_sub_nc_u32_e32 v32, v37, v12
	v_subrev_co_ci_u32_e64 v32, s0, s57, v32, vcc_lo
	v_add_co_u32 v33, s0, v2, 2
	s_delay_alu instid0(VALU_DEP_1) | instskip(SKIP_3) | instid1(VALU_DEP_3)
	v_add_co_ci_u32_e64 v34, s0, 0, v31, s0
	v_sub_co_u32 v35, s0, v11, s56
	v_sub_co_ci_u32_e32 v12, vcc_lo, v37, v12, vcc_lo
	v_subrev_co_ci_u32_e64 v32, s0, 0, v32, s0
	v_cmp_le_u32_e32 vcc_lo, s56, v35
	s_delay_alu instid0(VALU_DEP_3) | instskip(SKIP_1) | instid1(VALU_DEP_4)
	v_cmp_eq_u32_e64 s0, s57, v12
	v_cndmask_b32_e64 v35, 0, -1, vcc_lo
	v_cmp_le_u32_e32 vcc_lo, s57, v32
	v_cndmask_b32_e64 v36, 0, -1, vcc_lo
	v_cmp_le_u32_e32 vcc_lo, s56, v11
	;; [unrolled: 2-line block ×3, first 2 shown]
	v_cndmask_b32_e64 v37, 0, -1, vcc_lo
	v_cmp_eq_u32_e32 vcc_lo, s57, v32
	s_delay_alu instid0(VALU_DEP_2) | instskip(SKIP_3) | instid1(VALU_DEP_3)
	v_cndmask_b32_e64 v11, v37, v11, s0
	v_cndmask_b32_e32 v32, v36, v35, vcc_lo
	v_add_co_u32 v35, vcc_lo, v2, 1
	v_add_co_ci_u32_e32 v36, vcc_lo, 0, v31, vcc_lo
	v_cmp_ne_u32_e32 vcc_lo, 0, v32
	s_delay_alu instid0(VALU_DEP_2) | instskip(NEXT) | instid1(VALU_DEP_4)
	v_cndmask_b32_e32 v12, v36, v34, vcc_lo
	v_cndmask_b32_e32 v32, v35, v33, vcc_lo
	v_cmp_ne_u32_e32 vcc_lo, 0, v11
	v_xor_b32_e32 v33, s54, v16
	s_delay_alu instid0(VALU_DEP_3) | instskip(SKIP_1) | instid1(VALU_DEP_2)
	v_cndmask_b32_e32 v2, v2, v32, vcc_lo
	v_cndmask_b32_e32 v11, v31, v12, vcc_lo
	v_xor_b32_e32 v2, v2, v33
	s_delay_alu instid0(VALU_DEP_2) | instskip(NEXT) | instid1(VALU_DEP_2)
	v_xor_b32_e32 v12, v11, v33
	v_sub_co_u32 v11, vcc_lo, v2, v33
	s_delay_alu instid0(VALU_DEP_2)
	v_sub_co_ci_u32_e32 v12, vcc_lo, v12, v33, vcc_lo
.LBB59_37:                              ;   in Loop: Header=BB59_3 Depth=1
	s_and_not1_saveexec_b32 s0, s53
	s_cbranch_execz .LBB59_39
; %bb.38:                               ;   in Loop: Header=BB59_3 Depth=1
	v_rcp_iflag_f32_e32 v2, v29
	s_sub_i32 s53, 0, s28
	s_waitcnt_depctr 0xfff
	v_mul_f32_e32 v2, 0x4f7ffffe, v2
	s_delay_alu instid0(VALU_DEP_1) | instskip(NEXT) | instid1(VALU_DEP_1)
	v_cvt_u32_f32_e32 v2, v2
	v_mul_lo_u32 v11, s53, v2
	s_delay_alu instid0(VALU_DEP_1) | instskip(NEXT) | instid1(VALU_DEP_1)
	v_mul_hi_u32 v11, v2, v11
	v_add_nc_u32_e32 v2, v2, v11
	s_delay_alu instid0(VALU_DEP_1) | instskip(NEXT) | instid1(VALU_DEP_1)
	v_mul_hi_u32 v2, v24, v2
	v_mul_lo_u32 v11, v2, s28
	v_add_nc_u32_e32 v12, 1, v2
	s_delay_alu instid0(VALU_DEP_2) | instskip(NEXT) | instid1(VALU_DEP_1)
	v_sub_nc_u32_e32 v11, v24, v11
	v_subrev_nc_u32_e32 v31, s28, v11
	v_cmp_le_u32_e32 vcc_lo, s28, v11
	s_delay_alu instid0(VALU_DEP_2) | instskip(NEXT) | instid1(VALU_DEP_1)
	v_dual_cndmask_b32 v11, v11, v31 :: v_dual_cndmask_b32 v2, v2, v12
	v_cmp_le_u32_e32 vcc_lo, s28, v11
	s_delay_alu instid0(VALU_DEP_2) | instskip(NEXT) | instid1(VALU_DEP_1)
	v_add_nc_u32_e32 v12, 1, v2
	v_dual_cndmask_b32 v11, v2, v12 :: v_dual_mov_b32 v12, v1
.LBB59_39:                              ;   in Loop: Header=BB59_3 Depth=1
	s_or_b32 exec_lo, exec_lo, s0
	s_delay_alu instid0(VALU_DEP_1) | instskip(NEXT) | instid1(VALU_DEP_2)
	v_mul_lo_u32 v2, v12, s28
	v_mul_lo_u32 v33, v11, s29
	v_mad_u64_u32 v[31:32], null, v11, s28, 0
	v_cvt_f32_f16_e32 v19, v19
	v_cvt_f32_f16_e32 v20, v20
	s_mov_b32 s0, exec_lo
	s_delay_alu instid0(VALU_DEP_1) | instskip(NEXT) | instid1(VALU_DEP_4)
	v_sub_f32_e32 v19, v20, v19
	v_add3_u32 v2, v32, v33, v2
	v_sub_co_u32 v31, vcc_lo, v5, v31
	v_mul_lo_u32 v32, v12, s8
	v_mul_lo_u32 v33, v11, s9
	s_delay_alu instid0(VALU_DEP_4) | instskip(NEXT) | instid1(VALU_DEP_4)
	v_sub_co_ci_u32_e32 v2, vcc_lo, v6, v2, vcc_lo
	v_add_co_u32 v31, vcc_lo, v3, v31
	v_mul_f32_e32 v30, v19, v30
	s_delay_alu instid0(VALU_DEP_3)
	v_add_co_ci_u32_e32 v2, vcc_lo, v4, v2, vcc_lo
	v_add_co_u32 v35, vcc_lo, v9, 2
	v_add_co_ci_u32_e32 v9, vcc_lo, 0, v10, vcc_lo
	v_mad_u64_u32 v[19:20], null, v11, s8, 0
	v_mul_lo_u32 v34, v31, s11
	v_mul_lo_u32 v2, v2, s10
	v_mad_u64_u32 v[11:12], null, v31, s10, 0
	v_mul_lo_u32 v36, s5, v35
	v_mul_lo_u32 v37, s4, v9
	v_mad_u64_u32 v[9:10], null, s4, v35, 0
	v_add3_u32 v20, v20, v33, v32
	v_mul_f32_e32 v28, v28, v30
	v_add3_u32 v12, v12, v34, v2
	s_delay_alu instid0(VALU_DEP_3) | instskip(SKIP_4) | instid1(VALU_DEP_4)
	v_lshlrev_b64 v[30:31], 1, v[19:20]
	v_add3_u32 v10, v10, v37, v36
	v_add_co_u32 v20, vcc_lo, v3, v9
	v_fma_mixlo_f16 v28, v28, v26, 0
	v_lshlrev_b64 v[11:12], 1, v[11:12]
	v_add_co_ci_u32_e32 v26, vcc_lo, v4, v10, vcc_lo
	v_add_co_u32 v19, vcc_lo, s2, v30
	v_add_co_ci_u32_e32 v30, vcc_lo, s3, v31, vcc_lo
	s_delay_alu instid0(VALU_DEP_3) | instskip(NEXT) | instid1(VALU_DEP_3)
	v_or_b32_e32 v2, s29, v26
	v_add_co_u32 v11, vcc_lo, v19, v11
	s_delay_alu instid0(VALU_DEP_3)
	v_add_co_ci_u32_e32 v12, vcc_lo, v30, v12, vcc_lo
	v_ashrrev_i32_e32 v19, 31, v26
	global_store_b16 v[11:12], v28, off
                                        ; implicit-def: $vgpr11_vgpr12
	v_cmpx_ne_u64_e32 0, v[1:2]
	s_xor_b32 s53, exec_lo, s0
	s_cbranch_execz .LBB59_41
; %bb.40:                               ;   in Loop: Header=BB59_3 Depth=1
	s_ashr_i32 s54, s29, 31
	s_delay_alu instid0(SALU_CYCLE_1) | instskip(SKIP_2) | instid1(SALU_CYCLE_1)
	s_add_u32 s56, s28, s54
	s_mov_b32 s55, s54
	s_addc_u32 s57, s29, s54
	s_xor_b64 s[56:57], s[56:57], s[54:55]
	s_delay_alu instid0(SALU_CYCLE_1) | instskip(SKIP_3) | instid1(VALU_DEP_1)
	v_cvt_f32_u32_e32 v2, s56
	v_cvt_f32_u32_e32 v11, s57
	s_sub_u32 s0, 0, s56
	s_subb_u32 s55, 0, s57
	v_fmac_f32_e32 v2, 0x4f800000, v11
	s_delay_alu instid0(VALU_DEP_1) | instskip(SKIP_2) | instid1(VALU_DEP_1)
	v_rcp_f32_e32 v2, v2
	s_waitcnt_depctr 0xfff
	v_mul_f32_e32 v2, 0x5f7ffffc, v2
	v_mul_f32_e32 v11, 0x2f800000, v2
	s_delay_alu instid0(VALU_DEP_1) | instskip(NEXT) | instid1(VALU_DEP_1)
	v_trunc_f32_e32 v11, v11
	v_fmac_f32_e32 v2, 0xcf800000, v11
	v_cvt_u32_f32_e32 v11, v11
	s_delay_alu instid0(VALU_DEP_2) | instskip(NEXT) | instid1(VALU_DEP_2)
	v_cvt_u32_f32_e32 v2, v2
	v_mul_lo_u32 v12, s0, v11
	s_delay_alu instid0(VALU_DEP_2) | instskip(SKIP_1) | instid1(VALU_DEP_2)
	v_mul_hi_u32 v29, s0, v2
	v_mul_lo_u32 v30, s55, v2
	v_add_nc_u32_e32 v12, v29, v12
	v_mul_lo_u32 v29, s0, v2
	s_delay_alu instid0(VALU_DEP_2) | instskip(NEXT) | instid1(VALU_DEP_2)
	v_add_nc_u32_e32 v12, v12, v30
	v_mul_hi_u32 v30, v2, v29
	s_delay_alu instid0(VALU_DEP_2)
	v_mul_lo_u32 v31, v2, v12
	v_mul_hi_u32 v32, v2, v12
	v_mul_hi_u32 v33, v11, v29
	v_mul_lo_u32 v29, v11, v29
	v_mul_hi_u32 v34, v11, v12
	v_mul_lo_u32 v12, v11, v12
	v_add_co_u32 v30, vcc_lo, v30, v31
	v_add_co_ci_u32_e32 v31, vcc_lo, 0, v32, vcc_lo
	s_delay_alu instid0(VALU_DEP_2) | instskip(NEXT) | instid1(VALU_DEP_2)
	v_add_co_u32 v29, vcc_lo, v30, v29
	v_add_co_ci_u32_e32 v29, vcc_lo, v31, v33, vcc_lo
	v_add_co_ci_u32_e32 v30, vcc_lo, 0, v34, vcc_lo
	s_delay_alu instid0(VALU_DEP_2) | instskip(NEXT) | instid1(VALU_DEP_2)
	v_add_co_u32 v12, vcc_lo, v29, v12
	v_add_co_ci_u32_e32 v29, vcc_lo, 0, v30, vcc_lo
	s_delay_alu instid0(VALU_DEP_2) | instskip(NEXT) | instid1(VALU_DEP_2)
	v_add_co_u32 v2, vcc_lo, v2, v12
	v_add_co_ci_u32_e32 v11, vcc_lo, v11, v29, vcc_lo
	s_delay_alu instid0(VALU_DEP_2) | instskip(SKIP_1) | instid1(VALU_DEP_3)
	v_mul_hi_u32 v12, s0, v2
	v_mul_lo_u32 v30, s55, v2
	v_mul_lo_u32 v29, s0, v11
	s_delay_alu instid0(VALU_DEP_1) | instskip(SKIP_1) | instid1(VALU_DEP_2)
	v_add_nc_u32_e32 v12, v12, v29
	v_mul_lo_u32 v29, s0, v2
	v_add_nc_u32_e32 v12, v12, v30
	s_delay_alu instid0(VALU_DEP_2) | instskip(NEXT) | instid1(VALU_DEP_2)
	v_mul_hi_u32 v30, v2, v29
	v_mul_lo_u32 v31, v2, v12
	v_mul_hi_u32 v32, v2, v12
	v_mul_hi_u32 v33, v11, v29
	v_mul_lo_u32 v29, v11, v29
	v_mul_hi_u32 v34, v11, v12
	v_mul_lo_u32 v12, v11, v12
	v_add_co_u32 v30, vcc_lo, v30, v31
	v_add_co_ci_u32_e32 v31, vcc_lo, 0, v32, vcc_lo
	s_delay_alu instid0(VALU_DEP_2) | instskip(NEXT) | instid1(VALU_DEP_2)
	v_add_co_u32 v29, vcc_lo, v30, v29
	v_add_co_ci_u32_e32 v29, vcc_lo, v31, v33, vcc_lo
	v_add_co_ci_u32_e32 v30, vcc_lo, 0, v34, vcc_lo
	v_add_co_u32 v31, vcc_lo, v20, v19
	v_add_co_ci_u32_e32 v32, vcc_lo, v26, v19, vcc_lo
	s_delay_alu instid0(VALU_DEP_4) | instskip(NEXT) | instid1(VALU_DEP_4)
	v_add_co_u32 v12, vcc_lo, v29, v12
	v_add_co_ci_u32_e32 v29, vcc_lo, 0, v30, vcc_lo
	s_delay_alu instid0(VALU_DEP_4) | instskip(NEXT) | instid1(VALU_DEP_3)
	v_xor_b32_e32 v33, v31, v19
	v_add_co_u32 v2, vcc_lo, v2, v12
	s_delay_alu instid0(VALU_DEP_3) | instskip(SKIP_1) | instid1(VALU_DEP_3)
	v_add_co_ci_u32_e32 v34, vcc_lo, v11, v29, vcc_lo
	v_xor_b32_e32 v35, v32, v19
	v_mul_hi_u32 v36, v33, v2
	s_delay_alu instid0(VALU_DEP_3) | instskip(NEXT) | instid1(VALU_DEP_3)
	v_mad_u64_u32 v[11:12], null, v33, v34, 0
	v_mad_u64_u32 v[29:30], null, v35, v2, 0
	;; [unrolled: 1-line block ×3, first 2 shown]
	s_delay_alu instid0(VALU_DEP_3) | instskip(NEXT) | instid1(VALU_DEP_4)
	v_add_co_u32 v2, vcc_lo, v36, v11
	v_add_co_ci_u32_e32 v11, vcc_lo, 0, v12, vcc_lo
	s_delay_alu instid0(VALU_DEP_2) | instskip(NEXT) | instid1(VALU_DEP_2)
	v_add_co_u32 v2, vcc_lo, v2, v29
	v_add_co_ci_u32_e32 v2, vcc_lo, v11, v30, vcc_lo
	v_add_co_ci_u32_e32 v11, vcc_lo, 0, v32, vcc_lo
	s_delay_alu instid0(VALU_DEP_2) | instskip(NEXT) | instid1(VALU_DEP_2)
	v_add_co_u32 v2, vcc_lo, v2, v31
	v_add_co_ci_u32_e32 v29, vcc_lo, 0, v11, vcc_lo
	s_delay_alu instid0(VALU_DEP_2) | instskip(SKIP_1) | instid1(VALU_DEP_3)
	v_mul_lo_u32 v30, s57, v2
	v_mad_u64_u32 v[11:12], null, s56, v2, 0
	v_mul_lo_u32 v31, s56, v29
	s_delay_alu instid0(VALU_DEP_2) | instskip(NEXT) | instid1(VALU_DEP_2)
	v_sub_co_u32 v11, vcc_lo, v33, v11
	v_add3_u32 v12, v12, v31, v30
	s_delay_alu instid0(VALU_DEP_1) | instskip(NEXT) | instid1(VALU_DEP_1)
	v_sub_nc_u32_e32 v30, v35, v12
	v_subrev_co_ci_u32_e64 v30, s0, s57, v30, vcc_lo
	v_add_co_u32 v31, s0, v2, 2
	s_delay_alu instid0(VALU_DEP_1) | instskip(SKIP_3) | instid1(VALU_DEP_3)
	v_add_co_ci_u32_e64 v32, s0, 0, v29, s0
	v_sub_co_u32 v33, s0, v11, s56
	v_sub_co_ci_u32_e32 v12, vcc_lo, v35, v12, vcc_lo
	v_subrev_co_ci_u32_e64 v30, s0, 0, v30, s0
	v_cmp_le_u32_e32 vcc_lo, s56, v33
	s_delay_alu instid0(VALU_DEP_3) | instskip(SKIP_1) | instid1(VALU_DEP_4)
	v_cmp_eq_u32_e64 s0, s57, v12
	v_cndmask_b32_e64 v33, 0, -1, vcc_lo
	v_cmp_le_u32_e32 vcc_lo, s57, v30
	v_cndmask_b32_e64 v34, 0, -1, vcc_lo
	v_cmp_le_u32_e32 vcc_lo, s56, v11
	;; [unrolled: 2-line block ×3, first 2 shown]
	v_cndmask_b32_e64 v35, 0, -1, vcc_lo
	v_cmp_eq_u32_e32 vcc_lo, s57, v30
	s_delay_alu instid0(VALU_DEP_2) | instskip(SKIP_3) | instid1(VALU_DEP_3)
	v_cndmask_b32_e64 v11, v35, v11, s0
	v_cndmask_b32_e32 v30, v34, v33, vcc_lo
	v_add_co_u32 v33, vcc_lo, v2, 1
	v_add_co_ci_u32_e32 v34, vcc_lo, 0, v29, vcc_lo
	v_cmp_ne_u32_e32 vcc_lo, 0, v30
	s_delay_alu instid0(VALU_DEP_2) | instskip(NEXT) | instid1(VALU_DEP_4)
	v_cndmask_b32_e32 v12, v34, v32, vcc_lo
	v_cndmask_b32_e32 v30, v33, v31, vcc_lo
	v_cmp_ne_u32_e32 vcc_lo, 0, v11
	v_xor_b32_e32 v31, s54, v19
	s_delay_alu instid0(VALU_DEP_3) | instskip(NEXT) | instid1(VALU_DEP_1)
	v_dual_cndmask_b32 v2, v2, v30 :: v_dual_cndmask_b32 v11, v29, v12
                                        ; implicit-def: $vgpr29
	v_xor_b32_e32 v2, v2, v31
	s_delay_alu instid0(VALU_DEP_2) | instskip(NEXT) | instid1(VALU_DEP_2)
	v_xor_b32_e32 v12, v11, v31
	v_sub_co_u32 v11, vcc_lo, v2, v31
	s_delay_alu instid0(VALU_DEP_2)
	v_sub_co_ci_u32_e32 v12, vcc_lo, v12, v31, vcc_lo
.LBB59_41:                              ;   in Loop: Header=BB59_3 Depth=1
	s_and_not1_saveexec_b32 s0, s53
	s_cbranch_execz .LBB59_43
; %bb.42:                               ;   in Loop: Header=BB59_3 Depth=1
	v_rcp_iflag_f32_e32 v2, v29
	s_sub_i32 s53, 0, s28
	s_waitcnt_depctr 0xfff
	v_mul_f32_e32 v2, 0x4f7ffffe, v2
	s_delay_alu instid0(VALU_DEP_1) | instskip(NEXT) | instid1(VALU_DEP_1)
	v_cvt_u32_f32_e32 v2, v2
	v_mul_lo_u32 v11, s53, v2
	s_delay_alu instid0(VALU_DEP_1) | instskip(NEXT) | instid1(VALU_DEP_1)
	v_mul_hi_u32 v11, v2, v11
	v_add_nc_u32_e32 v2, v2, v11
	s_delay_alu instid0(VALU_DEP_1) | instskip(NEXT) | instid1(VALU_DEP_1)
	v_mul_hi_u32 v2, v20, v2
	v_mul_lo_u32 v11, v2, s28
	v_add_nc_u32_e32 v12, 1, v2
	s_delay_alu instid0(VALU_DEP_2) | instskip(NEXT) | instid1(VALU_DEP_1)
	v_sub_nc_u32_e32 v11, v20, v11
	v_subrev_nc_u32_e32 v29, s28, v11
	v_cmp_le_u32_e32 vcc_lo, s28, v11
	s_delay_alu instid0(VALU_DEP_2) | instskip(NEXT) | instid1(VALU_DEP_1)
	v_dual_cndmask_b32 v11, v11, v29 :: v_dual_cndmask_b32 v2, v2, v12
	v_cmp_le_u32_e32 vcc_lo, s28, v11
	s_delay_alu instid0(VALU_DEP_2) | instskip(NEXT) | instid1(VALU_DEP_1)
	v_add_nc_u32_e32 v12, 1, v2
	v_dual_cndmask_b32 v11, v2, v12 :: v_dual_mov_b32 v12, v1
.LBB59_43:                              ;   in Loop: Header=BB59_3 Depth=1
	s_or_b32 exec_lo, exec_lo, s0
	s_delay_alu instid0(VALU_DEP_1) | instskip(NEXT) | instid1(VALU_DEP_2)
	v_mul_lo_u32 v2, v12, s28
	v_mul_lo_u32 v31, v11, s29
	v_mad_u64_u32 v[29:30], null, v11, s28, 0
	v_mul_lo_u32 v32, v11, s9
	s_mov_b32 s0, exec_lo
	s_delay_alu instid0(VALU_DEP_2) | instskip(SKIP_1) | instid1(VALU_DEP_4)
	v_add3_u32 v2, v30, v31, v2
	v_mul_lo_u32 v31, v12, s8
	v_sub_co_u32 v12, vcc_lo, v9, v29
	v_mad_u64_u32 v[29:30], null, v11, s8, 0
	s_delay_alu instid0(VALU_DEP_4) | instskip(NEXT) | instid1(VALU_DEP_3)
	v_sub_co_ci_u32_e32 v2, vcc_lo, v10, v2, vcc_lo
	v_add_co_u32 v33, vcc_lo, v3, v12
	s_delay_alu instid0(VALU_DEP_2) | instskip(NEXT) | instid1(VALU_DEP_2)
	v_add_co_ci_u32_e32 v2, vcc_lo, v4, v2, vcc_lo
	v_mul_lo_u32 v34, v33, s11
	v_mad_u64_u32 v[11:12], null, v33, s10, 0
	s_delay_alu instid0(VALU_DEP_3) | instskip(SKIP_2) | instid1(VALU_DEP_2)
	v_mul_lo_u32 v2, v2, s10
	v_add3_u32 v30, v30, v32, v31
	v_cvt_f16_f32_e32 v31, v18
	v_lshlrev_b64 v[29:30], 1, v[29:30]
	s_delay_alu instid0(VALU_DEP_4) | instskip(SKIP_1) | instid1(VALU_DEP_3)
	v_add3_u32 v12, v12, v34, v2
	v_or_b32_e32 v2, s35, v23
	v_add_co_u32 v29, vcc_lo, s2, v29
	s_delay_alu instid0(VALU_DEP_3) | instskip(SKIP_1) | instid1(VALU_DEP_2)
	v_lshlrev_b64 v[11:12], 1, v[11:12]
	v_add_co_ci_u32_e32 v30, vcc_lo, s3, v30, vcc_lo
	v_add_co_u32 v11, vcc_lo, v29, v11
	s_delay_alu instid0(VALU_DEP_2)
	v_add_co_ci_u32_e32 v12, vcc_lo, v30, v12, vcc_lo
	global_store_b16 v[11:12], v31, off
                                        ; implicit-def: $vgpr11_vgpr12
	v_cmpx_ne_u64_e32 0, v[1:2]
	s_xor_b32 s53, exec_lo, s0
	s_cbranch_execz .LBB59_45
; %bb.44:                               ;   in Loop: Header=BB59_3 Depth=1
	s_ashr_i32 s54, s35, 31
	s_delay_alu instid0(SALU_CYCLE_1) | instskip(SKIP_2) | instid1(SALU_CYCLE_1)
	s_add_u32 s56, s34, s54
	s_mov_b32 s55, s54
	s_addc_u32 s57, s35, s54
	s_xor_b64 s[56:57], s[56:57], s[54:55]
	s_delay_alu instid0(SALU_CYCLE_1) | instskip(SKIP_3) | instid1(VALU_DEP_1)
	v_cvt_f32_u32_e32 v2, s56
	v_cvt_f32_u32_e32 v11, s57
	s_sub_u32 s0, 0, s56
	s_subb_u32 s55, 0, s57
	v_fmac_f32_e32 v2, 0x4f800000, v11
	s_delay_alu instid0(VALU_DEP_1) | instskip(SKIP_2) | instid1(VALU_DEP_1)
	v_rcp_f32_e32 v2, v2
	s_waitcnt_depctr 0xfff
	v_mul_f32_e32 v2, 0x5f7ffffc, v2
	v_mul_f32_e32 v11, 0x2f800000, v2
	s_delay_alu instid0(VALU_DEP_1) | instskip(NEXT) | instid1(VALU_DEP_1)
	v_trunc_f32_e32 v11, v11
	v_fmac_f32_e32 v2, 0xcf800000, v11
	v_cvt_u32_f32_e32 v11, v11
	s_delay_alu instid0(VALU_DEP_2) | instskip(NEXT) | instid1(VALU_DEP_2)
	v_cvt_u32_f32_e32 v2, v2
	v_mul_lo_u32 v12, s0, v11
	s_delay_alu instid0(VALU_DEP_2) | instskip(SKIP_1) | instid1(VALU_DEP_2)
	v_mul_hi_u32 v29, s0, v2
	v_mul_lo_u32 v30, s55, v2
	v_add_nc_u32_e32 v12, v29, v12
	v_mul_lo_u32 v29, s0, v2
	s_delay_alu instid0(VALU_DEP_2) | instskip(NEXT) | instid1(VALU_DEP_2)
	v_add_nc_u32_e32 v12, v12, v30
	v_mul_hi_u32 v30, v2, v29
	s_delay_alu instid0(VALU_DEP_2)
	v_mul_lo_u32 v31, v2, v12
	v_mul_hi_u32 v32, v2, v12
	v_mul_hi_u32 v33, v11, v29
	v_mul_lo_u32 v29, v11, v29
	v_mul_hi_u32 v34, v11, v12
	v_mul_lo_u32 v12, v11, v12
	v_add_co_u32 v30, vcc_lo, v30, v31
	v_add_co_ci_u32_e32 v31, vcc_lo, 0, v32, vcc_lo
	s_delay_alu instid0(VALU_DEP_2) | instskip(NEXT) | instid1(VALU_DEP_2)
	v_add_co_u32 v29, vcc_lo, v30, v29
	v_add_co_ci_u32_e32 v29, vcc_lo, v31, v33, vcc_lo
	v_add_co_ci_u32_e32 v30, vcc_lo, 0, v34, vcc_lo
	s_delay_alu instid0(VALU_DEP_2) | instskip(NEXT) | instid1(VALU_DEP_2)
	v_add_co_u32 v12, vcc_lo, v29, v12
	v_add_co_ci_u32_e32 v29, vcc_lo, 0, v30, vcc_lo
	s_delay_alu instid0(VALU_DEP_2) | instskip(NEXT) | instid1(VALU_DEP_2)
	v_add_co_u32 v2, vcc_lo, v2, v12
	v_add_co_ci_u32_e32 v11, vcc_lo, v11, v29, vcc_lo
	s_delay_alu instid0(VALU_DEP_2) | instskip(SKIP_1) | instid1(VALU_DEP_3)
	v_mul_hi_u32 v12, s0, v2
	v_mul_lo_u32 v30, s55, v2
	v_mul_lo_u32 v29, s0, v11
	s_delay_alu instid0(VALU_DEP_1) | instskip(SKIP_1) | instid1(VALU_DEP_2)
	v_add_nc_u32_e32 v12, v12, v29
	v_mul_lo_u32 v29, s0, v2
	v_add_nc_u32_e32 v12, v12, v30
	s_delay_alu instid0(VALU_DEP_2) | instskip(NEXT) | instid1(VALU_DEP_2)
	v_mul_hi_u32 v30, v2, v29
	v_mul_lo_u32 v31, v2, v12
	v_mul_hi_u32 v32, v2, v12
	v_mul_hi_u32 v33, v11, v29
	v_mul_lo_u32 v29, v11, v29
	v_mul_hi_u32 v34, v11, v12
	v_mul_lo_u32 v12, v11, v12
	v_add_co_u32 v30, vcc_lo, v30, v31
	v_add_co_ci_u32_e32 v31, vcc_lo, 0, v32, vcc_lo
	s_delay_alu instid0(VALU_DEP_2) | instskip(NEXT) | instid1(VALU_DEP_2)
	v_add_co_u32 v29, vcc_lo, v30, v29
	v_add_co_ci_u32_e32 v29, vcc_lo, v31, v33, vcc_lo
	v_add_co_ci_u32_e32 v30, vcc_lo, 0, v34, vcc_lo
	v_add_co_u32 v22, vcc_lo, v22, v21
	v_add_co_ci_u32_e32 v23, vcc_lo, v23, v21, vcc_lo
	s_delay_alu instid0(VALU_DEP_4) | instskip(NEXT) | instid1(VALU_DEP_4)
	v_add_co_u32 v12, vcc_lo, v29, v12
	v_add_co_ci_u32_e32 v29, vcc_lo, 0, v30, vcc_lo
	s_delay_alu instid0(VALU_DEP_4) | instskip(NEXT) | instid1(VALU_DEP_3)
	v_xor_b32_e32 v31, v22, v21
	v_add_co_u32 v2, vcc_lo, v2, v12
	s_delay_alu instid0(VALU_DEP_3) | instskip(SKIP_1) | instid1(VALU_DEP_3)
	v_add_co_ci_u32_e32 v32, vcc_lo, v11, v29, vcc_lo
	v_xor_b32_e32 v33, v23, v21
	v_mul_hi_u32 v34, v31, v2
	v_xor_b32_e32 v21, s54, v21
	s_delay_alu instid0(VALU_DEP_4) | instskip(NEXT) | instid1(VALU_DEP_4)
	v_mad_u64_u32 v[11:12], null, v31, v32, 0
	v_mad_u64_u32 v[22:23], null, v33, v2, 0
	;; [unrolled: 1-line block ×3, first 2 shown]
	s_delay_alu instid0(VALU_DEP_3) | instskip(NEXT) | instid1(VALU_DEP_4)
	v_add_co_u32 v2, vcc_lo, v34, v11
	v_add_co_ci_u32_e32 v11, vcc_lo, 0, v12, vcc_lo
	s_delay_alu instid0(VALU_DEP_2) | instskip(NEXT) | instid1(VALU_DEP_2)
	v_add_co_u32 v2, vcc_lo, v2, v22
	v_add_co_ci_u32_e32 v2, vcc_lo, v11, v23, vcc_lo
	v_add_co_ci_u32_e32 v11, vcc_lo, 0, v30, vcc_lo
	s_delay_alu instid0(VALU_DEP_2) | instskip(NEXT) | instid1(VALU_DEP_2)
	v_add_co_u32 v2, vcc_lo, v2, v29
	v_add_co_ci_u32_e32 v22, vcc_lo, 0, v11, vcc_lo
	s_delay_alu instid0(VALU_DEP_2) | instskip(SKIP_1) | instid1(VALU_DEP_3)
	v_mul_lo_u32 v23, s57, v2
	v_mad_u64_u32 v[11:12], null, s56, v2, 0
	v_mul_lo_u32 v29, s56, v22
	s_delay_alu instid0(VALU_DEP_2) | instskip(NEXT) | instid1(VALU_DEP_2)
	v_sub_co_u32 v11, vcc_lo, v31, v11
	v_add3_u32 v12, v12, v29, v23
	s_delay_alu instid0(VALU_DEP_1) | instskip(NEXT) | instid1(VALU_DEP_1)
	v_sub_nc_u32_e32 v23, v33, v12
	v_subrev_co_ci_u32_e64 v23, s0, s57, v23, vcc_lo
	v_add_co_u32 v29, s0, v2, 2
	s_delay_alu instid0(VALU_DEP_1) | instskip(SKIP_3) | instid1(VALU_DEP_3)
	v_add_co_ci_u32_e64 v30, s0, 0, v22, s0
	v_sub_co_u32 v31, s0, v11, s56
	v_sub_co_ci_u32_e32 v12, vcc_lo, v33, v12, vcc_lo
	v_subrev_co_ci_u32_e64 v23, s0, 0, v23, s0
	v_cmp_le_u32_e32 vcc_lo, s56, v31
	s_delay_alu instid0(VALU_DEP_3) | instskip(SKIP_1) | instid1(VALU_DEP_4)
	v_cmp_eq_u32_e64 s0, s57, v12
	v_cndmask_b32_e64 v31, 0, -1, vcc_lo
	v_cmp_le_u32_e32 vcc_lo, s57, v23
	v_cndmask_b32_e64 v32, 0, -1, vcc_lo
	v_cmp_le_u32_e32 vcc_lo, s56, v11
	;; [unrolled: 2-line block ×3, first 2 shown]
	v_cndmask_b32_e64 v33, 0, -1, vcc_lo
	v_cmp_eq_u32_e32 vcc_lo, s57, v23
	s_delay_alu instid0(VALU_DEP_2) | instskip(SKIP_3) | instid1(VALU_DEP_3)
	v_cndmask_b32_e64 v11, v33, v11, s0
	v_cndmask_b32_e32 v23, v32, v31, vcc_lo
	v_add_co_u32 v31, vcc_lo, v2, 1
	v_add_co_ci_u32_e32 v32, vcc_lo, 0, v22, vcc_lo
	v_cmp_ne_u32_e32 vcc_lo, 0, v23
	s_delay_alu instid0(VALU_DEP_2) | instskip(SKIP_1) | instid1(VALU_DEP_2)
	v_dual_cndmask_b32 v12, v32, v30 :: v_dual_cndmask_b32 v23, v31, v29
	v_cmp_ne_u32_e32 vcc_lo, 0, v11
	v_cndmask_b32_e32 v11, v22, v12, vcc_lo
	s_delay_alu instid0(VALU_DEP_3) | instskip(NEXT) | instid1(VALU_DEP_2)
	v_cndmask_b32_e32 v2, v2, v23, vcc_lo
                                        ; implicit-def: $vgpr22
	v_xor_b32_e32 v12, v11, v21
	s_delay_alu instid0(VALU_DEP_2) | instskip(NEXT) | instid1(VALU_DEP_1)
	v_xor_b32_e32 v2, v2, v21
	v_sub_co_u32 v11, vcc_lo, v2, v21
	s_delay_alu instid0(VALU_DEP_3)
	v_sub_co_ci_u32_e32 v12, vcc_lo, v12, v21, vcc_lo
.LBB59_45:                              ;   in Loop: Header=BB59_3 Depth=1
	s_or_saveexec_b32 s0, s53
	v_cvt_f32_u32_e32 v21, s34
	s_xor_b32 exec_lo, exec_lo, s0
	s_cbranch_execz .LBB59_47
; %bb.46:                               ;   in Loop: Header=BB59_3 Depth=1
	s_delay_alu instid0(VALU_DEP_1) | instskip(SKIP_3) | instid1(VALU_DEP_1)
	v_rcp_iflag_f32_e32 v2, v21
	s_sub_i32 s53, 0, s34
	s_waitcnt_depctr 0xfff
	v_mul_f32_e32 v2, 0x4f7ffffe, v2
	v_cvt_u32_f32_e32 v2, v2
	s_delay_alu instid0(VALU_DEP_1) | instskip(NEXT) | instid1(VALU_DEP_1)
	v_mul_lo_u32 v11, s53, v2
	v_mul_hi_u32 v11, v2, v11
	s_delay_alu instid0(VALU_DEP_1) | instskip(NEXT) | instid1(VALU_DEP_1)
	v_add_nc_u32_e32 v2, v2, v11
	v_mul_hi_u32 v2, v22, v2
	s_delay_alu instid0(VALU_DEP_1) | instskip(SKIP_1) | instid1(VALU_DEP_2)
	v_mul_lo_u32 v11, v2, s34
	v_add_nc_u32_e32 v12, 1, v2
	v_sub_nc_u32_e32 v11, v22, v11
	s_delay_alu instid0(VALU_DEP_1) | instskip(SKIP_1) | instid1(VALU_DEP_2)
	v_subrev_nc_u32_e32 v22, s34, v11
	v_cmp_le_u32_e32 vcc_lo, s34, v11
	v_dual_cndmask_b32 v11, v11, v22 :: v_dual_cndmask_b32 v2, v2, v12
	s_delay_alu instid0(VALU_DEP_1) | instskip(NEXT) | instid1(VALU_DEP_2)
	v_cmp_le_u32_e32 vcc_lo, s34, v11
	v_add_nc_u32_e32 v12, 1, v2
	s_delay_alu instid0(VALU_DEP_1)
	v_dual_cndmask_b32 v11, v2, v12 :: v_dual_mov_b32 v12, v1
.LBB59_47:                              ;   in Loop: Header=BB59_3 Depth=1
	s_or_b32 exec_lo, exec_lo, s0
	s_delay_alu instid0(VALU_DEP_1) | instskip(NEXT) | instid1(VALU_DEP_2)
	v_mul_lo_u32 v2, v12, s34
	v_mul_lo_u32 v29, v11, s35
	v_mad_u64_u32 v[22:23], null, v11, s34, 0
	s_mov_b32 s0, exec_lo
	s_delay_alu instid0(VALU_DEP_1) | instskip(NEXT) | instid1(VALU_DEP_2)
	v_add3_u32 v2, v23, v29, v2
	v_sub_co_u32 v7, vcc_lo, v7, v22
	v_mul_lo_u32 v23, v12, s12
	v_mul_lo_u32 v22, v11, s13
	s_delay_alu instid0(VALU_DEP_4) | instskip(NEXT) | instid1(VALU_DEP_4)
	v_sub_co_ci_u32_e32 v2, vcc_lo, v8, v2, vcc_lo
	v_add_co_u32 v29, vcc_lo, v3, v7
	v_mad_u64_u32 v[7:8], null, v11, s12, 0
	s_delay_alu instid0(VALU_DEP_3) | instskip(NEXT) | instid1(VALU_DEP_3)
	v_add_co_ci_u32_e32 v2, vcc_lo, v4, v2, vcc_lo
	v_mul_lo_u32 v30, v29, s15
	v_mad_u64_u32 v[11:12], null, v29, s14, 0
	s_delay_alu instid0(VALU_DEP_3) | instskip(SKIP_1) | instid1(VALU_DEP_1)
	v_mul_lo_u32 v2, v2, s14
	v_add3_u32 v8, v8, v22, v23
	v_lshlrev_b64 v[7:8], 1, v[7:8]
	s_delay_alu instid0(VALU_DEP_3) | instskip(SKIP_1) | instid1(VALU_DEP_3)
	v_add3_u32 v12, v12, v30, v2
	v_or_b32_e32 v2, s35, v25
	v_add_co_u32 v7, vcc_lo, s30, v7
	s_delay_alu instid0(VALU_DEP_3) | instskip(SKIP_1) | instid1(VALU_DEP_2)
	v_lshlrev_b64 v[11:12], 1, v[11:12]
	v_add_co_ci_u32_e32 v8, vcc_lo, s31, v8, vcc_lo
	v_add_co_u32 v7, vcc_lo, v7, v11
	s_delay_alu instid0(VALU_DEP_2)
	v_add_co_ci_u32_e32 v8, vcc_lo, v8, v12, vcc_lo
	global_store_b16 v[7:8], v27, off
                                        ; implicit-def: $vgpr7_vgpr8
	v_cmpx_ne_u64_e32 0, v[1:2]
	s_xor_b32 s53, exec_lo, s0
	s_cbranch_execz .LBB59_49
; %bb.48:                               ;   in Loop: Header=BB59_3 Depth=1
	s_ashr_i32 s54, s35, 31
	s_delay_alu instid0(SALU_CYCLE_1) | instskip(SKIP_2) | instid1(SALU_CYCLE_1)
	s_add_u32 s56, s34, s54
	s_mov_b32 s55, s54
	s_addc_u32 s57, s35, s54
	s_xor_b64 s[56:57], s[56:57], s[54:55]
	s_delay_alu instid0(SALU_CYCLE_1) | instskip(SKIP_3) | instid1(VALU_DEP_1)
	v_cvt_f32_u32_e32 v2, s56
	v_cvt_f32_u32_e32 v7, s57
	s_sub_u32 s0, 0, s56
	s_subb_u32 s55, 0, s57
	v_fmac_f32_e32 v2, 0x4f800000, v7
	s_delay_alu instid0(VALU_DEP_1) | instskip(SKIP_2) | instid1(VALU_DEP_1)
	v_rcp_f32_e32 v2, v2
	s_waitcnt_depctr 0xfff
	v_mul_f32_e32 v2, 0x5f7ffffc, v2
	v_mul_f32_e32 v7, 0x2f800000, v2
	s_delay_alu instid0(VALU_DEP_1) | instskip(NEXT) | instid1(VALU_DEP_1)
	v_trunc_f32_e32 v7, v7
	v_fmac_f32_e32 v2, 0xcf800000, v7
	v_cvt_u32_f32_e32 v7, v7
	s_delay_alu instid0(VALU_DEP_2) | instskip(NEXT) | instid1(VALU_DEP_2)
	v_cvt_u32_f32_e32 v2, v2
	v_mul_lo_u32 v8, s0, v7
	s_delay_alu instid0(VALU_DEP_2) | instskip(SKIP_1) | instid1(VALU_DEP_2)
	v_mul_hi_u32 v11, s0, v2
	v_mul_lo_u32 v12, s55, v2
	v_add_nc_u32_e32 v8, v11, v8
	v_mul_lo_u32 v11, s0, v2
	s_delay_alu instid0(VALU_DEP_2) | instskip(NEXT) | instid1(VALU_DEP_2)
	v_add_nc_u32_e32 v8, v8, v12
	v_mul_hi_u32 v12, v2, v11
	s_delay_alu instid0(VALU_DEP_2)
	v_mul_lo_u32 v22, v2, v8
	v_mul_hi_u32 v23, v2, v8
	v_mul_hi_u32 v27, v7, v11
	v_mul_lo_u32 v11, v7, v11
	v_mul_hi_u32 v29, v7, v8
	v_mul_lo_u32 v8, v7, v8
	v_add_co_u32 v12, vcc_lo, v12, v22
	v_add_co_ci_u32_e32 v22, vcc_lo, 0, v23, vcc_lo
	s_delay_alu instid0(VALU_DEP_2) | instskip(NEXT) | instid1(VALU_DEP_2)
	v_add_co_u32 v11, vcc_lo, v12, v11
	v_add_co_ci_u32_e32 v11, vcc_lo, v22, v27, vcc_lo
	v_add_co_ci_u32_e32 v12, vcc_lo, 0, v29, vcc_lo
	s_delay_alu instid0(VALU_DEP_2) | instskip(NEXT) | instid1(VALU_DEP_2)
	v_add_co_u32 v8, vcc_lo, v11, v8
	v_add_co_ci_u32_e32 v11, vcc_lo, 0, v12, vcc_lo
	s_delay_alu instid0(VALU_DEP_2) | instskip(NEXT) | instid1(VALU_DEP_2)
	v_add_co_u32 v2, vcc_lo, v2, v8
	v_add_co_ci_u32_e32 v7, vcc_lo, v7, v11, vcc_lo
	s_delay_alu instid0(VALU_DEP_2) | instskip(SKIP_1) | instid1(VALU_DEP_3)
	v_mul_hi_u32 v8, s0, v2
	v_mul_lo_u32 v12, s55, v2
	v_mul_lo_u32 v11, s0, v7
	s_delay_alu instid0(VALU_DEP_1) | instskip(SKIP_1) | instid1(VALU_DEP_2)
	v_add_nc_u32_e32 v8, v8, v11
	v_mul_lo_u32 v11, s0, v2
	v_add_nc_u32_e32 v8, v8, v12
	s_delay_alu instid0(VALU_DEP_2) | instskip(NEXT) | instid1(VALU_DEP_2)
	v_mul_hi_u32 v12, v2, v11
	v_mul_lo_u32 v22, v2, v8
	v_mul_hi_u32 v23, v2, v8
	v_mul_hi_u32 v27, v7, v11
	v_mul_lo_u32 v11, v7, v11
	v_mul_hi_u32 v29, v7, v8
	v_mul_lo_u32 v8, v7, v8
	v_add_co_u32 v12, vcc_lo, v12, v22
	v_add_co_ci_u32_e32 v22, vcc_lo, 0, v23, vcc_lo
	s_delay_alu instid0(VALU_DEP_2) | instskip(NEXT) | instid1(VALU_DEP_2)
	v_add_co_u32 v11, vcc_lo, v12, v11
	v_add_co_ci_u32_e32 v11, vcc_lo, v22, v27, vcc_lo
	v_add_co_ci_u32_e32 v12, vcc_lo, 0, v29, vcc_lo
	v_add_co_u32 v22, vcc_lo, v24, v16
	v_add_co_ci_u32_e32 v23, vcc_lo, v25, v16, vcc_lo
	s_delay_alu instid0(VALU_DEP_4) | instskip(NEXT) | instid1(VALU_DEP_4)
	v_add_co_u32 v8, vcc_lo, v11, v8
	v_add_co_ci_u32_e32 v11, vcc_lo, 0, v12, vcc_lo
	s_delay_alu instid0(VALU_DEP_4) | instskip(NEXT) | instid1(VALU_DEP_3)
	v_xor_b32_e32 v24, v22, v16
	v_add_co_u32 v2, vcc_lo, v2, v8
	s_delay_alu instid0(VALU_DEP_3) | instskip(SKIP_1) | instid1(VALU_DEP_3)
	v_add_co_ci_u32_e32 v25, vcc_lo, v7, v11, vcc_lo
	v_xor_b32_e32 v27, v23, v16
	v_mul_hi_u32 v29, v24, v2
	v_xor_b32_e32 v16, s54, v16
	s_delay_alu instid0(VALU_DEP_4) | instskip(NEXT) | instid1(VALU_DEP_4)
	v_mad_u64_u32 v[7:8], null, v24, v25, 0
	v_mad_u64_u32 v[11:12], null, v27, v2, 0
	;; [unrolled: 1-line block ×3, first 2 shown]
	s_delay_alu instid0(VALU_DEP_3) | instskip(NEXT) | instid1(VALU_DEP_4)
	v_add_co_u32 v2, vcc_lo, v29, v7
	v_add_co_ci_u32_e32 v7, vcc_lo, 0, v8, vcc_lo
	s_delay_alu instid0(VALU_DEP_2) | instskip(NEXT) | instid1(VALU_DEP_2)
	v_add_co_u32 v2, vcc_lo, v2, v11
	v_add_co_ci_u32_e32 v2, vcc_lo, v7, v12, vcc_lo
	v_add_co_ci_u32_e32 v7, vcc_lo, 0, v23, vcc_lo
	s_delay_alu instid0(VALU_DEP_2) | instskip(NEXT) | instid1(VALU_DEP_2)
	v_add_co_u32 v2, vcc_lo, v2, v22
	v_add_co_ci_u32_e32 v11, vcc_lo, 0, v7, vcc_lo
	s_delay_alu instid0(VALU_DEP_2) | instskip(SKIP_1) | instid1(VALU_DEP_3)
	v_mul_lo_u32 v12, s57, v2
	v_mad_u64_u32 v[7:8], null, s56, v2, 0
	v_mul_lo_u32 v22, s56, v11
	s_delay_alu instid0(VALU_DEP_2) | instskip(NEXT) | instid1(VALU_DEP_2)
	v_sub_co_u32 v7, vcc_lo, v24, v7
	v_add3_u32 v8, v8, v22, v12
	s_delay_alu instid0(VALU_DEP_1) | instskip(NEXT) | instid1(VALU_DEP_1)
	v_sub_nc_u32_e32 v12, v27, v8
	v_subrev_co_ci_u32_e64 v12, s0, s57, v12, vcc_lo
	v_add_co_u32 v22, s0, v2, 2
	s_delay_alu instid0(VALU_DEP_1) | instskip(SKIP_3) | instid1(VALU_DEP_3)
	v_add_co_ci_u32_e64 v23, s0, 0, v11, s0
	v_sub_co_u32 v24, s0, v7, s56
	v_sub_co_ci_u32_e32 v8, vcc_lo, v27, v8, vcc_lo
	v_subrev_co_ci_u32_e64 v12, s0, 0, v12, s0
	v_cmp_le_u32_e32 vcc_lo, s56, v24
	s_delay_alu instid0(VALU_DEP_3) | instskip(SKIP_1) | instid1(VALU_DEP_4)
	v_cmp_eq_u32_e64 s0, s57, v8
	v_cndmask_b32_e64 v24, 0, -1, vcc_lo
	v_cmp_le_u32_e32 vcc_lo, s57, v12
	v_cndmask_b32_e64 v25, 0, -1, vcc_lo
	v_cmp_le_u32_e32 vcc_lo, s56, v7
	;; [unrolled: 2-line block ×3, first 2 shown]
	v_cndmask_b32_e64 v27, 0, -1, vcc_lo
	v_cmp_eq_u32_e32 vcc_lo, s57, v12
	s_delay_alu instid0(VALU_DEP_2) | instskip(SKIP_3) | instid1(VALU_DEP_3)
	v_cndmask_b32_e64 v7, v27, v7, s0
	v_cndmask_b32_e32 v12, v25, v24, vcc_lo
	v_add_co_u32 v24, vcc_lo, v2, 1
	v_add_co_ci_u32_e32 v25, vcc_lo, 0, v11, vcc_lo
	v_cmp_ne_u32_e32 vcc_lo, 0, v12
	s_delay_alu instid0(VALU_DEP_2) | instskip(NEXT) | instid1(VALU_DEP_4)
	v_cndmask_b32_e32 v8, v25, v23, vcc_lo
	v_cndmask_b32_e32 v12, v24, v22, vcc_lo
	v_cmp_ne_u32_e32 vcc_lo, 0, v7
                                        ; implicit-def: $vgpr24
	s_delay_alu instid0(VALU_DEP_2) | instskip(NEXT) | instid1(VALU_DEP_4)
	v_cndmask_b32_e32 v2, v2, v12, vcc_lo
	v_cndmask_b32_e32 v7, v11, v8, vcc_lo
	s_delay_alu instid0(VALU_DEP_2) | instskip(NEXT) | instid1(VALU_DEP_2)
	v_xor_b32_e32 v2, v2, v16
	v_xor_b32_e32 v8, v7, v16
	s_delay_alu instid0(VALU_DEP_2) | instskip(NEXT) | instid1(VALU_DEP_2)
	v_sub_co_u32 v7, vcc_lo, v2, v16
	v_sub_co_ci_u32_e32 v8, vcc_lo, v8, v16, vcc_lo
.LBB59_49:                              ;   in Loop: Header=BB59_3 Depth=1
	s_and_not1_saveexec_b32 s0, s53
	s_cbranch_execz .LBB59_51
; %bb.50:                               ;   in Loop: Header=BB59_3 Depth=1
	v_rcp_iflag_f32_e32 v2, v21
	s_sub_i32 s53, 0, s34
	s_waitcnt_depctr 0xfff
	v_mul_f32_e32 v2, 0x4f7ffffe, v2
	s_delay_alu instid0(VALU_DEP_1) | instskip(NEXT) | instid1(VALU_DEP_1)
	v_cvt_u32_f32_e32 v2, v2
	v_mul_lo_u32 v7, s53, v2
	s_delay_alu instid0(VALU_DEP_1) | instskip(NEXT) | instid1(VALU_DEP_1)
	v_mul_hi_u32 v7, v2, v7
	v_add_nc_u32_e32 v2, v2, v7
	s_delay_alu instid0(VALU_DEP_1) | instskip(NEXT) | instid1(VALU_DEP_1)
	v_mul_hi_u32 v2, v24, v2
	v_mul_lo_u32 v7, v2, s34
	v_add_nc_u32_e32 v8, 1, v2
	s_delay_alu instid0(VALU_DEP_2) | instskip(NEXT) | instid1(VALU_DEP_1)
	v_sub_nc_u32_e32 v7, v24, v7
	v_subrev_nc_u32_e32 v11, s34, v7
	v_cmp_le_u32_e32 vcc_lo, s34, v7
	s_delay_alu instid0(VALU_DEP_2) | instskip(NEXT) | instid1(VALU_DEP_1)
	v_dual_cndmask_b32 v7, v7, v11 :: v_dual_cndmask_b32 v2, v2, v8
	v_cmp_le_u32_e32 vcc_lo, s34, v7
	s_delay_alu instid0(VALU_DEP_2) | instskip(NEXT) | instid1(VALU_DEP_1)
	v_add_nc_u32_e32 v8, 1, v2
	v_dual_cndmask_b32 v7, v2, v8 :: v_dual_mov_b32 v8, v1
.LBB59_51:                              ;   in Loop: Header=BB59_3 Depth=1
	s_or_b32 exec_lo, exec_lo, s0
	s_delay_alu instid0(VALU_DEP_1) | instskip(NEXT) | instid1(VALU_DEP_2)
	v_mul_lo_u32 v2, v8, s34
	v_mul_lo_u32 v16, v7, s35
	v_mad_u64_u32 v[11:12], null, v7, s34, 0
	s_mov_b32 s0, exec_lo
	s_delay_alu instid0(VALU_DEP_1) | instskip(NEXT) | instid1(VALU_DEP_2)
	v_add3_u32 v2, v12, v16, v2
	v_sub_co_u32 v5, vcc_lo, v5, v11
	v_mul_lo_u32 v12, v8, s12
	v_mul_lo_u32 v11, v7, s13
	s_delay_alu instid0(VALU_DEP_4) | instskip(NEXT) | instid1(VALU_DEP_4)
	v_sub_co_ci_u32_e32 v2, vcc_lo, v6, v2, vcc_lo
	v_add_co_u32 v16, vcc_lo, v3, v5
	v_mad_u64_u32 v[5:6], null, v7, s12, 0
	s_delay_alu instid0(VALU_DEP_3) | instskip(NEXT) | instid1(VALU_DEP_3)
	v_add_co_ci_u32_e32 v2, vcc_lo, v4, v2, vcc_lo
	v_mul_lo_u32 v22, v16, s15
	v_mad_u64_u32 v[7:8], null, v16, s14, 0
	s_delay_alu instid0(VALU_DEP_3) | instskip(SKIP_1) | instid1(VALU_DEP_1)
	v_mul_lo_u32 v2, v2, s14
	v_add3_u32 v6, v6, v11, v12
	v_lshlrev_b64 v[5:6], 1, v[5:6]
	s_delay_alu instid0(VALU_DEP_3) | instskip(SKIP_1) | instid1(VALU_DEP_3)
	v_add3_u32 v8, v8, v22, v2
	v_or_b32_e32 v2, s35, v26
	v_add_co_u32 v5, vcc_lo, s30, v5
	s_delay_alu instid0(VALU_DEP_3) | instskip(SKIP_1) | instid1(VALU_DEP_2)
	v_lshlrev_b64 v[7:8], 1, v[7:8]
	v_add_co_ci_u32_e32 v6, vcc_lo, s31, v6, vcc_lo
	v_add_co_u32 v5, vcc_lo, v5, v7
	s_delay_alu instid0(VALU_DEP_2)
	v_add_co_ci_u32_e32 v6, vcc_lo, v6, v8, vcc_lo
	global_store_b16 v[5:6], v28, off
                                        ; implicit-def: $vgpr5_vgpr6
	v_cmpx_ne_u64_e32 0, v[1:2]
	s_xor_b32 s53, exec_lo, s0
	s_cbranch_execz .LBB59_53
; %bb.52:                               ;   in Loop: Header=BB59_3 Depth=1
	s_ashr_i32 s54, s35, 31
	s_delay_alu instid0(SALU_CYCLE_1) | instskip(SKIP_2) | instid1(SALU_CYCLE_1)
	s_add_u32 s56, s34, s54
	s_mov_b32 s55, s54
	s_addc_u32 s57, s35, s54
	s_xor_b64 s[56:57], s[56:57], s[54:55]
	s_delay_alu instid0(SALU_CYCLE_1) | instskip(SKIP_3) | instid1(VALU_DEP_1)
	v_cvt_f32_u32_e32 v2, s56
	v_cvt_f32_u32_e32 v5, s57
	s_sub_u32 s0, 0, s56
	s_subb_u32 s55, 0, s57
	v_fmac_f32_e32 v2, 0x4f800000, v5
	s_delay_alu instid0(VALU_DEP_1) | instskip(SKIP_2) | instid1(VALU_DEP_1)
	v_rcp_f32_e32 v2, v2
	s_waitcnt_depctr 0xfff
	v_mul_f32_e32 v2, 0x5f7ffffc, v2
	v_mul_f32_e32 v5, 0x2f800000, v2
	s_delay_alu instid0(VALU_DEP_1) | instskip(NEXT) | instid1(VALU_DEP_1)
	v_trunc_f32_e32 v5, v5
	v_fmac_f32_e32 v2, 0xcf800000, v5
	v_cvt_u32_f32_e32 v5, v5
	s_delay_alu instid0(VALU_DEP_2) | instskip(NEXT) | instid1(VALU_DEP_2)
	v_cvt_u32_f32_e32 v2, v2
	v_mul_lo_u32 v6, s0, v5
	s_delay_alu instid0(VALU_DEP_2) | instskip(SKIP_1) | instid1(VALU_DEP_2)
	v_mul_hi_u32 v7, s0, v2
	v_mul_lo_u32 v8, s55, v2
	v_add_nc_u32_e32 v6, v7, v6
	v_mul_lo_u32 v7, s0, v2
	s_delay_alu instid0(VALU_DEP_2) | instskip(NEXT) | instid1(VALU_DEP_2)
	v_add_nc_u32_e32 v6, v6, v8
	v_mul_hi_u32 v8, v2, v7
	s_delay_alu instid0(VALU_DEP_2)
	v_mul_lo_u32 v11, v2, v6
	v_mul_hi_u32 v12, v2, v6
	v_mul_hi_u32 v16, v5, v7
	v_mul_lo_u32 v7, v5, v7
	v_mul_hi_u32 v21, v5, v6
	v_mul_lo_u32 v6, v5, v6
	v_add_co_u32 v8, vcc_lo, v8, v11
	v_add_co_ci_u32_e32 v11, vcc_lo, 0, v12, vcc_lo
	s_delay_alu instid0(VALU_DEP_2) | instskip(NEXT) | instid1(VALU_DEP_2)
	v_add_co_u32 v7, vcc_lo, v8, v7
	v_add_co_ci_u32_e32 v7, vcc_lo, v11, v16, vcc_lo
	v_add_co_ci_u32_e32 v8, vcc_lo, 0, v21, vcc_lo
	s_delay_alu instid0(VALU_DEP_2) | instskip(NEXT) | instid1(VALU_DEP_2)
	v_add_co_u32 v6, vcc_lo, v7, v6
	v_add_co_ci_u32_e32 v7, vcc_lo, 0, v8, vcc_lo
	s_delay_alu instid0(VALU_DEP_2) | instskip(NEXT) | instid1(VALU_DEP_2)
	v_add_co_u32 v2, vcc_lo, v2, v6
	v_add_co_ci_u32_e32 v5, vcc_lo, v5, v7, vcc_lo
	s_delay_alu instid0(VALU_DEP_2) | instskip(SKIP_1) | instid1(VALU_DEP_3)
	v_mul_hi_u32 v6, s0, v2
	v_mul_lo_u32 v8, s55, v2
	v_mul_lo_u32 v7, s0, v5
	s_delay_alu instid0(VALU_DEP_1) | instskip(SKIP_1) | instid1(VALU_DEP_2)
	v_add_nc_u32_e32 v6, v6, v7
	v_mul_lo_u32 v7, s0, v2
	v_add_nc_u32_e32 v6, v6, v8
	s_delay_alu instid0(VALU_DEP_2) | instskip(NEXT) | instid1(VALU_DEP_2)
	v_mul_hi_u32 v8, v2, v7
	v_mul_lo_u32 v11, v2, v6
	v_mul_hi_u32 v12, v2, v6
	v_mul_hi_u32 v16, v5, v7
	v_mul_lo_u32 v7, v5, v7
	v_mul_hi_u32 v21, v5, v6
	v_mul_lo_u32 v6, v5, v6
	v_add_co_u32 v8, vcc_lo, v8, v11
	v_add_co_ci_u32_e32 v11, vcc_lo, 0, v12, vcc_lo
	s_delay_alu instid0(VALU_DEP_2) | instskip(NEXT) | instid1(VALU_DEP_2)
	v_add_co_u32 v7, vcc_lo, v8, v7
	v_add_co_ci_u32_e32 v7, vcc_lo, v11, v16, vcc_lo
	v_add_co_ci_u32_e32 v8, vcc_lo, 0, v21, vcc_lo
	v_add_co_u32 v11, vcc_lo, v20, v19
	v_add_co_ci_u32_e32 v12, vcc_lo, v26, v19, vcc_lo
	s_delay_alu instid0(VALU_DEP_4) | instskip(NEXT) | instid1(VALU_DEP_4)
	v_add_co_u32 v6, vcc_lo, v7, v6
	v_add_co_ci_u32_e32 v7, vcc_lo, 0, v8, vcc_lo
	s_delay_alu instid0(VALU_DEP_4) | instskip(NEXT) | instid1(VALU_DEP_3)
	v_xor_b32_e32 v16, v11, v19
	v_add_co_u32 v2, vcc_lo, v2, v6
	s_delay_alu instid0(VALU_DEP_3) | instskip(SKIP_1) | instid1(VALU_DEP_3)
	v_add_co_ci_u32_e32 v20, vcc_lo, v5, v7, vcc_lo
	v_xor_b32_e32 v21, v12, v19
	v_mul_hi_u32 v22, v16, v2
	s_delay_alu instid0(VALU_DEP_3) | instskip(NEXT) | instid1(VALU_DEP_3)
	v_mad_u64_u32 v[5:6], null, v16, v20, 0
	v_mad_u64_u32 v[7:8], null, v21, v2, 0
	;; [unrolled: 1-line block ×3, first 2 shown]
	s_delay_alu instid0(VALU_DEP_3) | instskip(NEXT) | instid1(VALU_DEP_4)
	v_add_co_u32 v2, vcc_lo, v22, v5
	v_add_co_ci_u32_e32 v5, vcc_lo, 0, v6, vcc_lo
	s_delay_alu instid0(VALU_DEP_2) | instskip(NEXT) | instid1(VALU_DEP_2)
	v_add_co_u32 v2, vcc_lo, v2, v7
	v_add_co_ci_u32_e32 v2, vcc_lo, v5, v8, vcc_lo
	v_add_co_ci_u32_e32 v5, vcc_lo, 0, v12, vcc_lo
	s_delay_alu instid0(VALU_DEP_2) | instskip(NEXT) | instid1(VALU_DEP_2)
	v_add_co_u32 v2, vcc_lo, v2, v11
	v_add_co_ci_u32_e32 v7, vcc_lo, 0, v5, vcc_lo
	s_delay_alu instid0(VALU_DEP_2) | instskip(SKIP_1) | instid1(VALU_DEP_3)
	v_mul_lo_u32 v8, s57, v2
	v_mad_u64_u32 v[5:6], null, s56, v2, 0
	v_mul_lo_u32 v11, s56, v7
	s_delay_alu instid0(VALU_DEP_2) | instskip(NEXT) | instid1(VALU_DEP_2)
	v_sub_co_u32 v5, vcc_lo, v16, v5
	v_add3_u32 v6, v6, v11, v8
	s_delay_alu instid0(VALU_DEP_1) | instskip(NEXT) | instid1(VALU_DEP_1)
	v_sub_nc_u32_e32 v8, v21, v6
	v_subrev_co_ci_u32_e64 v8, s0, s57, v8, vcc_lo
	v_add_co_u32 v11, s0, v2, 2
	s_delay_alu instid0(VALU_DEP_1) | instskip(SKIP_3) | instid1(VALU_DEP_3)
	v_add_co_ci_u32_e64 v12, s0, 0, v7, s0
	v_sub_co_u32 v16, s0, v5, s56
	v_sub_co_ci_u32_e32 v6, vcc_lo, v21, v6, vcc_lo
	v_subrev_co_ci_u32_e64 v8, s0, 0, v8, s0
	v_cmp_le_u32_e32 vcc_lo, s56, v16
	s_delay_alu instid0(VALU_DEP_3) | instskip(SKIP_1) | instid1(VALU_DEP_4)
	v_cmp_eq_u32_e64 s0, s57, v6
	v_cndmask_b32_e64 v16, 0, -1, vcc_lo
	v_cmp_le_u32_e32 vcc_lo, s57, v8
	v_cndmask_b32_e64 v20, 0, -1, vcc_lo
	v_cmp_le_u32_e32 vcc_lo, s56, v5
	;; [unrolled: 2-line block ×3, first 2 shown]
	v_cndmask_b32_e64 v21, 0, -1, vcc_lo
	v_cmp_eq_u32_e32 vcc_lo, s57, v8
	s_delay_alu instid0(VALU_DEP_2) | instskip(SKIP_3) | instid1(VALU_DEP_3)
	v_cndmask_b32_e64 v5, v21, v5, s0
	v_cndmask_b32_e32 v8, v20, v16, vcc_lo
	v_add_co_u32 v16, vcc_lo, v2, 1
	v_add_co_ci_u32_e32 v20, vcc_lo, 0, v7, vcc_lo
	v_cmp_ne_u32_e32 vcc_lo, 0, v8
                                        ; implicit-def: $vgpr21
	s_delay_alu instid0(VALU_DEP_2) | instskip(NEXT) | instid1(VALU_DEP_4)
	v_cndmask_b32_e32 v6, v20, v12, vcc_lo
	v_cndmask_b32_e32 v8, v16, v11, vcc_lo
	v_cmp_ne_u32_e32 vcc_lo, 0, v5
	v_xor_b32_e32 v11, s54, v19
                                        ; implicit-def: $vgpr20
	s_delay_alu instid0(VALU_DEP_3) | instskip(NEXT) | instid1(VALU_DEP_1)
	v_dual_cndmask_b32 v2, v2, v8 :: v_dual_cndmask_b32 v5, v7, v6
	v_xor_b32_e32 v2, v2, v11
	s_delay_alu instid0(VALU_DEP_2) | instskip(NEXT) | instid1(VALU_DEP_2)
	v_xor_b32_e32 v6, v5, v11
	v_sub_co_u32 v5, vcc_lo, v2, v11
	s_delay_alu instid0(VALU_DEP_2)
	v_sub_co_ci_u32_e32 v6, vcc_lo, v6, v11, vcc_lo
.LBB59_53:                              ;   in Loop: Header=BB59_3 Depth=1
	s_and_not1_saveexec_b32 s0, s53
	s_cbranch_execz .LBB59_55
; %bb.54:                               ;   in Loop: Header=BB59_3 Depth=1
	v_rcp_iflag_f32_e32 v2, v21
	s_sub_i32 s53, 0, s34
	s_waitcnt_depctr 0xfff
	v_mul_f32_e32 v2, 0x4f7ffffe, v2
	s_delay_alu instid0(VALU_DEP_1) | instskip(NEXT) | instid1(VALU_DEP_1)
	v_cvt_u32_f32_e32 v2, v2
	v_mul_lo_u32 v5, s53, v2
	s_delay_alu instid0(VALU_DEP_1) | instskip(NEXT) | instid1(VALU_DEP_1)
	v_mul_hi_u32 v5, v2, v5
	v_add_nc_u32_e32 v2, v2, v5
	s_delay_alu instid0(VALU_DEP_1) | instskip(NEXT) | instid1(VALU_DEP_1)
	v_mul_hi_u32 v2, v20, v2
	v_mul_lo_u32 v5, v2, s34
	v_add_nc_u32_e32 v6, 1, v2
	s_delay_alu instid0(VALU_DEP_2) | instskip(NEXT) | instid1(VALU_DEP_1)
	v_sub_nc_u32_e32 v5, v20, v5
	v_subrev_nc_u32_e32 v7, s34, v5
	v_cmp_le_u32_e32 vcc_lo, s34, v5
	s_delay_alu instid0(VALU_DEP_2) | instskip(NEXT) | instid1(VALU_DEP_1)
	v_dual_cndmask_b32 v5, v5, v7 :: v_dual_cndmask_b32 v2, v2, v6
	v_cmp_le_u32_e32 vcc_lo, s34, v5
	s_delay_alu instid0(VALU_DEP_2) | instskip(NEXT) | instid1(VALU_DEP_1)
	v_add_nc_u32_e32 v6, 1, v2
	v_dual_cndmask_b32 v5, v2, v6 :: v_dual_mov_b32 v6, v1
.LBB59_55:                              ;   in Loop: Header=BB59_3 Depth=1
	s_or_b32 exec_lo, exec_lo, s0
	s_delay_alu instid0(VALU_DEP_1) | instskip(NEXT) | instid1(VALU_DEP_2)
	v_mul_lo_u32 v2, v6, s34
	v_mul_lo_u32 v11, v5, s35
	v_mad_u64_u32 v[7:8], null, v5, s34, 0
	s_mov_b32 s0, exec_lo
	s_delay_alu instid0(VALU_DEP_1) | instskip(SKIP_1) | instid1(VALU_DEP_3)
	v_add3_u32 v2, v8, v11, v2
	v_mul_lo_u32 v11, v6, s12
	v_sub_co_u32 v6, vcc_lo, v9, v7
	s_delay_alu instid0(VALU_DEP_3) | instskip(NEXT) | instid1(VALU_DEP_2)
	v_sub_co_ci_u32_e32 v2, vcc_lo, v10, v2, vcc_lo
	v_add_co_u32 v12, vcc_lo, v3, v6
	v_mul_lo_u32 v10, v5, s13
	s_delay_alu instid0(VALU_DEP_3) | instskip(SKIP_1) | instid1(VALU_DEP_4)
	v_add_co_ci_u32_e32 v2, vcc_lo, v4, v2, vcc_lo
	v_mad_u64_u32 v[6:7], null, v5, s12, 0
	v_mul_lo_u32 v5, v12, s15
	v_mad_u64_u32 v[8:9], null, v12, s14, 0
	s_delay_alu instid0(VALU_DEP_4) | instskip(NEXT) | instid1(VALU_DEP_4)
	v_mul_lo_u32 v2, v2, s14
	v_add3_u32 v7, v7, v10, v11
	v_fma_mixlo_f16 v10, v18, v17, 0
	s_delay_alu instid0(VALU_DEP_3) | instskip(NEXT) | instid1(VALU_DEP_3)
	v_add3_u32 v9, v9, v5, v2
	v_lshlrev_b64 v[5:6], 1, v[6:7]
	v_or_b32_e32 v2, s43, v4
	s_delay_alu instid0(VALU_DEP_3) | instskip(NEXT) | instid1(VALU_DEP_3)
	v_lshlrev_b64 v[7:8], 1, v[8:9]
	v_add_co_u32 v5, vcc_lo, s30, v5
	s_delay_alu instid0(VALU_DEP_4) | instskip(NEXT) | instid1(VALU_DEP_2)
	v_add_co_ci_u32_e32 v6, vcc_lo, s31, v6, vcc_lo
	v_add_co_u32 v5, vcc_lo, v5, v7
	s_delay_alu instid0(VALU_DEP_2)
	v_add_co_ci_u32_e32 v6, vcc_lo, v6, v8, vcc_lo
	global_store_b16 v[5:6], v10, off
                                        ; implicit-def: $vgpr5_vgpr6
	v_cmpx_ne_u64_e32 0, v[1:2]
	s_xor_b32 s53, exec_lo, s0
	s_cbranch_execz .LBB59_57
; %bb.56:                               ;   in Loop: Header=BB59_3 Depth=1
	s_ashr_i32 s54, s43, 31
	s_delay_alu instid0(SALU_CYCLE_1) | instskip(SKIP_2) | instid1(SALU_CYCLE_1)
	s_add_u32 s56, s42, s54
	s_mov_b32 s55, s54
	s_addc_u32 s57, s43, s54
	s_xor_b64 s[56:57], s[56:57], s[54:55]
	s_delay_alu instid0(SALU_CYCLE_1) | instskip(SKIP_3) | instid1(VALU_DEP_1)
	v_cvt_f32_u32_e32 v2, s56
	v_cvt_f32_u32_e32 v5, s57
	s_sub_u32 s0, 0, s56
	s_subb_u32 s55, 0, s57
	v_fmac_f32_e32 v2, 0x4f800000, v5
	s_delay_alu instid0(VALU_DEP_1) | instskip(SKIP_2) | instid1(VALU_DEP_1)
	v_rcp_f32_e32 v2, v2
	s_waitcnt_depctr 0xfff
	v_mul_f32_e32 v2, 0x5f7ffffc, v2
	v_mul_f32_e32 v5, 0x2f800000, v2
	s_delay_alu instid0(VALU_DEP_1) | instskip(NEXT) | instid1(VALU_DEP_1)
	v_trunc_f32_e32 v5, v5
	v_fmac_f32_e32 v2, 0xcf800000, v5
	v_cvt_u32_f32_e32 v5, v5
	s_delay_alu instid0(VALU_DEP_2) | instskip(NEXT) | instid1(VALU_DEP_2)
	v_cvt_u32_f32_e32 v2, v2
	v_mul_lo_u32 v6, s0, v5
	s_delay_alu instid0(VALU_DEP_2) | instskip(SKIP_1) | instid1(VALU_DEP_2)
	v_mul_hi_u32 v7, s0, v2
	v_mul_lo_u32 v8, s55, v2
	v_add_nc_u32_e32 v6, v7, v6
	v_mul_lo_u32 v7, s0, v2
	s_delay_alu instid0(VALU_DEP_2) | instskip(NEXT) | instid1(VALU_DEP_2)
	v_add_nc_u32_e32 v6, v6, v8
	v_mul_hi_u32 v8, v2, v7
	s_delay_alu instid0(VALU_DEP_2)
	v_mul_lo_u32 v9, v2, v6
	v_mul_hi_u32 v10, v2, v6
	v_mul_hi_u32 v11, v5, v7
	v_mul_lo_u32 v7, v5, v7
	v_mul_hi_u32 v12, v5, v6
	v_mul_lo_u32 v6, v5, v6
	v_add_co_u32 v8, vcc_lo, v8, v9
	v_add_co_ci_u32_e32 v9, vcc_lo, 0, v10, vcc_lo
	s_delay_alu instid0(VALU_DEP_2) | instskip(NEXT) | instid1(VALU_DEP_2)
	v_add_co_u32 v7, vcc_lo, v8, v7
	v_add_co_ci_u32_e32 v7, vcc_lo, v9, v11, vcc_lo
	v_add_co_ci_u32_e32 v8, vcc_lo, 0, v12, vcc_lo
	s_delay_alu instid0(VALU_DEP_2) | instskip(NEXT) | instid1(VALU_DEP_2)
	v_add_co_u32 v6, vcc_lo, v7, v6
	v_add_co_ci_u32_e32 v7, vcc_lo, 0, v8, vcc_lo
	s_delay_alu instid0(VALU_DEP_2) | instskip(NEXT) | instid1(VALU_DEP_2)
	v_add_co_u32 v2, vcc_lo, v2, v6
	v_add_co_ci_u32_e32 v5, vcc_lo, v5, v7, vcc_lo
	s_delay_alu instid0(VALU_DEP_2) | instskip(SKIP_1) | instid1(VALU_DEP_3)
	v_mul_hi_u32 v6, s0, v2
	v_mul_lo_u32 v8, s55, v2
	v_mul_lo_u32 v7, s0, v5
	s_delay_alu instid0(VALU_DEP_1) | instskip(SKIP_1) | instid1(VALU_DEP_2)
	v_add_nc_u32_e32 v6, v6, v7
	v_mul_lo_u32 v7, s0, v2
	v_add_nc_u32_e32 v6, v6, v8
	s_delay_alu instid0(VALU_DEP_2) | instskip(NEXT) | instid1(VALU_DEP_2)
	v_mul_hi_u32 v8, v2, v7
	v_mul_lo_u32 v9, v2, v6
	v_mul_hi_u32 v10, v2, v6
	v_mul_hi_u32 v11, v5, v7
	v_mul_lo_u32 v7, v5, v7
	v_mul_hi_u32 v12, v5, v6
	v_mul_lo_u32 v6, v5, v6
	v_add_co_u32 v8, vcc_lo, v8, v9
	v_add_co_ci_u32_e32 v9, vcc_lo, 0, v10, vcc_lo
	s_delay_alu instid0(VALU_DEP_2) | instskip(NEXT) | instid1(VALU_DEP_2)
	v_add_co_u32 v7, vcc_lo, v8, v7
	v_add_co_ci_u32_e32 v7, vcc_lo, v9, v11, vcc_lo
	v_add_co_ci_u32_e32 v8, vcc_lo, 0, v12, vcc_lo
	v_add_co_u32 v9, vcc_lo, v3, v13
	v_add_co_ci_u32_e32 v10, vcc_lo, v4, v13, vcc_lo
	s_delay_alu instid0(VALU_DEP_4) | instskip(NEXT) | instid1(VALU_DEP_4)
	v_add_co_u32 v6, vcc_lo, v7, v6
	v_add_co_ci_u32_e32 v7, vcc_lo, 0, v8, vcc_lo
	s_delay_alu instid0(VALU_DEP_4) | instskip(NEXT) | instid1(VALU_DEP_3)
	v_xor_b32_e32 v11, v9, v13
	v_add_co_u32 v2, vcc_lo, v2, v6
	s_delay_alu instid0(VALU_DEP_3) | instskip(SKIP_1) | instid1(VALU_DEP_3)
	v_add_co_ci_u32_e32 v12, vcc_lo, v5, v7, vcc_lo
	v_xor_b32_e32 v16, v10, v13
	v_mul_hi_u32 v17, v11, v2
	s_delay_alu instid0(VALU_DEP_3) | instskip(NEXT) | instid1(VALU_DEP_3)
	v_mad_u64_u32 v[5:6], null, v11, v12, 0
	v_mad_u64_u32 v[7:8], null, v16, v2, 0
	v_mad_u64_u32 v[9:10], null, v16, v12, 0
	s_delay_alu instid0(VALU_DEP_3) | instskip(NEXT) | instid1(VALU_DEP_4)
	v_add_co_u32 v2, vcc_lo, v17, v5
	v_add_co_ci_u32_e32 v5, vcc_lo, 0, v6, vcc_lo
	s_delay_alu instid0(VALU_DEP_2) | instskip(NEXT) | instid1(VALU_DEP_2)
	v_add_co_u32 v2, vcc_lo, v2, v7
	v_add_co_ci_u32_e32 v2, vcc_lo, v5, v8, vcc_lo
	v_add_co_ci_u32_e32 v5, vcc_lo, 0, v10, vcc_lo
	s_delay_alu instid0(VALU_DEP_2) | instskip(NEXT) | instid1(VALU_DEP_2)
	v_add_co_u32 v2, vcc_lo, v2, v9
	v_add_co_ci_u32_e32 v7, vcc_lo, 0, v5, vcc_lo
	s_delay_alu instid0(VALU_DEP_2) | instskip(SKIP_1) | instid1(VALU_DEP_3)
	v_mul_lo_u32 v8, s57, v2
	v_mad_u64_u32 v[5:6], null, s56, v2, 0
	v_mul_lo_u32 v9, s56, v7
	s_delay_alu instid0(VALU_DEP_2) | instskip(NEXT) | instid1(VALU_DEP_2)
	v_sub_co_u32 v5, vcc_lo, v11, v5
	v_add3_u32 v6, v6, v9, v8
	s_delay_alu instid0(VALU_DEP_1) | instskip(NEXT) | instid1(VALU_DEP_1)
	v_sub_nc_u32_e32 v8, v16, v6
	v_subrev_co_ci_u32_e64 v8, s0, s57, v8, vcc_lo
	v_add_co_u32 v9, s0, v2, 2
	s_delay_alu instid0(VALU_DEP_1) | instskip(SKIP_3) | instid1(VALU_DEP_3)
	v_add_co_ci_u32_e64 v10, s0, 0, v7, s0
	v_sub_co_u32 v11, s0, v5, s56
	v_sub_co_ci_u32_e32 v6, vcc_lo, v16, v6, vcc_lo
	v_subrev_co_ci_u32_e64 v8, s0, 0, v8, s0
	v_cmp_le_u32_e32 vcc_lo, s56, v11
	s_delay_alu instid0(VALU_DEP_3) | instskip(SKIP_1) | instid1(VALU_DEP_4)
	v_cmp_eq_u32_e64 s0, s57, v6
	v_cndmask_b32_e64 v11, 0, -1, vcc_lo
	v_cmp_le_u32_e32 vcc_lo, s57, v8
	v_cndmask_b32_e64 v12, 0, -1, vcc_lo
	v_cmp_le_u32_e32 vcc_lo, s56, v5
	;; [unrolled: 2-line block ×3, first 2 shown]
	v_cndmask_b32_e64 v16, 0, -1, vcc_lo
	v_cmp_eq_u32_e32 vcc_lo, s57, v8
	s_delay_alu instid0(VALU_DEP_2) | instskip(SKIP_3) | instid1(VALU_DEP_3)
	v_cndmask_b32_e64 v5, v16, v5, s0
	v_cndmask_b32_e32 v8, v12, v11, vcc_lo
	v_add_co_u32 v11, vcc_lo, v2, 1
	v_add_co_ci_u32_e32 v12, vcc_lo, 0, v7, vcc_lo
	v_cmp_ne_u32_e32 vcc_lo, 0, v8
	s_delay_alu instid0(VALU_DEP_2) | instskip(NEXT) | instid1(VALU_DEP_4)
	v_cndmask_b32_e32 v6, v12, v10, vcc_lo
	v_cndmask_b32_e32 v8, v11, v9, vcc_lo
	v_cmp_ne_u32_e32 vcc_lo, 0, v5
	v_xor_b32_e32 v9, s54, v13
	s_delay_alu instid0(VALU_DEP_3) | instskip(NEXT) | instid1(VALU_DEP_1)
	v_dual_cndmask_b32 v2, v2, v8 :: v_dual_cndmask_b32 v5, v7, v6
	v_xor_b32_e32 v2, v2, v9
	s_delay_alu instid0(VALU_DEP_2) | instskip(NEXT) | instid1(VALU_DEP_2)
	v_xor_b32_e32 v6, v5, v9
	v_sub_co_u32 v5, vcc_lo, v2, v9
	s_delay_alu instid0(VALU_DEP_2)
	v_sub_co_ci_u32_e32 v6, vcc_lo, v6, v9, vcc_lo
.LBB59_57:                              ;   in Loop: Header=BB59_3 Depth=1
	s_and_not1_saveexec_b32 s0, s53
	s_cbranch_execz .LBB59_2
; %bb.58:                               ;   in Loop: Header=BB59_3 Depth=1
	v_cvt_f32_u32_e32 v2, s42
	s_sub_i32 s53, 0, s42
	s_delay_alu instid0(VALU_DEP_1) | instskip(SKIP_2) | instid1(VALU_DEP_1)
	v_rcp_iflag_f32_e32 v2, v2
	s_waitcnt_depctr 0xfff
	v_mul_f32_e32 v2, 0x4f7ffffe, v2
	v_cvt_u32_f32_e32 v2, v2
	s_delay_alu instid0(VALU_DEP_1) | instskip(NEXT) | instid1(VALU_DEP_1)
	v_mul_lo_u32 v5, s53, v2
	v_mul_hi_u32 v5, v2, v5
	s_delay_alu instid0(VALU_DEP_1) | instskip(NEXT) | instid1(VALU_DEP_1)
	v_add_nc_u32_e32 v2, v2, v5
	v_mul_hi_u32 v2, v3, v2
	s_delay_alu instid0(VALU_DEP_1) | instskip(SKIP_1) | instid1(VALU_DEP_2)
	v_mul_lo_u32 v5, v2, s42
	v_add_nc_u32_e32 v6, 1, v2
	v_sub_nc_u32_e32 v5, v3, v5
	s_delay_alu instid0(VALU_DEP_1) | instskip(SKIP_1) | instid1(VALU_DEP_2)
	v_subrev_nc_u32_e32 v7, s42, v5
	v_cmp_le_u32_e32 vcc_lo, s42, v5
	v_dual_cndmask_b32 v5, v5, v7 :: v_dual_cndmask_b32 v2, v2, v6
	s_delay_alu instid0(VALU_DEP_1) | instskip(NEXT) | instid1(VALU_DEP_2)
	v_cmp_le_u32_e32 vcc_lo, s42, v5
	v_add_nc_u32_e32 v6, 1, v2
	s_delay_alu instid0(VALU_DEP_1)
	v_dual_cndmask_b32 v5, v2, v6 :: v_dual_mov_b32 v6, v1
	s_branch .LBB59_2
.LBB59_59:
	s_nop 0
	s_sendmsg sendmsg(MSG_DEALLOC_VGPRS)
	s_endpgm
	.section	.rodata,"a",@progbits
	.p2align	6, 0x0
	.amdhsa_kernel _ZN2at6native12_GLOBAL__N_16kernel17gru_cell_backwardIN3c104HalfEflLi2EEEvNS_4cuda6detail10TensorInfoIT_T1_EESB_SB_SB_SB_SA_SA_
		.amdhsa_group_segment_fixed_size 0
		.amdhsa_private_segment_fixed_size 0
		.amdhsa_kernarg_size 2352
		.amdhsa_user_sgpr_count 15
		.amdhsa_user_sgpr_dispatch_ptr 0
		.amdhsa_user_sgpr_queue_ptr 0
		.amdhsa_user_sgpr_kernarg_segment_ptr 1
		.amdhsa_user_sgpr_dispatch_id 0
		.amdhsa_user_sgpr_private_segment_size 0
		.amdhsa_wavefront_size32 1
		.amdhsa_uses_dynamic_stack 0
		.amdhsa_enable_private_segment 0
		.amdhsa_system_sgpr_workgroup_id_x 1
		.amdhsa_system_sgpr_workgroup_id_y 0
		.amdhsa_system_sgpr_workgroup_id_z 0
		.amdhsa_system_sgpr_workgroup_info 0
		.amdhsa_system_vgpr_workitem_id 0
		.amdhsa_next_free_vgpr 39
		.amdhsa_next_free_sgpr 63
		.amdhsa_reserve_vcc 1
		.amdhsa_float_round_mode_32 0
		.amdhsa_float_round_mode_16_64 0
		.amdhsa_float_denorm_mode_32 3
		.amdhsa_float_denorm_mode_16_64 3
		.amdhsa_dx10_clamp 1
		.amdhsa_ieee_mode 1
		.amdhsa_fp16_overflow 0
		.amdhsa_workgroup_processor_mode 1
		.amdhsa_memory_ordered 1
		.amdhsa_forward_progress 0
		.amdhsa_shared_vgpr_count 0
		.amdhsa_exception_fp_ieee_invalid_op 0
		.amdhsa_exception_fp_denorm_src 0
		.amdhsa_exception_fp_ieee_div_zero 0
		.amdhsa_exception_fp_ieee_overflow 0
		.amdhsa_exception_fp_ieee_underflow 0
		.amdhsa_exception_fp_ieee_inexact 0
		.amdhsa_exception_int_div_zero 0
	.end_amdhsa_kernel
	.section	.text._ZN2at6native12_GLOBAL__N_16kernel17gru_cell_backwardIN3c104HalfEflLi2EEEvNS_4cuda6detail10TensorInfoIT_T1_EESB_SB_SB_SB_SA_SA_,"axG",@progbits,_ZN2at6native12_GLOBAL__N_16kernel17gru_cell_backwardIN3c104HalfEflLi2EEEvNS_4cuda6detail10TensorInfoIT_T1_EESB_SB_SB_SB_SA_SA_,comdat
.Lfunc_end59:
	.size	_ZN2at6native12_GLOBAL__N_16kernel17gru_cell_backwardIN3c104HalfEflLi2EEEvNS_4cuda6detail10TensorInfoIT_T1_EESB_SB_SB_SB_SA_SA_, .Lfunc_end59-_ZN2at6native12_GLOBAL__N_16kernel17gru_cell_backwardIN3c104HalfEflLi2EEEvNS_4cuda6detail10TensorInfoIT_T1_EESB_SB_SB_SB_SA_SA_
                                        ; -- End function
	.section	.AMDGPU.csdata,"",@progbits
; Kernel info:
; codeLenInByte = 17260
; NumSgprs: 65
; NumVgprs: 39
; ScratchSize: 0
; MemoryBound: 0
; FloatMode: 240
; IeeeMode: 1
; LDSByteSize: 0 bytes/workgroup (compile time only)
; SGPRBlocks: 8
; VGPRBlocks: 4
; NumSGPRsForWavesPerEU: 65
; NumVGPRsForWavesPerEU: 39
; Occupancy: 16
; WaveLimiterHint : 1
; COMPUTE_PGM_RSRC2:SCRATCH_EN: 0
; COMPUTE_PGM_RSRC2:USER_SGPR: 15
; COMPUTE_PGM_RSRC2:TRAP_HANDLER: 0
; COMPUTE_PGM_RSRC2:TGID_X_EN: 1
; COMPUTE_PGM_RSRC2:TGID_Y_EN: 0
; COMPUTE_PGM_RSRC2:TGID_Z_EN: 0
; COMPUTE_PGM_RSRC2:TIDIG_COMP_CNT: 0
	.section	.text._ZN2at6native12_GLOBAL__N_16kernel17gru_cell_backwardIN3c108BFloat16EfiLi1EEEvNS_4cuda6detail10TensorInfoIT_T1_EESB_SB_SB_SB_SA_SA_,"axG",@progbits,_ZN2at6native12_GLOBAL__N_16kernel17gru_cell_backwardIN3c108BFloat16EfiLi1EEEvNS_4cuda6detail10TensorInfoIT_T1_EESB_SB_SB_SB_SA_SA_,comdat
	.globl	_ZN2at6native12_GLOBAL__N_16kernel17gru_cell_backwardIN3c108BFloat16EfiLi1EEEvNS_4cuda6detail10TensorInfoIT_T1_EESB_SB_SB_SB_SA_SA_ ; -- Begin function _ZN2at6native12_GLOBAL__N_16kernel17gru_cell_backwardIN3c108BFloat16EfiLi1EEEvNS_4cuda6detail10TensorInfoIT_T1_EESB_SB_SB_SB_SA_SA_
	.p2align	8
	.type	_ZN2at6native12_GLOBAL__N_16kernel17gru_cell_backwardIN3c108BFloat16EfiLi1EEEvNS_4cuda6detail10TensorInfoIT_T1_EESB_SB_SB_SB_SA_SA_,@function
_ZN2at6native12_GLOBAL__N_16kernel17gru_cell_backwardIN3c108BFloat16EfiLi1EEEvNS_4cuda6detail10TensorInfoIT_T1_EESB_SB_SB_SB_SA_SA_: ; @_ZN2at6native12_GLOBAL__N_16kernel17gru_cell_backwardIN3c108BFloat16EfiLi1EEEvNS_4cuda6detail10TensorInfoIT_T1_EESB_SB_SB_SB_SA_SA_
; %bb.0:
	s_clause 0x1
	s_load_b32 s4, s[0:1], 0x44c
	s_load_b64 s[2:3], s[0:1], 0x438
	s_add_u32 s8, s0, 0x440
	s_addc_u32 s9, s1, 0
	s_waitcnt lgkmcnt(0)
	s_and_b32 s19, s4, 0xffff
	s_mov_b32 s4, exec_lo
	v_mad_u64_u32 v[1:2], null, s15, s19, v[0:1]
	s_delay_alu instid0(VALU_DEP_1)
	v_cmpx_gt_i32_e64 s3, v1
	s_cbranch_execz .LBB60_3
; %bb.1:
	s_abs_i32 s14, s2
	s_clause 0x3
	s_load_b64 s[4:5], s[0:1], 0x1b0
	s_load_b32 s22, s[0:1], 0x21c
	s_load_b64 s[6:7], s[0:1], 0x288
	s_load_b32 s23, s[0:1], 0x2f4
	s_load_b32 s20, s[8:9], 0x0
	v_cvt_f32_u32_e32 v0, s14
	s_sub_i32 s12, 0, s14
	s_clause 0x3
	s_load_b64 s[8:9], s[0:1], 0x0
	s_load_b32 s15, s[0:1], 0x6c
	s_load_b64 s[10:11], s[0:1], 0xd8
	s_load_b32 s16, s[0:1], 0x144
	s_ashr_i32 s17, s2, 31
	s_mov_b32 s18, 0
	v_rcp_iflag_f32_e32 v0, v0
	s_lshl_b32 s21, s2, 1
	s_waitcnt_depctr 0xfff
	v_mul_f32_e32 v0, 0x4f7ffffe, v0
	s_waitcnt lgkmcnt(0)
	v_mul_lo_u32 v4, v1, s23
	s_mul_i32 s19, s20, s19
	s_delay_alu instid0(VALU_DEP_2) | instskip(SKIP_2) | instid1(VALU_DEP_1)
	v_cvt_u32_f32_e32 v0, v0
	s_lshl_b32 s20, s2, 2
	s_mul_i32 s23, s19, s23
	v_mul_lo_u32 v2, s12, v0
	s_clause 0x1
	s_load_b64 s[12:13], s[0:1], 0x360
	s_load_b32 s1, s[0:1], 0x3cc
	s_delay_alu instid0(VALU_DEP_1) | instskip(SKIP_2) | instid1(VALU_DEP_2)
	v_mul_hi_u32 v3, v0, v2
	v_mul_lo_u32 v2, v1, s22
	s_mul_i32 s22, s19, s22
	v_add_nc_u32_e32 v0, v0, v3
.LBB60_2:                               ; =>This Inner Loop Header: Depth=1
	v_sub_nc_u32_e32 v5, 0, v1
	v_ashrrev_i32_e32 v6, 31, v1
	s_delay_alu instid0(VALU_DEP_4) | instskip(NEXT) | instid1(VALU_DEP_3)
	v_ashrrev_i32_e32 v3, 31, v2
	v_max_i32_e32 v7, v1, v5
	s_delay_alu instid0(VALU_DEP_3) | instskip(NEXT) | instid1(VALU_DEP_3)
	v_xor_b32_e32 v15, s17, v6
	v_lshlrev_b64 v[5:6], 1, v[2:3]
	s_delay_alu instid0(VALU_DEP_3) | instskip(NEXT) | instid1(VALU_DEP_2)
	v_mul_hi_u32 v3, v7, v0
	v_add_co_u32 v5, vcc_lo, s4, v5
	s_delay_alu instid0(VALU_DEP_3) | instskip(SKIP_3) | instid1(VALU_DEP_2)
	v_add_co_ci_u32_e32 v6, vcc_lo, s5, v6, vcc_lo
	global_load_u16 v20, v[5:6], off
	v_mul_lo_u32 v5, v3, s14
	v_add_nc_u32_e32 v6, 1, v3
	v_sub_nc_u32_e32 v5, v7, v5
	s_delay_alu instid0(VALU_DEP_1) | instskip(SKIP_1) | instid1(VALU_DEP_4)
	v_subrev_nc_u32_e32 v7, s14, v5
	v_cmp_le_u32_e32 vcc_lo, s14, v5
	v_dual_cndmask_b32 v3, v3, v6 :: v_dual_lshlrev_b32 v8, 2, v15
	s_delay_alu instid0(VALU_DEP_3) | instskip(NEXT) | instid1(VALU_DEP_2)
	v_cndmask_b32_e32 v5, v5, v7, vcc_lo
	v_add_nc_u32_e32 v6, 1, v3
	s_delay_alu instid0(VALU_DEP_2) | instskip(NEXT) | instid1(VALU_DEP_2)
	v_cmp_le_u32_e32 vcc_lo, s14, v5
	v_cndmask_b32_e32 v3, v3, v6, vcc_lo
	s_delay_alu instid0(VALU_DEP_1) | instskip(NEXT) | instid1(VALU_DEP_1)
	v_xor_b32_e32 v3, v3, v15
	v_lshlrev_b32_e32 v5, 2, v3
	v_sub_nc_u32_e32 v16, v3, v15
	v_lshlrev_b32_e32 v3, 1, v3
	s_delay_alu instid0(VALU_DEP_3) | instskip(NEXT) | instid1(VALU_DEP_3)
	v_sub_nc_u32_e32 v7, v5, v8
	v_mad_u64_u32 v[5:6], null, s20, v16, v[1:2]
	s_delay_alu instid0(VALU_DEP_2)
	v_or_b32_e32 v6, 1, v7
	v_or_b32_e32 v10, 2, v7
	;; [unrolled: 1-line block ×3, first 2 shown]
	v_add_nc_u32_e32 v12, 4, v7
	s_waitcnt lgkmcnt(0)
	v_mul_lo_u32 v5, v5, s1
	v_mad_u64_u32 v[7:8], null, s2, v6, v[1:2]
	v_mad_u64_u32 v[8:9], null, s2, v10, v[1:2]
	;; [unrolled: 1-line block ×4, first 2 shown]
	v_ashrrev_i32_e32 v6, 31, v5
	v_mul_lo_u32 v7, v7, s1
	v_mul_lo_u32 v11, v8, s1
	v_add_nc_u32_e32 v2, s22, v2
	v_mul_lo_u32 v9, v9, s1
	v_lshlrev_b64 v[5:6], 1, v[5:6]
	v_mul_lo_u32 v13, v10, s1
	v_ashrrev_i32_e32 v8, 31, v7
	v_ashrrev_i32_e32 v12, 31, v11
	s_delay_alu instid0(VALU_DEP_4) | instskip(SKIP_2) | instid1(VALU_DEP_4)
	v_add_co_u32 v5, vcc_lo, s12, v5
	v_ashrrev_i32_e32 v10, 31, v9
	v_ashrrev_i32_e32 v14, 31, v13
	v_lshlrev_b64 v[11:12], 1, v[11:12]
	v_add_co_ci_u32_e32 v6, vcc_lo, s13, v6, vcc_lo
	s_delay_alu instid0(VALU_DEP_4) | instskip(NEXT) | instid1(VALU_DEP_4)
	v_lshlrev_b64 v[9:10], 1, v[9:10]
	v_lshlrev_b64 v[13:14], 1, v[13:14]
	;; [unrolled: 1-line block ×3, first 2 shown]
	v_add_co_u32 v11, vcc_lo, s12, v11
	v_add_co_ci_u32_e32 v12, vcc_lo, s13, v12, vcc_lo
	v_add_co_u32 v9, vcc_lo, s12, v9
	v_add_co_ci_u32_e32 v10, vcc_lo, s13, v10, vcc_lo
	;; [unrolled: 2-line block ×4, first 2 shown]
	s_clause 0x4
	global_load_u16 v21, v[13:14], off
	global_load_u16 v22, v[11:12], off
	;; [unrolled: 1-line block ×5, first 2 shown]
	v_lshlrev_b32_e32 v9, 1, v15
	v_mad_u64_u32 v[7:8], null, s21, v16, v[1:2]
	v_ashrrev_i32_e32 v5, 31, v4
	s_delay_alu instid0(VALU_DEP_3) | instskip(NEXT) | instid1(VALU_DEP_2)
	v_sub_nc_u32_e32 v3, v3, v9
	v_lshlrev_b64 v[5:6], 1, v[4:5]
	s_delay_alu instid0(VALU_DEP_4) | instskip(NEXT) | instid1(VALU_DEP_3)
	v_mul_lo_u32 v8, v7, s15
	v_or_b32_e32 v9, 1, v3
	v_add_nc_u32_e32 v3, 2, v3
	v_mul_lo_u32 v10, v7, s16
	v_add_co_u32 v5, vcc_lo, s6, v5
	s_delay_alu instid0(VALU_DEP_4) | instskip(NEXT) | instid1(VALU_DEP_4)
	v_mad_u64_u32 v[12:13], null, s2, v9, v[1:2]
	v_mad_u64_u32 v[13:14], null, s2, v3, v[1:2]
	v_ashrrev_i32_e32 v9, 31, v8
	v_ashrrev_i32_e32 v11, 31, v10
	v_add_co_ci_u32_e32 v6, vcc_lo, s7, v6, vcc_lo
	v_mul_lo_u32 v7, v12, s15
	v_mul_lo_u32 v12, v12, s16
	;; [unrolled: 1-line block ×3, first 2 shown]
	v_lshlrev_b64 v[18:19], 1, v[8:9]
	v_mul_lo_u32 v16, v13, s16
	v_lshlrev_b64 v[9:10], 1, v[10:11]
	v_ashrrev_i32_e32 v8, 31, v7
	v_ashrrev_i32_e32 v13, 31, v12
	;; [unrolled: 1-line block ×4, first 2 shown]
	s_delay_alu instid0(VALU_DEP_4) | instskip(NEXT) | instid1(VALU_DEP_4)
	v_lshlrev_b64 v[7:8], 1, v[7:8]
	v_lshlrev_b64 v[11:12], 1, v[12:13]
	s_delay_alu instid0(VALU_DEP_4) | instskip(NEXT) | instid1(VALU_DEP_4)
	v_lshlrev_b64 v[14:15], 1, v[14:15]
	v_lshlrev_b64 v[16:17], 1, v[16:17]
	s_waitcnt vmcnt(5)
	v_lshlrev_b32_e32 v3, 16, v20
	s_waitcnt vmcnt(2)
	v_lshlrev_b32_e32 v20, 16, v23
	;; [unrolled: 2-line block ×3, first 2 shown]
	s_delay_alu instid0(VALU_DEP_1) | instskip(NEXT) | instid1(VALU_DEP_1)
	v_dual_sub_f32 v26, 1.0, v23 :: v_dual_add_nc_u32 v1, s19, v1
	v_cmp_le_i32_e32 vcc_lo, s3, v1
	s_or_b32 s18, vcc_lo, s18
	v_add_co_u32 v18, vcc_lo, s8, v18
	v_add_co_ci_u32_e32 v19, vcc_lo, s9, v19, vcc_lo
	v_add_co_u32 v9, vcc_lo, s10, v9
	v_add_co_ci_u32_e32 v10, vcc_lo, s11, v10, vcc_lo
	;; [unrolled: 2-line block ×6, first 2 shown]
	v_lshlrev_b32_e32 v17, 16, v22
	v_lshlrev_b32_e32 v22, 16, v24
	v_add_nc_u32_e32 v4, s23, v4
	s_delay_alu instid0(VALU_DEP_2) | instskip(SKIP_1) | instid1(VALU_DEP_2)
	v_dual_sub_f32 v20, v20, v17 :: v_dual_mul_f32 v25, v22, v3
	v_sub_f32_e32 v24, 1.0, v22
	v_mul_f32_e32 v20, v20, v3
	v_fma_f32 v17, -v17, v17, 1.0
	s_delay_alu instid0(VALU_DEP_3) | instskip(SKIP_2) | instid1(VALU_DEP_3)
	v_mul_f32_e32 v3, v24, v3
	v_bfe_u32 v27, v25, 16, 1
	v_cmp_o_f32_e32 vcc_lo, v25, v25
	v_dual_mul_f32 v20, v24, v20 :: v_dual_mul_f32 v3, v17, v3
	s_delay_alu instid0(VALU_DEP_3) | instskip(NEXT) | instid1(VALU_DEP_2)
	v_add3_u32 v17, v25, v27, 0x7fff
	v_mul_f32_e32 v20, v20, v22
	s_delay_alu instid0(VALU_DEP_3) | instskip(NEXT) | instid1(VALU_DEP_3)
	v_bfe_u32 v24, v3, 16, 1
	v_lshrrev_b32_e32 v17, 16, v17
	s_delay_alu instid0(VALU_DEP_3) | instskip(SKIP_1) | instid1(VALU_DEP_4)
	v_bfe_u32 v25, v20, 16, 1
	v_cmp_o_f32_e64 s0, v20, v20
	v_add3_u32 v24, v3, v24, 0x7fff
	s_delay_alu instid0(VALU_DEP_4) | instskip(SKIP_1) | instid1(VALU_DEP_3)
	v_cndmask_b32_e32 v17, 0x7fc0, v17, vcc_lo
	v_cmp_o_f32_e32 vcc_lo, v3, v3
	v_lshrrev_b32_e32 v24, 16, v24
	s_delay_alu instid0(VALU_DEP_1) | instskip(SKIP_1) | instid1(VALU_DEP_2)
	v_dual_cndmask_b32 v24, 0x7fc0, v24 :: v_dual_lshlrev_b32 v21, 16, v21
	v_mul_f32_e32 v22, v3, v23
	v_mul_f32_e32 v21, v3, v21
	s_delay_alu instid0(VALU_DEP_2) | instskip(NEXT) | instid1(VALU_DEP_2)
	v_cmp_o_f32_e32 vcc_lo, v22, v22
	v_mul_f32_e32 v21, v26, v21
	v_bfe_u32 v26, v22, 16, 1
	s_delay_alu instid0(VALU_DEP_2) | instskip(SKIP_1) | instid1(VALU_DEP_3)
	v_mul_f32_e32 v21, v21, v23
	v_add3_u32 v23, v20, v25, 0x7fff
	v_add3_u32 v25, v22, v26, 0x7fff
	s_delay_alu instid0(VALU_DEP_3) | instskip(NEXT) | instid1(VALU_DEP_3)
	v_bfe_u32 v3, v21, 16, 1
	v_lshrrev_b32_e32 v23, 16, v23
	s_delay_alu instid0(VALU_DEP_3) | instskip(NEXT) | instid1(VALU_DEP_3)
	v_lshrrev_b32_e32 v25, 16, v25
	v_add3_u32 v3, v21, v3, 0x7fff
	s_delay_alu instid0(VALU_DEP_3) | instskip(NEXT) | instid1(VALU_DEP_3)
	v_cndmask_b32_e64 v20, 0x7fc0, v23, s0
	v_cndmask_b32_e32 v22, 0x7fc0, v25, vcc_lo
	v_cmp_o_f32_e32 vcc_lo, v21, v21
	s_delay_alu instid0(VALU_DEP_4) | instskip(NEXT) | instid1(VALU_DEP_1)
	v_lshrrev_b32_e32 v3, 16, v3
	v_cndmask_b32_e32 v3, 0x7fc0, v3, vcc_lo
	s_clause 0x2
	global_store_b16 v[18:19], v3, off
	global_store_b16 v[7:8], v20, off
	;; [unrolled: 1-line block ×3, first 2 shown]
	s_clause 0x2
	global_store_b16 v[9:10], v3, off
	global_store_b16 v[11:12], v20, off
	;; [unrolled: 1-line block ×4, first 2 shown]
	s_and_not1_b32 exec_lo, exec_lo, s18
	s_cbranch_execnz .LBB60_2
.LBB60_3:
	s_nop 0
	s_sendmsg sendmsg(MSG_DEALLOC_VGPRS)
	s_endpgm
	.section	.rodata,"a",@progbits
	.p2align	6, 0x0
	.amdhsa_kernel _ZN2at6native12_GLOBAL__N_16kernel17gru_cell_backwardIN3c108BFloat16EfiLi1EEEvNS_4cuda6detail10TensorInfoIT_T1_EESB_SB_SB_SB_SA_SA_
		.amdhsa_group_segment_fixed_size 0
		.amdhsa_private_segment_fixed_size 0
		.amdhsa_kernarg_size 1344
		.amdhsa_user_sgpr_count 15
		.amdhsa_user_sgpr_dispatch_ptr 0
		.amdhsa_user_sgpr_queue_ptr 0
		.amdhsa_user_sgpr_kernarg_segment_ptr 1
		.amdhsa_user_sgpr_dispatch_id 0
		.amdhsa_user_sgpr_private_segment_size 0
		.amdhsa_wavefront_size32 1
		.amdhsa_uses_dynamic_stack 0
		.amdhsa_enable_private_segment 0
		.amdhsa_system_sgpr_workgroup_id_x 1
		.amdhsa_system_sgpr_workgroup_id_y 0
		.amdhsa_system_sgpr_workgroup_id_z 0
		.amdhsa_system_sgpr_workgroup_info 0
		.amdhsa_system_vgpr_workitem_id 0
		.amdhsa_next_free_vgpr 28
		.amdhsa_next_free_sgpr 24
		.amdhsa_reserve_vcc 1
		.amdhsa_float_round_mode_32 0
		.amdhsa_float_round_mode_16_64 0
		.amdhsa_float_denorm_mode_32 3
		.amdhsa_float_denorm_mode_16_64 3
		.amdhsa_dx10_clamp 1
		.amdhsa_ieee_mode 1
		.amdhsa_fp16_overflow 0
		.amdhsa_workgroup_processor_mode 1
		.amdhsa_memory_ordered 1
		.amdhsa_forward_progress 0
		.amdhsa_shared_vgpr_count 0
		.amdhsa_exception_fp_ieee_invalid_op 0
		.amdhsa_exception_fp_denorm_src 0
		.amdhsa_exception_fp_ieee_div_zero 0
		.amdhsa_exception_fp_ieee_overflow 0
		.amdhsa_exception_fp_ieee_underflow 0
		.amdhsa_exception_fp_ieee_inexact 0
		.amdhsa_exception_int_div_zero 0
	.end_amdhsa_kernel
	.section	.text._ZN2at6native12_GLOBAL__N_16kernel17gru_cell_backwardIN3c108BFloat16EfiLi1EEEvNS_4cuda6detail10TensorInfoIT_T1_EESB_SB_SB_SB_SA_SA_,"axG",@progbits,_ZN2at6native12_GLOBAL__N_16kernel17gru_cell_backwardIN3c108BFloat16EfiLi1EEEvNS_4cuda6detail10TensorInfoIT_T1_EESB_SB_SB_SB_SA_SA_,comdat
.Lfunc_end60:
	.size	_ZN2at6native12_GLOBAL__N_16kernel17gru_cell_backwardIN3c108BFloat16EfiLi1EEEvNS_4cuda6detail10TensorInfoIT_T1_EESB_SB_SB_SB_SA_SA_, .Lfunc_end60-_ZN2at6native12_GLOBAL__N_16kernel17gru_cell_backwardIN3c108BFloat16EfiLi1EEEvNS_4cuda6detail10TensorInfoIT_T1_EESB_SB_SB_SB_SA_SA_
                                        ; -- End function
	.section	.AMDGPU.csdata,"",@progbits
; Kernel info:
; codeLenInByte = 1436
; NumSgprs: 26
; NumVgprs: 28
; ScratchSize: 0
; MemoryBound: 0
; FloatMode: 240
; IeeeMode: 1
; LDSByteSize: 0 bytes/workgroup (compile time only)
; SGPRBlocks: 3
; VGPRBlocks: 3
; NumSGPRsForWavesPerEU: 26
; NumVGPRsForWavesPerEU: 28
; Occupancy: 16
; WaveLimiterHint : 1
; COMPUTE_PGM_RSRC2:SCRATCH_EN: 0
; COMPUTE_PGM_RSRC2:USER_SGPR: 15
; COMPUTE_PGM_RSRC2:TRAP_HANDLER: 0
; COMPUTE_PGM_RSRC2:TGID_X_EN: 1
; COMPUTE_PGM_RSRC2:TGID_Y_EN: 0
; COMPUTE_PGM_RSRC2:TGID_Z_EN: 0
; COMPUTE_PGM_RSRC2:TIDIG_COMP_CNT: 0
	.section	.text._ZN2at6native12_GLOBAL__N_16kernel17gru_cell_backwardIN3c108BFloat16EfiLi2EEEvNS_4cuda6detail10TensorInfoIT_T1_EESB_SB_SB_SB_SA_SA_,"axG",@progbits,_ZN2at6native12_GLOBAL__N_16kernel17gru_cell_backwardIN3c108BFloat16EfiLi2EEEvNS_4cuda6detail10TensorInfoIT_T1_EESB_SB_SB_SB_SA_SA_,comdat
	.globl	_ZN2at6native12_GLOBAL__N_16kernel17gru_cell_backwardIN3c108BFloat16EfiLi2EEEvNS_4cuda6detail10TensorInfoIT_T1_EESB_SB_SB_SB_SA_SA_ ; -- Begin function _ZN2at6native12_GLOBAL__N_16kernel17gru_cell_backwardIN3c108BFloat16EfiLi2EEEvNS_4cuda6detail10TensorInfoIT_T1_EESB_SB_SB_SB_SA_SA_
	.p2align	8
	.type	_ZN2at6native12_GLOBAL__N_16kernel17gru_cell_backwardIN3c108BFloat16EfiLi2EEEvNS_4cuda6detail10TensorInfoIT_T1_EESB_SB_SB_SB_SA_SA_,@function
_ZN2at6native12_GLOBAL__N_16kernel17gru_cell_backwardIN3c108BFloat16EfiLi2EEEvNS_4cuda6detail10TensorInfoIT_T1_EESB_SB_SB_SB_SA_SA_: ; @_ZN2at6native12_GLOBAL__N_16kernel17gru_cell_backwardIN3c108BFloat16EfiLi2EEEvNS_4cuda6detail10TensorInfoIT_T1_EESB_SB_SB_SB_SA_SA_
; %bb.0:
	s_clause 0x1
	s_load_b32 s6, s[0:1], 0x44c
	s_load_b64 s[4:5], s[0:1], 0x438
	s_add_u32 s2, s0, 0x440
	s_addc_u32 s3, s1, 0
	s_waitcnt lgkmcnt(0)
	s_and_b32 s31, s6, 0xffff
	s_mov_b32 s6, exec_lo
	v_mad_u64_u32 v[1:2], null, s15, s31, v[0:1]
	s_delay_alu instid0(VALU_DEP_1)
	v_cmpx_gt_i32_e64 s5, v1
	s_cbranch_execz .LBB61_3
; %bb.1:
	s_clause 0x1
	s_load_b32 s26, s[0:1], 0x36c
	s_load_b32 s45, s[0:1], 0x1bc
	;; [unrolled: 1-line block ×3, first 2 shown]
	s_clause 0x5
	s_load_b64 s[6:7], s[0:1], 0x0
	s_load_b32 s27, s[0:1], 0xc
	s_load_b32 s28, s[0:1], 0xe4
	s_load_b64 s[8:9], s[0:1], 0x144
	s_load_b64 s[10:11], s[0:1], 0x1b0
	s_load_b32 s46, s[0:1], 0x294
	s_abs_i32 s3, s4
	s_clause 0x6
	s_load_b64 s[12:13], s[0:1], 0x21c
	s_load_b64 s[14:15], s[0:1], 0x288
	;; [unrolled: 1-line block ×7, first 2 shown]
	v_cvt_f32_u32_e32 v0, s3
	s_sub_i32 s0, 0, s3
	s_ashr_i32 s36, s4, 31
	s_mov_b32 s37, 0
	s_lshl_b32 s43, s4, 2
	v_rcp_iflag_f32_e32 v0, v0
	s_lshl_b32 s44, s4, 1
	s_waitcnt lgkmcnt(0)
	s_abs_i32 s29, s26
	s_abs_i32 s30, s45
	v_cvt_f32_u32_e32 v2, s29
	v_cvt_f32_u32_e32 v3, s30
	s_abs_i32 s34, s28
	s_abs_i32 s33, s27
	v_cvt_f32_u32_e32 v5, s34
	v_rcp_iflag_f32_e32 v2, v2
	v_cvt_f32_u32_e32 v4, s33
	s_abs_i32 s35, s46
	v_rcp_iflag_f32_e32 v3, v3
	v_cvt_f32_u32_e32 v7, s35
	v_rcp_iflag_f32_e32 v5, v5
	v_rcp_iflag_f32_e32 v4, v4
	v_mul_f32_e32 v0, 0x4f7ffffe, v0
	s_sub_i32 s1, 0, s30
	v_rcp_iflag_f32_e32 v7, v7
	v_mul_f32_e32 v2, 0x4f7ffffe, v2
	s_mul_i32 s31, s2, s31
	s_ashr_i32 s38, s26, 31
	v_mul_f32_e32 v3, 0x4f7ffffe, v3
	v_cvt_u32_f32_e32 v0, v0
	v_mul_f32_e32 v5, 0x4f7ffffe, v5
	v_cvt_u32_f32_e32 v2, v2
	;; [unrolled: 2-line block ×3, first 2 shown]
	v_mul_f32_e32 v7, 0x4f7ffffe, v7
	v_mul_lo_u32 v6, s0, v0
	s_sub_i32 s0, 0, s29
	v_cvt_u32_f32_e32 v4, v4
	v_mul_lo_u32 v8, s0, v2
	v_cvt_u32_f32_e32 v5, v5
	v_cvt_u32_f32_e32 v7, v7
	s_sub_i32 s0, 0, s33
	v_mul_lo_u32 v9, s1, v3
	s_sub_i32 s1, 0, s34
	v_mul_lo_u32 v10, s0, v4
	s_sub_i32 s0, 0, s35
	v_mul_hi_u32 v6, v0, v6
	v_mul_lo_u32 v11, s1, v5
	v_mul_hi_u32 v8, v2, v8
	v_mul_lo_u32 v12, s0, v7
	v_mul_hi_u32 v9, v3, v9
	s_ashr_i32 s39, s45, 31
	s_ashr_i32 s40, s27, 31
	;; [unrolled: 1-line block ×3, first 2 shown]
	v_add_nc_u32_e32 v0, v0, v6
	v_mul_hi_u32 v6, v4, v10
	v_mul_hi_u32 v10, v5, v11
	v_add_nc_u32_e32 v2, v2, v8
	v_mul_hi_u32 v8, v7, v12
	v_add_nc_u32_e32 v3, v3, v9
	s_ashr_i32 s42, s46, 31
	s_sub_i32 s45, 0, s45
	s_sub_i32 s46, 0, s46
	v_add_nc_u32_e32 v4, v4, v6
	v_add_nc_u32_e32 v5, v5, v10
	s_delay_alu instid0(VALU_DEP_4)
	v_add_nc_u32_e32 v6, v7, v8
.LBB61_2:                               ; =>This Inner Loop Header: Depth=1
	v_sub_nc_u32_e32 v7, 0, v1
	v_ashrrev_i32_e32 v8, 31, v1
	s_delay_alu instid0(VALU_DEP_2) | instskip(NEXT) | instid1(VALU_DEP_2)
	v_max_i32_e32 v7, v1, v7
	v_xor_b32_e32 v9, s36, v8
	v_xor_b32_e32 v10, s39, v8
	;; [unrolled: 1-line block ×3, first 2 shown]
	s_delay_alu instid0(VALU_DEP_4) | instskip(SKIP_1) | instid1(VALU_DEP_2)
	v_mul_hi_u32 v11, v7, v0
	v_mul_hi_u32 v12, v7, v3
	v_mul_lo_u32 v14, v11, s3
	s_delay_alu instid0(VALU_DEP_2) | instskip(SKIP_2) | instid1(VALU_DEP_4)
	v_mul_lo_u32 v15, v12, s30
	v_add_nc_u32_e32 v16, 1, v11
	v_add_nc_u32_e32 v17, 1, v12
	v_sub_nc_u32_e32 v14, v7, v14
	s_delay_alu instid0(VALU_DEP_4) | instskip(NEXT) | instid1(VALU_DEP_2)
	v_sub_nc_u32_e32 v15, v7, v15
	v_subrev_nc_u32_e32 v18, s3, v14
	v_cmp_le_u32_e32 vcc_lo, s3, v14
	s_delay_alu instid0(VALU_DEP_3) | instskip(NEXT) | instid1(VALU_DEP_3)
	v_cmp_le_u32_e64 s0, s30, v15
	v_dual_cndmask_b32 v14, v14, v18 :: v_dual_lshlrev_b32 v13, 2, v9
	v_cndmask_b32_e32 v11, v11, v16, vcc_lo
	v_subrev_nc_u32_e32 v16, s30, v15
	s_delay_alu instid0(VALU_DEP_4) | instskip(NEXT) | instid1(VALU_DEP_4)
	v_cndmask_b32_e64 v12, v12, v17, s0
	v_cmp_le_u32_e32 vcc_lo, s3, v14
	s_delay_alu instid0(VALU_DEP_3) | instskip(NEXT) | instid1(VALU_DEP_3)
	v_cndmask_b32_e64 v15, v15, v16, s0
	v_add_nc_u32_e32 v16, 1, v12
	v_add_nc_u32_e32 v17, 1, v11
	s_delay_alu instid0(VALU_DEP_1) | instskip(NEXT) | instid1(VALU_DEP_4)
	v_cndmask_b32_e32 v11, v11, v17, vcc_lo
	v_cmp_le_u32_e32 vcc_lo, s30, v15
	s_delay_alu instid0(VALU_DEP_2) | instskip(SKIP_1) | instid1(VALU_DEP_2)
	v_xor_b32_e32 v23, v11, v9
	v_cndmask_b32_e32 v12, v12, v16, vcc_lo
	v_sub_nc_u32_e32 v24, v23, v9
	s_delay_alu instid0(VALU_DEP_2) | instskip(SKIP_2) | instid1(VALU_DEP_4)
	v_xor_b32_e32 v11, v12, v10
	v_lshlrev_b32_e32 v12, 2, v23
	v_lshlrev_b32_e32 v9, 1, v9
	v_mul_lo_u32 v15, s43, v24
	s_delay_alu instid0(VALU_DEP_4) | instskip(NEXT) | instid1(VALU_DEP_4)
	v_sub_nc_u32_e32 v14, v11, v10
	v_sub_nc_u32_e32 v12, v12, v13
	s_delay_alu instid0(VALU_DEP_2) | instskip(NEXT) | instid1(VALU_DEP_2)
	v_mad_u64_u32 v[10:11], null, s45, v14, v[1:2]
	v_or_b32_e32 v11, 1, v12
	v_add_nc_u32_e32 v17, v1, v15
	v_or_b32_e32 v13, 2, v12
	v_or_b32_e32 v16, 3, v12
	v_add_nc_u32_e32 v12, 4, v12
	v_mul_lo_u32 v18, s4, v11
	v_mul_lo_u32 v10, v10, s13
	v_ashrrev_i32_e32 v17, 31, v17
	v_mul_lo_u32 v13, s4, v13
	v_mul_lo_u32 v19, s4, v12
	;; [unrolled: 1-line block ×3, first 2 shown]
	v_mad_u64_u32 v[11:12], null, v14, s12, v[10:11]
	v_add3_u32 v10, v17, v15, v1
	v_add_nc_u32_e32 v12, v1, v18
	v_xor_b32_e32 v14, s38, v17
	v_add_nc_u32_e32 v20, v1, v13
	v_add_nc_u32_e32 v22, v1, v19
	v_xor_b32_e32 v17, v10, v17
	v_ashrrev_i32_e32 v25, 31, v12
	v_ashrrev_i32_e32 v12, 31, v11
	;; [unrolled: 1-line block ×4, first 2 shown]
	v_mul_hi_u32 v26, v17, v2
	v_add3_u32 v28, v25, v18, v1
	v_lshlrev_b64 v[10:11], 1, v[11:12]
	v_xor_b32_e32 v27, s38, v25
	v_add3_u32 v30, v20, v13, v1
	v_xor_b32_e32 v29, s38, v20
	v_xor_b32_e32 v12, v28, v25
	v_add3_u32 v34, v22, v19, v1
	v_mul_lo_u32 v25, v26, s29
	v_add_co_u32 v10, vcc_lo, s10, v10
	v_add_co_ci_u32_e32 v11, vcc_lo, s11, v11, vcc_lo
	v_xor_b32_e32 v20, v30, v20
	v_mul_hi_u32 v30, v12, v2
	v_add_nc_u32_e32 v28, 1, v26
	global_load_u16 v10, v[10:11], off
	v_sub_nc_u32_e32 v11, v17, v25
	v_xor_b32_e32 v33, s38, v22
	v_xor_b32_e32 v22, v34, v22
	s_delay_alu instid0(VALU_DEP_3) | instskip(SKIP_2) | instid1(VALU_DEP_4)
	v_subrev_nc_u32_e32 v42, s29, v11
	v_cmp_le_u32_e32 vcc_lo, s29, v11
	v_mul_lo_u32 v17, v30, s29
	v_mul_hi_u32 v35, v22, v2
	s_delay_alu instid0(VALU_DEP_4) | instskip(NEXT) | instid1(VALU_DEP_3)
	v_dual_cndmask_b32 v26, v26, v28 :: v_dual_cndmask_b32 v11, v11, v42
	v_sub_nc_u32_e32 v12, v12, v17
	s_delay_alu instid0(VALU_DEP_2) | instskip(NEXT) | instid1(VALU_DEP_3)
	v_add_nc_u32_e32 v28, 1, v26
	v_cmp_le_u32_e32 vcc_lo, s29, v11
	v_mul_lo_u32 v40, v35, s29
	v_add_nc_u32_e32 v41, 1, v35
	s_delay_alu instid0(VALU_DEP_4) | instskip(SKIP_2) | instid1(VALU_DEP_3)
	v_cndmask_b32_e32 v11, v26, v28, vcc_lo
	v_cmp_le_u32_e32 vcc_lo, s29, v12
	v_add_nc_u32_e32 v21, v1, v16
	v_xor_b32_e32 v11, v11, v14
	s_delay_alu instid0(VALU_DEP_2) | instskip(NEXT) | instid1(VALU_DEP_2)
	v_ashrrev_i32_e32 v21, 31, v21
	v_sub_nc_u32_e32 v14, v11, v14
	s_delay_alu instid0(VALU_DEP_2) | instskip(SKIP_1) | instid1(VALU_DEP_2)
	v_add3_u32 v32, v21, v16, v1
	v_xor_b32_e32 v31, s38, v21
	v_xor_b32_e32 v21, v32, v21
	v_mul_hi_u32 v32, v20, v2
	s_delay_alu instid0(VALU_DEP_2) | instskip(NEXT) | instid1(VALU_DEP_2)
	v_mul_hi_u32 v34, v21, v2
	v_mul_lo_u32 v36, v32, s29
	v_add_nc_u32_e32 v37, 1, v32
	s_delay_alu instid0(VALU_DEP_3) | instskip(SKIP_1) | instid1(VALU_DEP_4)
	v_mul_lo_u32 v38, v34, s29
	v_add_nc_u32_e32 v39, 1, v34
	v_sub_nc_u32_e32 v17, v20, v36
	s_delay_alu instid0(VALU_DEP_3) | instskip(NEXT) | instid1(VALU_DEP_2)
	v_sub_nc_u32_e32 v20, v21, v38
	v_cmp_le_u32_e64 s0, s29, v17
	v_subrev_nc_u32_e32 v28, s29, v17
	v_sub_nc_u32_e32 v21, v22, v40
	s_delay_alu instid0(VALU_DEP_4) | instskip(NEXT) | instid1(VALU_DEP_4)
	v_cmp_le_u32_e64 s1, s29, v20
	v_cndmask_b32_e64 v26, v32, v37, s0
	s_delay_alu instid0(VALU_DEP_4) | instskip(SKIP_2) | instid1(VALU_DEP_4)
	v_cndmask_b32_e64 v17, v17, v28, s0
	v_subrev_nc_u32_e32 v32, s29, v20
	v_cmp_le_u32_e64 s2, s29, v21
	v_add_nc_u32_e32 v28, 1, v26
	v_add_nc_u32_e32 v25, 1, v30
	s_delay_alu instid0(VALU_DEP_4) | instskip(NEXT) | instid1(VALU_DEP_2)
	v_cndmask_b32_e64 v20, v20, v32, s1
	v_cndmask_b32_e32 v22, v30, v25, vcc_lo
	v_subrev_nc_u32_e32 v25, s29, v12
	v_cndmask_b32_e64 v30, v34, v39, s1
	v_cndmask_b32_e64 v34, v35, v41, s2
	v_subrev_nc_u32_e32 v35, s29, v21
	s_delay_alu instid0(VALU_DEP_4) | instskip(NEXT) | instid1(VALU_DEP_4)
	v_dual_cndmask_b32 v12, v12, v25 :: v_dual_add_nc_u32 v25, 1, v22
	v_add_nc_u32_e32 v32, 1, v30
	s_delay_alu instid0(VALU_DEP_3) | instskip(SKIP_1) | instid1(VALU_DEP_4)
	v_cndmask_b32_e64 v21, v21, v35, s2
	v_add_nc_u32_e32 v35, 1, v34
	v_cmp_le_u32_e32 vcc_lo, s29, v12
	v_cndmask_b32_e32 v11, v22, v25, vcc_lo
	v_cmp_le_u32_e32 vcc_lo, s29, v17
	s_delay_alu instid0(VALU_DEP_2) | instskip(SKIP_2) | instid1(VALU_DEP_3)
	v_xor_b32_e32 v11, v11, v27
	v_cndmask_b32_e32 v12, v26, v28, vcc_lo
	v_cmp_le_u32_e32 vcc_lo, s29, v20
	v_sub_nc_u32_e32 v22, v11, v27
	s_delay_alu instid0(VALU_DEP_3) | instskip(SKIP_3) | instid1(VALU_DEP_4)
	v_xor_b32_e32 v12, v12, v29
	v_cndmask_b32_e32 v17, v30, v32, vcc_lo
	v_cmp_le_u32_e32 vcc_lo, s29, v21
	v_mul_lo_u32 v21, v14, s26
	v_sub_nc_u32_e32 v25, v12, v29
	s_delay_alu instid0(VALU_DEP_4) | instskip(SKIP_2) | instid1(VALU_DEP_3)
	v_xor_b32_e32 v17, v17, v31
	v_cndmask_b32_e32 v20, v34, v35, vcc_lo
	v_mul_lo_u32 v12, v22, s26
	v_sub_nc_u32_e32 v26, v17, v31
	s_delay_alu instid0(VALU_DEP_3) | instskip(SKIP_2) | instid1(VALU_DEP_4)
	v_xor_b32_e32 v20, v20, v33
	v_sub_nc_u32_e32 v11, v15, v21
	v_mul_lo_u32 v15, v25, s26
	v_mul_lo_u32 v17, v26, s26
	s_delay_alu instid0(VALU_DEP_4) | instskip(NEXT) | instid1(VALU_DEP_4)
	v_sub_nc_u32_e32 v27, v20, v33
	v_add_nc_u32_e32 v11, v1, v11
	v_sub_nc_u32_e32 v12, v18, v12
	s_delay_alu instid0(VALU_DEP_3) | instskip(NEXT) | instid1(VALU_DEP_3)
	v_mul_lo_u32 v20, v27, s26
	v_mul_lo_u32 v11, v11, s25
	v_sub_nc_u32_e32 v13, v13, v15
	v_sub_nc_u32_e32 v15, v16, v17
	v_add_nc_u32_e32 v17, v1, v12
	s_delay_alu instid0(VALU_DEP_3) | instskip(SKIP_1) | instid1(VALU_DEP_4)
	v_add_nc_u32_e32 v18, v1, v13
	v_sub_nc_u32_e32 v16, v19, v20
	v_add_nc_u32_e32 v15, v1, v15
	v_mad_u64_u32 v[12:13], null, v14, s24, v[11:12]
	v_mul_lo_u32 v11, v17, s25
	s_delay_alu instid0(VALU_DEP_4) | instskip(SKIP_2) | instid1(VALU_DEP_3)
	v_add_nc_u32_e32 v16, v1, v16
	v_mul_lo_u32 v14, v18, s25
	v_mul_lo_u32 v15, v15, s25
	;; [unrolled: 1-line block ×3, first 2 shown]
	v_ashrrev_i32_e32 v13, 31, v12
	v_mad_u64_u32 v[17:18], null, v22, s24, v[11:12]
	s_delay_alu instid0(VALU_DEP_4) | instskip(NEXT) | instid1(VALU_DEP_3)
	v_mad_u64_u32 v[19:20], null, v25, s24, v[14:15]
	v_lshlrev_b64 v[11:12], 1, v[12:13]
	v_mad_u64_u32 v[21:22], null, v26, s24, v[15:16]
	s_delay_alu instid0(VALU_DEP_4)
	v_mad_u64_u32 v[14:15], null, v27, s24, v[16:17]
	v_ashrrev_i32_e32 v18, 31, v17
	v_ashrrev_i32_e32 v20, 31, v19
	v_add_co_u32 v11, vcc_lo, s16, v11
	v_ashrrev_i32_e32 v22, 31, v21
	v_add_co_ci_u32_e32 v12, vcc_lo, s17, v12, vcc_lo
	s_delay_alu instid0(VALU_DEP_4) | instskip(SKIP_1) | instid1(VALU_DEP_4)
	v_lshlrev_b64 v[19:20], 1, v[19:20]
	v_ashrrev_i32_e32 v15, 31, v14
	v_lshlrev_b64 v[21:22], 1, v[21:22]
	v_lshlrev_b64 v[16:17], 1, v[17:18]
	s_delay_alu instid0(VALU_DEP_3)
	v_lshlrev_b64 v[13:14], 1, v[14:15]
	v_add_co_u32 v18, vcc_lo, s16, v19
	v_add_co_ci_u32_e32 v19, vcc_lo, s17, v20, vcc_lo
	v_add_co_u32 v20, vcc_lo, s16, v21
	v_add_co_ci_u32_e32 v21, vcc_lo, s17, v22, vcc_lo
	v_add_co_u32 v13, vcc_lo, s16, v13
	v_add_co_ci_u32_e32 v14, vcc_lo, s17, v14, vcc_lo
	v_add_co_u32 v15, vcc_lo, s16, v16
	v_add_co_ci_u32_e32 v16, vcc_lo, s17, v17, vcc_lo
	s_clause 0x4
	global_load_u16 v26, v[13:14], off
	global_load_u16 v27, v[18:19], off
	;; [unrolled: 1-line block ×5, first 2 shown]
	v_mul_hi_u32 v11, v7, v6
	s_delay_alu instid0(VALU_DEP_1) | instskip(NEXT) | instid1(VALU_DEP_1)
	v_mul_lo_u32 v12, v11, s35
	v_sub_nc_u32_e32 v7, v7, v12
	s_delay_alu instid0(VALU_DEP_1) | instskip(SKIP_2) | instid1(VALU_DEP_2)
	v_subrev_nc_u32_e32 v12, s35, v7
	v_cmp_le_u32_e32 vcc_lo, s35, v7
	s_waitcnt vmcnt(4)
	v_dual_cndmask_b32 v7, v7, v12 :: v_dual_lshlrev_b32 v26, 16, v26
	v_add_nc_u32_e32 v13, 1, v11
	s_delay_alu instid0(VALU_DEP_1) | instskip(NEXT) | instid1(VALU_DEP_3)
	v_cndmask_b32_e32 v11, v11, v13, vcc_lo
	v_cmp_le_u32_e32 vcc_lo, s35, v7
	v_mul_lo_u32 v13, s44, v24
	s_delay_alu instid0(VALU_DEP_3) | instskip(NEXT) | instid1(VALU_DEP_1)
	v_add_nc_u32_e32 v12, 1, v11
	v_cndmask_b32_e32 v7, v11, v12, vcc_lo
	v_lshlrev_b32_e32 v11, 1, v23
	s_delay_alu instid0(VALU_DEP_2) | instskip(NEXT) | instid1(VALU_DEP_2)
	v_xor_b32_e32 v7, v7, v8
	v_sub_nc_u32_e32 v9, v11, v9
	v_add_nc_u32_e32 v11, v1, v13
	s_delay_alu instid0(VALU_DEP_3) | instskip(NEXT) | instid1(VALU_DEP_2)
	v_sub_nc_u32_e32 v12, v7, v8
	v_ashrrev_i32_e32 v11, 31, v11
	s_delay_alu instid0(VALU_DEP_2) | instskip(SKIP_2) | instid1(VALU_DEP_4)
	v_mad_u64_u32 v[7:8], null, s46, v12, v[1:2]
	v_or_b32_e32 v8, 1, v9
	v_add_nc_u32_e32 v9, 2, v9
	v_xor_b32_e32 v17, s41, v11
	s_delay_alu instid0(VALU_DEP_3) | instskip(SKIP_1) | instid1(VALU_DEP_4)
	v_mul_lo_u32 v14, s4, v8
	v_mul_lo_u32 v7, v7, s23
	;; [unrolled: 1-line block ×3, first 2 shown]
	s_delay_alu instid0(VALU_DEP_2) | instskip(SKIP_2) | instid1(VALU_DEP_4)
	v_mad_u64_u32 v[8:9], null, v12, s22, v[7:8]
	v_add3_u32 v7, v11, v13, v1
	v_add_nc_u32_e32 v9, v1, v14
	v_add_nc_u32_e32 v16, v1, v15
	v_xor_b32_e32 v12, s40, v11
	s_delay_alu instid0(VALU_DEP_4) | instskip(NEXT) | instid1(VALU_DEP_4)
	v_xor_b32_e32 v11, v7, v11
	v_ashrrev_i32_e32 v18, 31, v9
	s_delay_alu instid0(VALU_DEP_4) | instskip(SKIP_1) | instid1(VALU_DEP_4)
	v_ashrrev_i32_e32 v16, 31, v16
	v_ashrrev_i32_e32 v9, 31, v8
	v_mul_hi_u32 v19, v11, v4
	v_mul_hi_u32 v24, v11, v5
	v_add3_u32 v21, v18, v14, v1
	v_add3_u32 v23, v16, v15, v1
	v_xor_b32_e32 v20, s40, v18
	v_xor_b32_e32 v22, s40, v16
	v_xor_b32_e32 v25, s41, v18
	v_xor_b32_e32 v31, s41, v16
	v_lshlrev_b64 v[7:8], 1, v[8:9]
	v_xor_b32_e32 v9, v21, v18
	v_xor_b32_e32 v16, v23, v16
	v_mul_lo_u32 v18, v19, s33
	v_mul_lo_u32 v23, v24, s34
	v_add_nc_u32_e32 v21, 1, v19
	v_add_co_u32 v7, vcc_lo, s14, v7
	v_add_co_ci_u32_e32 v8, vcc_lo, s15, v8, vcc_lo
	v_mul_hi_u32 v33, v9, v4
	v_sub_nc_u32_e32 v18, v11, v18
	v_sub_nc_u32_e32 v11, v11, v23
	v_mul_hi_u32 v35, v9, v5
	v_add_nc_u32_e32 v32, 1, v24
	v_mul_hi_u32 v34, v16, v4
	v_cmp_le_u32_e32 vcc_lo, s33, v18
	v_cmp_le_u32_e64 s0, s34, v11
	v_mul_lo_u32 v23, v33, s33
	v_subrev_nc_u32_e32 v44, s33, v18
	v_mul_hi_u32 v36, v16, v5
	v_cndmask_b32_e32 v19, v19, v21, vcc_lo
	v_cndmask_b32_e64 v21, v24, v32, s0
	v_subrev_nc_u32_e32 v24, s34, v11
	v_mul_lo_u32 v40, v35, s34
	v_add_nc_u32_e32 v41, 1, v35
	v_sub_nc_u32_e32 v23, v9, v23
	v_mul_lo_u32 v38, v34, s33
	v_cndmask_b32_e64 v11, v11, v24, s0
	v_add_nc_u32_e32 v24, 1, v21
	v_cndmask_b32_e32 v18, v18, v44, vcc_lo
	v_mul_lo_u32 v42, v36, s34
	v_sub_nc_u32_e32 v9, v9, v40
	v_cmp_le_u32_e64 s1, s34, v11
	v_add_nc_u32_e32 v37, 1, v33
	v_sub_nc_u32_e32 v38, v16, v38
	v_cmp_le_u32_e32 vcc_lo, s33, v18
	v_add_nc_u32_e32 v39, 1, v34
	v_cndmask_b32_e64 v11, v21, v24, s1
	v_cmp_le_u32_e64 s1, s34, v9
	v_subrev_nc_u32_e32 v24, s34, v9
	v_cmp_le_u32_e64 s0, s33, v38
	v_sub_nc_u32_e32 v16, v16, v42
	v_add_nc_u32_e32 v43, 1, v36
	v_cndmask_b32_e64 v21, v35, v41, s1
	v_cndmask_b32_e64 v9, v9, v24, s1
	v_xor_b32_e32 v11, v11, v17
	v_cmp_le_u32_e64 s2, s34, v16
	s_delay_alu instid0(VALU_DEP_4) | instskip(SKIP_1) | instid1(VALU_DEP_4)
	v_add_nc_u32_e32 v24, 1, v21
	v_add_nc_u32_e32 v32, 1, v19
	v_sub_nc_u32_e32 v17, v11, v17
	s_delay_alu instid0(VALU_DEP_4) | instskip(SKIP_1) | instid1(VALU_DEP_4)
	v_cndmask_b32_e64 v35, v36, v43, s2
	v_subrev_nc_u32_e32 v36, s34, v16
	v_cndmask_b32_e32 v18, v19, v32, vcc_lo
	v_cmp_le_u32_e32 vcc_lo, s33, v23
	v_subrev_nc_u32_e32 v32, s33, v23
	s_delay_alu instid0(VALU_DEP_4)
	v_cndmask_b32_e64 v16, v16, v36, s2
	v_add_nc_u32_e32 v36, 1, v35
	v_xor_b32_e32 v18, v18, v12
	v_cndmask_b32_e32 v19, v33, v37, vcc_lo
	v_cndmask_b32_e64 v33, v34, v39, s0
	v_subrev_nc_u32_e32 v34, s33, v38
	v_cndmask_b32_e32 v23, v23, v32, vcc_lo
	v_sub_nc_u32_e32 v18, v18, v12
	v_add_nc_u32_e32 v32, 1, v19
	v_add_nc_u32_e32 v37, 1, v33
	v_cndmask_b32_e64 v34, v38, v34, s0
	v_cmp_le_u32_e32 vcc_lo, s33, v23
	s_delay_alu instid0(VALU_DEP_4) | instskip(NEXT) | instid1(VALU_DEP_3)
	v_cndmask_b32_e32 v12, v19, v32, vcc_lo
	v_cmp_le_u32_e32 vcc_lo, s33, v34
	s_delay_alu instid0(VALU_DEP_2) | instskip(SKIP_2) | instid1(VALU_DEP_3)
	v_xor_b32_e32 v12, v12, v20
	v_cndmask_b32_e32 v19, v33, v37, vcc_lo
	v_cmp_le_u32_e32 vcc_lo, s34, v9
	v_sub_nc_u32_e32 v20, v12, v20
	s_delay_alu instid0(VALU_DEP_3)
	v_xor_b32_e32 v19, v19, v22
	v_cndmask_b32_e32 v9, v21, v24, vcc_lo
	v_cmp_le_u32_e32 vcc_lo, s34, v16
	v_mul_lo_u32 v16, v18, s27
	v_mul_lo_u32 v21, v17, s28
	v_sub_nc_u32_e32 v22, v19, v22
	v_xor_b32_e32 v9, v9, v25
	v_cndmask_b32_e32 v11, v35, v36, vcc_lo
	v_mul_lo_u32 v12, v20, s27
	s_delay_alu instid0(VALU_DEP_3) | instskip(NEXT) | instid1(VALU_DEP_3)
	v_sub_nc_u32_e32 v24, v9, v25
	v_xor_b32_e32 v11, v11, v31
	v_sub_nc_u32_e32 v9, v13, v16
	s_delay_alu instid0(VALU_DEP_3) | instskip(NEXT) | instid1(VALU_DEP_3)
	v_mul_lo_u32 v16, v24, s28
	v_sub_nc_u32_e32 v31, v11, v31
	v_sub_nc_u32_e32 v11, v13, v21
	v_mul_lo_u32 v13, v22, s27
	v_add_nc_u32_e32 v9, v1, v9
	v_sub_nc_u32_e32 v12, v14, v12
	v_mul_lo_u32 v19, v31, s28
	v_add_nc_u32_e32 v11, v1, v11
	;; [unrolled: 3-line block ×4, first 2 shown]
	v_sub_nc_u32_e32 v15, v15, v19
	s_delay_alu instid0(VALU_DEP_4) | instskip(SKIP_2) | instid1(VALU_DEP_4)
	v_add_nc_u32_e32 v19, v1, v13
	v_mad_u64_u32 v[12:13], null, v18, s18, v[9:10]
	v_mul_lo_u32 v9, v16, s19
	v_add_nc_u32_e32 v23, v1, v15
	v_mul_lo_u32 v16, v21, s9
	v_add_nc_u32_e32 v1, s31, v1
	v_mad_u64_u32 v[14:15], null, v17, s8, v[11:12]
	v_mul_lo_u32 v11, v19, s19
	v_mul_lo_u32 v17, v23, s9
	v_mad_u64_u32 v[18:19], null, v20, s18, v[9:10]
	v_ashrrev_i32_e32 v13, 31, v12
	v_lshlrev_b32_e32 v9, 16, v10
	v_ashrrev_i32_e32 v15, 31, v14
	v_cmp_le_i32_e32 vcc_lo, s5, v1
	v_mad_u64_u32 v[20:21], null, v22, s18, v[11:12]
	v_mad_u64_u32 v[22:23], null, v24, s8, v[16:17]
	;; [unrolled: 1-line block ×3, first 2 shown]
	v_ashrrev_i32_e32 v19, 31, v18
	v_lshlrev_b64 v[11:12], 1, v[12:13]
	v_ashrrev_i32_e32 v21, 31, v20
	v_lshlrev_b64 v[13:14], 1, v[14:15]
	;; [unrolled: 2-line block ×4, first 2 shown]
	s_or_b32 s37, vcc_lo, s37
	v_lshlrev_b64 v[19:20], 1, v[22:23]
	s_waitcnt vmcnt(2)
	v_lshlrev_b32_e32 v23, 16, v28
	v_lshlrev_b64 v[21:22], 1, v[24:25]
	s_waitcnt vmcnt(1)
	v_lshlrev_b32_e32 v24, 16, v29
	v_lshlrev_b32_e32 v10, 16, v27
	v_add_co_u32 v11, vcc_lo, s6, v11
	v_add_co_ci_u32_e32 v12, vcc_lo, s7, v12, vcc_lo
	s_delay_alu instid0(VALU_DEP_3) | instskip(SKIP_2) | instid1(VALU_DEP_3)
	v_sub_f32_e32 v23, v23, v10
	v_dual_sub_f32 v27, 1.0, v24 :: v_dual_mul_f32 v28, v24, v9
	v_add_co_u32 v13, vcc_lo, s20, v13
	v_mul_f32_e32 v23, v23, v9
	s_delay_alu instid0(VALU_DEP_3)
	v_mul_f32_e32 v9, v27, v9
	s_waitcnt vmcnt(0)
	v_lshlrev_b32_e32 v25, 16, v30
	v_add_co_ci_u32_e32 v14, vcc_lo, s21, v14, vcc_lo
	v_mul_f32_e32 v23, v27, v23
	v_add_co_u32 v15, vcc_lo, s6, v15
	v_add_co_ci_u32_e32 v16, vcc_lo, s7, v16, vcc_lo
	s_delay_alu instid0(VALU_DEP_3) | instskip(SKIP_4) | instid1(VALU_DEP_4)
	v_mul_f32_e32 v23, v23, v24
	v_fma_f32 v10, -v10, v10, 1.0
	v_sub_f32_e32 v29, 1.0, v25
	v_bfe_u32 v30, v28, 16, 1
	v_add_co_u32 v17, vcc_lo, s6, v17
	v_mul_f32_e32 v9, v10, v9
	v_add_co_ci_u32_e32 v18, vcc_lo, s7, v18, vcc_lo
	v_add_co_u32 v19, vcc_lo, s20, v19
	s_delay_alu instid0(VALU_DEP_3)
	v_mul_f32_e32 v24, v9, v26
	v_add3_u32 v10, v28, v30, 0x7fff
	v_mul_f32_e32 v26, v9, v25
	v_bfe_u32 v27, v9, 16, 1
	v_add_co_ci_u32_e32 v20, vcc_lo, s21, v20, vcc_lo
	v_mul_f32_e32 v24, v29, v24
	v_add_co_u32 v21, vcc_lo, s20, v21
	v_add_co_ci_u32_e32 v22, vcc_lo, s21, v22, vcc_lo
	v_lshrrev_b32_e32 v10, 16, v10
	v_cmp_o_f32_e32 vcc_lo, v28, v28
	v_bfe_u32 v28, v23, 16, 1
	v_add3_u32 v27, v9, v27, 0x7fff
	v_bfe_u32 v29, v26, 16, 1
	v_mul_f32_e32 v24, v24, v25
	v_cndmask_b32_e32 v10, 0x7fc0, v10, vcc_lo
	v_add3_u32 v25, v23, v28, 0x7fff
	v_lshrrev_b32_e32 v27, 16, v27
	v_add3_u32 v28, v26, v29, 0x7fff
	v_cmp_o_f32_e32 vcc_lo, v9, v9
	v_bfe_u32 v9, v24, 16, 1
	v_lshrrev_b32_e32 v25, 16, v25
	v_cmp_o_f32_e64 s0, v23, v23
	v_lshrrev_b32_e32 v28, 16, v28
	v_cndmask_b32_e32 v27, 0x7fc0, v27, vcc_lo
	v_cmp_o_f32_e32 vcc_lo, v26, v26
	v_add3_u32 v9, v24, v9, 0x7fff
	v_cndmask_b32_e64 v23, 0x7fc0, v25, s0
	v_cndmask_b32_e32 v25, 0x7fc0, v28, vcc_lo
	s_delay_alu instid0(VALU_DEP_3) | instskip(SKIP_1) | instid1(VALU_DEP_2)
	v_lshrrev_b32_e32 v9, 16, v9
	v_cmp_o_f32_e32 vcc_lo, v24, v24
	v_cndmask_b32_e32 v9, 0x7fc0, v9, vcc_lo
	s_clause 0x2
	global_store_b16 v[11:12], v9, off
	global_store_b16 v[15:16], v23, off
	global_store_b16 v[17:18], v27, off
	s_clause 0x2
	global_store_b16 v[13:14], v9, off
	global_store_b16 v[19:20], v23, off
	;; [unrolled: 1-line block ×4, first 2 shown]
	s_and_not1_b32 exec_lo, exec_lo, s37
	s_cbranch_execnz .LBB61_2
.LBB61_3:
	s_nop 0
	s_sendmsg sendmsg(MSG_DEALLOC_VGPRS)
	s_endpgm
	.section	.rodata,"a",@progbits
	.p2align	6, 0x0
	.amdhsa_kernel _ZN2at6native12_GLOBAL__N_16kernel17gru_cell_backwardIN3c108BFloat16EfiLi2EEEvNS_4cuda6detail10TensorInfoIT_T1_EESB_SB_SB_SB_SA_SA_
		.amdhsa_group_segment_fixed_size 0
		.amdhsa_private_segment_fixed_size 0
		.amdhsa_kernarg_size 1344
		.amdhsa_user_sgpr_count 15
		.amdhsa_user_sgpr_dispatch_ptr 0
		.amdhsa_user_sgpr_queue_ptr 0
		.amdhsa_user_sgpr_kernarg_segment_ptr 1
		.amdhsa_user_sgpr_dispatch_id 0
		.amdhsa_user_sgpr_private_segment_size 0
		.amdhsa_wavefront_size32 1
		.amdhsa_uses_dynamic_stack 0
		.amdhsa_enable_private_segment 0
		.amdhsa_system_sgpr_workgroup_id_x 1
		.amdhsa_system_sgpr_workgroup_id_y 0
		.amdhsa_system_sgpr_workgroup_id_z 0
		.amdhsa_system_sgpr_workgroup_info 0
		.amdhsa_system_vgpr_workitem_id 0
		.amdhsa_next_free_vgpr 45
		.amdhsa_next_free_sgpr 47
		.amdhsa_reserve_vcc 1
		.amdhsa_float_round_mode_32 0
		.amdhsa_float_round_mode_16_64 0
		.amdhsa_float_denorm_mode_32 3
		.amdhsa_float_denorm_mode_16_64 3
		.amdhsa_dx10_clamp 1
		.amdhsa_ieee_mode 1
		.amdhsa_fp16_overflow 0
		.amdhsa_workgroup_processor_mode 1
		.amdhsa_memory_ordered 1
		.amdhsa_forward_progress 0
		.amdhsa_shared_vgpr_count 0
		.amdhsa_exception_fp_ieee_invalid_op 0
		.amdhsa_exception_fp_denorm_src 0
		.amdhsa_exception_fp_ieee_div_zero 0
		.amdhsa_exception_fp_ieee_overflow 0
		.amdhsa_exception_fp_ieee_underflow 0
		.amdhsa_exception_fp_ieee_inexact 0
		.amdhsa_exception_int_div_zero 0
	.end_amdhsa_kernel
	.section	.text._ZN2at6native12_GLOBAL__N_16kernel17gru_cell_backwardIN3c108BFloat16EfiLi2EEEvNS_4cuda6detail10TensorInfoIT_T1_EESB_SB_SB_SB_SA_SA_,"axG",@progbits,_ZN2at6native12_GLOBAL__N_16kernel17gru_cell_backwardIN3c108BFloat16EfiLi2EEEvNS_4cuda6detail10TensorInfoIT_T1_EESB_SB_SB_SB_SA_SA_,comdat
.Lfunc_end61:
	.size	_ZN2at6native12_GLOBAL__N_16kernel17gru_cell_backwardIN3c108BFloat16EfiLi2EEEvNS_4cuda6detail10TensorInfoIT_T1_EESB_SB_SB_SB_SA_SA_, .Lfunc_end61-_ZN2at6native12_GLOBAL__N_16kernel17gru_cell_backwardIN3c108BFloat16EfiLi2EEEvNS_4cuda6detail10TensorInfoIT_T1_EESB_SB_SB_SB_SA_SA_
                                        ; -- End function
	.section	.AMDGPU.csdata,"",@progbits
; Kernel info:
; codeLenInByte = 3240
; NumSgprs: 49
; NumVgprs: 45
; ScratchSize: 0
; MemoryBound: 0
; FloatMode: 240
; IeeeMode: 1
; LDSByteSize: 0 bytes/workgroup (compile time only)
; SGPRBlocks: 6
; VGPRBlocks: 5
; NumSGPRsForWavesPerEU: 49
; NumVGPRsForWavesPerEU: 45
; Occupancy: 16
; WaveLimiterHint : 1
; COMPUTE_PGM_RSRC2:SCRATCH_EN: 0
; COMPUTE_PGM_RSRC2:USER_SGPR: 15
; COMPUTE_PGM_RSRC2:TRAP_HANDLER: 0
; COMPUTE_PGM_RSRC2:TGID_X_EN: 1
; COMPUTE_PGM_RSRC2:TGID_Y_EN: 0
; COMPUTE_PGM_RSRC2:TGID_Z_EN: 0
; COMPUTE_PGM_RSRC2:TIDIG_COMP_CNT: 0
	.section	.text._ZN2at6native12_GLOBAL__N_16kernel17gru_cell_backwardIN3c108BFloat16EflLi1EEEvNS_4cuda6detail10TensorInfoIT_T1_EESB_SB_SB_SB_SA_SA_,"axG",@progbits,_ZN2at6native12_GLOBAL__N_16kernel17gru_cell_backwardIN3c108BFloat16EflLi1EEEvNS_4cuda6detail10TensorInfoIT_T1_EESB_SB_SB_SB_SA_SA_,comdat
	.globl	_ZN2at6native12_GLOBAL__N_16kernel17gru_cell_backwardIN3c108BFloat16EflLi1EEEvNS_4cuda6detail10TensorInfoIT_T1_EESB_SB_SB_SB_SA_SA_ ; -- Begin function _ZN2at6native12_GLOBAL__N_16kernel17gru_cell_backwardIN3c108BFloat16EflLi1EEEvNS_4cuda6detail10TensorInfoIT_T1_EESB_SB_SB_SB_SA_SA_
	.p2align	8
	.type	_ZN2at6native12_GLOBAL__N_16kernel17gru_cell_backwardIN3c108BFloat16EflLi1EEEvNS_4cuda6detail10TensorInfoIT_T1_EESB_SB_SB_SB_SA_SA_,@function
_ZN2at6native12_GLOBAL__N_16kernel17gru_cell_backwardIN3c108BFloat16EflLi1EEEvNS_4cuda6detail10TensorInfoIT_T1_EESB_SB_SB_SB_SA_SA_: ; @_ZN2at6native12_GLOBAL__N_16kernel17gru_cell_backwardIN3c108BFloat16EflLi1EEEvNS_4cuda6detail10TensorInfoIT_T1_EESB_SB_SB_SB_SA_SA_
; %bb.0:
	s_clause 0x1
	s_load_b32 s8, s[0:1], 0x83c
	s_load_b128 s[4:7], s[0:1], 0x820
	v_mov_b32_e32 v1, 0
	s_add_u32 s2, s0, 0x830
	s_addc_u32 s3, s1, 0
	s_waitcnt lgkmcnt(0)
	s_and_b32 s22, s8, 0xffff
	s_mov_b32 s8, exec_lo
	v_mad_u64_u32 v[3:4], null, s15, s22, v[0:1]
	v_mov_b32_e32 v4, v1
	s_delay_alu instid0(VALU_DEP_1)
	v_cmpx_gt_i64_e64 s[6:7], v[3:4]
	s_cbranch_execz .LBB62_7
; %bb.1:
	s_clause 0x1
	s_load_b64 s[24:25], s[0:1], 0x410
	s_load_b64 s[26:27], s[0:1], 0x5b0
	v_cvt_f32_u32_e32 v0, s4
	s_load_b32 s23, s[2:3], 0x0
	s_clause 0x7
	s_load_b64 s[34:35], s[0:1], 0x4e0
	s_load_b64 s[2:3], s[0:1], 0x0
	;; [unrolled: 1-line block ×8, first 2 shown]
	s_mov_b32 s1, 0
	s_lshl_b64 s[18:19], s[4:5], 2
	v_rcp_iflag_f32_e32 v0, v0
	s_lshl_b64 s[20:21], s[4:5], 1
	s_waitcnt lgkmcnt(0)
	s_mul_i32 s30, s23, s22
	s_waitcnt_depctr 0xfff
	v_mul_f32_e32 v0, 0x4f7ffffe, v0
	v_mul_lo_u32 v2, 0, s24
	v_mul_lo_u32 v9, v3, s25
	v_mad_u64_u32 v[5:6], null, v3, s24, 0
	v_mul_lo_u32 v10, 0, s26
	v_mul_lo_u32 v11, v3, s27
	v_mad_u64_u32 v[7:8], null, v3, s26, 0
	v_cvt_u32_f32_e32 v0, v0
	s_mul_i32 s0, s30, s25
	s_sub_i32 s25, 0, s4
	v_add3_u32 v6, v6, v9, v2
	s_mul_hi_u32 s22, s30, s24
	v_mul_lo_u32 v2, s25, v0
	s_delay_alu instid0(VALU_DEP_4)
	v_add3_u32 v8, v8, v11, v10
	s_add_i32 s23, s22, s0
	v_lshlrev_b64 v[5:6], 1, v[5:6]
	s_mul_i32 s22, s30, s24
	s_mul_i32 s0, s30, s27
	v_lshlrev_b64 v[7:8], 1, v[7:8]
	s_mul_hi_u32 s24, s30, s26
	v_mul_hi_u32 v2, v0, v2
	v_add_co_u32 v5, vcc_lo, s28, v5
	v_add_co_ci_u32_e32 v6, vcc_lo, s29, v6, vcc_lo
	s_delay_alu instid0(VALU_DEP_4)
	v_add_co_u32 v7, vcc_lo, s34, v7
	v_add_co_ci_u32_e32 v8, vcc_lo, s35, v8, vcc_lo
	v_add_nc_u32_e32 v0, v0, v2
	s_add_i32 s25, s24, s0
	s_mul_i32 s24, s30, s26
	s_lshl_b64 s[22:23], s[22:23], 1
	s_lshl_b64 s[24:25], s[24:25], 1
	s_ashr_i32 s26, s5, 31
	s_branch .LBB62_3
.LBB62_2:                               ;   in Loop: Header=BB62_3 Depth=1
	s_or_b32 exec_lo, exec_lo, s0
	s_delay_alu instid0(VALU_DEP_1) | instskip(SKIP_3) | instid1(VALU_DEP_4)
	v_lshlrev_b64 v[11:12], 2, v[9:10]
	v_mad_u64_u32 v[13:14], null, s18, v9, v[3:4]
	v_mul_lo_u32 v2, s18, v10
	v_mul_lo_u32 v17, s19, v9
	v_or_b32_e32 v18, 1, v11
	v_mul_lo_u32 v22, s4, v12
	v_or_b32_e32 v19, 2, v11
	v_add_co_u32 v21, vcc_lo, v11, 4
	s_delay_alu instid0(VALU_DEP_4)
	v_mul_lo_u32 v20, s5, v18
	v_mad_u64_u32 v[15:16], null, s4, v18, v[3:4]
	v_add3_u32 v2, v17, v14, v2
	v_add_co_ci_u32_e32 v12, vcc_lo, 0, v12, vcc_lo
	v_mul_lo_u32 v24, s5, v19
	v_mul_lo_u32 v23, v13, s17
	;; [unrolled: 1-line block ×3, first 2 shown]
	v_add3_u32 v14, v20, v16, v22
	v_mul_lo_u32 v20, v15, s17
	v_mad_u64_u32 v[16:17], null, v15, s16, 0
	v_mul_lo_u32 v26, s4, v12
	s_delay_alu instid0(VALU_DEP_4)
	v_mul_lo_u32 v25, v14, s16
	v_mad_u64_u32 v[14:15], null, s4, v19, v[3:4]
	v_mad_u64_u32 v[18:19], null, v13, s16, 0
	v_or_b32_e32 v13, 3, v11
	v_mad_u64_u32 v[11:12], null, s4, v21, v[3:4]
	v_mul_lo_u32 v2, v2, s16
	v_add3_u32 v15, v24, v15, v22
	v_add3_u32 v17, v17, v20, v25
	v_mul_lo_u32 v24, s5, v13
	v_mad_u64_u32 v[20:21], null, s4, v13, v[3:4]
	s_delay_alu instid0(VALU_DEP_4)
	v_mul_lo_u32 v25, v15, s16
	v_mul_lo_u32 v28, v14, s17
	v_add3_u32 v26, v27, v12, v26
	v_mad_u64_u32 v[12:13], null, v14, s16, 0
	v_add3_u32 v19, v19, v23, v2
	v_add3_u32 v2, v24, v21, v22
	v_lshlrev_b64 v[14:15], 1, v[16:17]
	v_mul_lo_u32 v23, v26, s16
	v_mul_lo_u32 v24, v11, s17
	v_mad_u64_u32 v[16:17], null, v11, s16, 0
	v_add3_u32 v13, v13, v28, v25
	v_mul_lo_u32 v2, v2, s16
	v_mul_lo_u32 v25, v20, s17
	v_mad_u64_u32 v[21:22], null, v20, s16, 0
	s_delay_alu instid0(VALU_DEP_4) | instskip(SKIP_4) | instid1(VALU_DEP_4)
	v_lshlrev_b64 v[11:12], 1, v[12:13]
	v_add3_u32 v17, v17, v24, v23
	v_add_co_u32 v13, vcc_lo, s14, v14
	v_add_co_ci_u32_e32 v14, vcc_lo, s15, v15, vcc_lo
	v_add3_u32 v22, v22, v25, v2
	v_lshlrev_b64 v[15:16], 1, v[16:17]
	v_add_co_u32 v11, vcc_lo, s14, v11
	v_add_co_ci_u32_e32 v12, vcc_lo, s15, v12, vcc_lo
	s_delay_alu instid0(VALU_DEP_4) | instskip(NEXT) | instid1(VALU_DEP_4)
	v_lshlrev_b64 v[20:21], 1, v[21:22]
	v_add_co_u32 v15, vcc_lo, s14, v15
	v_lshlrev_b64 v[18:19], 1, v[18:19]
	v_add_co_ci_u32_e32 v16, vcc_lo, s15, v16, vcc_lo
	global_load_u16 v2, v[13:14], off
	v_add_co_u32 v13, vcc_lo, s14, v20
	v_add_co_ci_u32_e32 v14, vcc_lo, s15, v21, vcc_lo
	global_load_u16 v24, v[5:6], off
	s_clause 0x2
	global_load_u16 v25, v[15:16], off
	global_load_u16 v26, v[11:12], off
	;; [unrolled: 1-line block ×3, first 2 shown]
	v_add_co_u32 v11, vcc_lo, s14, v18
	v_add_co_ci_u32_e32 v12, vcc_lo, s15, v19, vcc_lo
	v_lshlrev_b64 v[13:14], 1, v[9:10]
	v_add_co_u32 v5, vcc_lo, v5, s22
	global_load_u16 v28, v[11:12], off
	v_mad_u64_u32 v[11:12], null, s20, v9, v[3:4]
	v_mul_lo_u32 v15, s20, v10
	v_mul_lo_u32 v9, s21, v9
	v_add_co_ci_u32_e32 v6, vcc_lo, s23, v6, vcc_lo
	v_add_co_u32 v19, vcc_lo, v13, 2
	v_or_b32_e32 v16, 1, v13
	v_add_co_ci_u32_e32 v20, vcc_lo, 0, v14, vcc_lo
	v_mul_lo_u32 v18, s4, v14
	v_add3_u32 v21, v9, v12, v15
	v_mul_lo_u32 v29, v11, s9
	v_mad_u64_u32 v[9:10], null, v11, s8, 0
	v_mul_lo_u32 v30, v11, s13
	v_mad_u64_u32 v[12:13], null, v11, s12, 0
	;; [unrolled: 2-line block ×3, first 2 shown]
	v_mad_u64_u32 v[16:17], null, s4, v19, v[3:4]
	v_mul_lo_u32 v20, s4, v20
	v_mul_lo_u32 v22, s5, v19
	;; [unrolled: 1-line block ×4, first 2 shown]
	v_add3_u32 v11, v11, v15, v18
	v_mul_lo_u32 v33, v14, s9
	v_mad_u64_u32 v[18:19], null, v14, s8, 0
	v_mul_lo_u32 v34, v16, s9
	v_add3_u32 v17, v22, v17, v20
	v_mad_u64_u32 v[20:21], null, v16, s8, 0
	v_mul_lo_u32 v35, v14, s13
	v_mad_u64_u32 v[22:23], null, v14, s12, 0
	v_mul_lo_u32 v36, v16, s13
	v_add3_u32 v10, v10, v29, v31
	v_mad_u64_u32 v[14:15], null, v16, s12, 0
	v_add3_u32 v13, v13, v30, v32
	v_mul_lo_u32 v16, v11, s8
	v_mul_lo_u32 v29, v17, s8
	;; [unrolled: 1-line block ×4, first 2 shown]
	v_lshlrev_b64 v[9:10], 1, v[9:10]
	v_lshlrev_b64 v[11:12], 1, v[12:13]
	v_add_co_u32 v3, vcc_lo, v3, s30
	v_add3_u32 v19, v19, v33, v16
	v_add3_u32 v21, v21, v34, v29
	;; [unrolled: 1-line block ×4, first 2 shown]
	v_add_co_u32 v9, s0, s2, v9
	v_lshlrev_b64 v[16:17], 1, v[18:19]
	v_lshlrev_b64 v[18:19], 1, v[20:21]
	;; [unrolled: 1-line block ×3, first 2 shown]
	v_add_co_ci_u32_e64 v10, s0, s3, v10, s0
	v_add_co_u32 v11, s0, s10, v11
	s_delay_alu instid0(VALU_DEP_1) | instskip(SKIP_2) | instid1(VALU_DEP_1)
	v_add_co_ci_u32_e64 v12, s0, s11, v12, s0
	v_lshlrev_b64 v[13:14], 1, v[14:15]
	v_add_co_u32 v15, s0, s2, v16
	v_add_co_ci_u32_e64 v16, s0, s3, v17, s0
	v_add_co_u32 v17, s0, s2, v18
	s_delay_alu instid0(VALU_DEP_1) | instskip(SKIP_1) | instid1(VALU_DEP_1)
	v_add_co_ci_u32_e64 v18, s0, s3, v19, s0
	v_add_co_u32 v19, s0, s10, v20
	v_add_co_ci_u32_e64 v20, s0, s11, v21, s0
	v_add_co_u32 v13, s0, s10, v13
	s_delay_alu instid0(VALU_DEP_1) | instskip(SKIP_1) | instid1(VALU_DEP_1)
	v_add_co_ci_u32_e64 v14, s0, s11, v14, s0
	v_add_co_ci_u32_e32 v4, vcc_lo, 0, v4, vcc_lo
	v_cmp_le_i64_e32 vcc_lo, s[6:7], v[3:4]
	s_or_b32 s1, vcc_lo, s1
	s_waitcnt vmcnt(4)
	v_lshlrev_b32_e32 v24, 16, v24
	v_lshlrev_b32_e32 v2, 16, v2
	s_waitcnt vmcnt(0)
	s_delay_alu instid0(VALU_DEP_1) | instskip(NEXT) | instid1(VALU_DEP_1)
	v_dual_sub_f32 v29, 1.0, v2 :: v_dual_lshlrev_b32 v28, 16, v28
	v_dual_mul_f32 v27, v29, v24 :: v_dual_lshlrev_b32 v22, 16, v27
	v_lshlrev_b32_e32 v26, 16, v26
	s_delay_alu instid0(VALU_DEP_1) | instskip(NEXT) | instid1(VALU_DEP_1)
	v_fma_f32 v23, -v26, v26, 1.0
	v_mul_f32_e32 v23, v23, v27
	v_sub_f32_e32 v27, 1.0, v28
	v_dual_sub_f32 v22, v22, v26 :: v_dual_lshlrev_b32 v25, 16, v25
	v_mul_f32_e32 v26, v2, v24
	s_delay_alu instid0(VALU_DEP_2) | instskip(NEXT) | instid1(VALU_DEP_3)
	v_mul_f32_e32 v22, v22, v24
	v_mul_f32_e32 v24, v23, v25
	s_delay_alu instid0(VALU_DEP_3)
	v_bfe_u32 v21, v26, 16, 1
	v_cmp_o_f32_e64 s0, v26, v26
	v_bfe_u32 v25, v23, 16, 1
	v_mul_f32_e32 v22, v29, v22
	v_mul_f32_e32 v24, v27, v24
	v_add3_u32 v21, v26, v21, 0x7fff
	s_delay_alu instid0(VALU_DEP_4) | instskip(NEXT) | instid1(VALU_DEP_4)
	v_add3_u32 v25, v23, v25, 0x7fff
	v_mul_f32_e32 v2, v22, v2
	s_delay_alu instid0(VALU_DEP_4) | instskip(NEXT) | instid1(VALU_DEP_4)
	v_mul_f32_e32 v24, v24, v28
	v_lshrrev_b32_e32 v21, 16, v21
	v_mul_f32_e32 v22, v23, v28
	v_lshrrev_b32_e32 v25, 16, v25
	v_bfe_u32 v27, v2, 16, 1
	v_bfe_u32 v29, v24, 16, 1
	v_cndmask_b32_e64 v21, 0x7fc0, v21, s0
	v_cmp_o_f32_e64 s0, v2, v2
	v_bfe_u32 v28, v22, 16, 1
	v_add3_u32 v27, v2, v27, 0x7fff
	v_add3_u32 v29, v24, v29, 0x7fff
	s_delay_alu instid0(VALU_DEP_3) | instskip(NEXT) | instid1(VALU_DEP_3)
	v_add3_u32 v28, v22, v28, 0x7fff
	v_lshrrev_b32_e32 v26, 16, v27
	s_delay_alu instid0(VALU_DEP_3) | instskip(NEXT) | instid1(VALU_DEP_3)
	v_lshrrev_b32_e32 v27, 16, v29
	v_lshrrev_b32_e32 v28, 16, v28
	s_delay_alu instid0(VALU_DEP_3) | instskip(SKIP_1) | instid1(VALU_DEP_1)
	v_cndmask_b32_e64 v2, 0x7fc0, v26, s0
	v_cmp_o_f32_e64 s0, v24, v24
	v_cndmask_b32_e64 v24, 0x7fc0, v27, s0
	v_cmp_o_f32_e64 s0, v23, v23
	s_delay_alu instid0(VALU_DEP_1) | instskip(SKIP_1) | instid1(VALU_DEP_1)
	v_cndmask_b32_e64 v23, 0x7fc0, v25, s0
	v_cmp_o_f32_e64 s0, v22, v22
	v_cndmask_b32_e64 v22, 0x7fc0, v28, s0
	s_clause 0x2
	global_store_b16 v[9:10], v24, off
	global_store_b16 v[15:16], v2, off
	;; [unrolled: 1-line block ×3, first 2 shown]
	s_clause 0x2
	global_store_b16 v[11:12], v24, off
	global_store_b16 v[19:20], v2, off
	;; [unrolled: 1-line block ×4, first 2 shown]
	v_add_co_u32 v7, s0, v7, s24
	s_delay_alu instid0(VALU_DEP_1)
	v_add_co_ci_u32_e64 v8, s0, s25, v8, s0
	s_and_not1_b32 exec_lo, exec_lo, s1
	s_cbranch_execz .LBB62_7
.LBB62_3:                               ; =>This Inner Loop Header: Depth=1
	v_or_b32_e32 v2, s5, v4
                                        ; implicit-def: $vgpr9_vgpr10
	s_mov_b32 s0, exec_lo
	s_delay_alu instid0(VALU_DEP_1)
	v_cmpx_ne_u64_e32 0, v[1:2]
	s_xor_b32 s31, exec_lo, s0
	s_cbranch_execz .LBB62_5
; %bb.4:                                ;   in Loop: Header=BB62_3 Depth=1
	s_add_u32 s28, s4, s26
	s_mov_b32 s27, s26
	s_addc_u32 s29, s5, s26
	s_delay_alu instid0(SALU_CYCLE_1) | instskip(NEXT) | instid1(SALU_CYCLE_1)
	s_xor_b64 s[28:29], s[28:29], s[26:27]
	v_cvt_f32_u32_e32 v2, s28
	v_cvt_f32_u32_e32 v9, s29
	s_sub_u32 s0, 0, s28
	s_subb_u32 s27, 0, s29
	s_delay_alu instid0(VALU_DEP_1) | instskip(NEXT) | instid1(VALU_DEP_1)
	v_fmac_f32_e32 v2, 0x4f800000, v9
	v_rcp_f32_e32 v2, v2
	s_waitcnt_depctr 0xfff
	v_mul_f32_e32 v2, 0x5f7ffffc, v2
	s_delay_alu instid0(VALU_DEP_1) | instskip(NEXT) | instid1(VALU_DEP_1)
	v_mul_f32_e32 v9, 0x2f800000, v2
	v_trunc_f32_e32 v9, v9
	s_delay_alu instid0(VALU_DEP_1) | instskip(SKIP_1) | instid1(VALU_DEP_2)
	v_fmac_f32_e32 v2, 0xcf800000, v9
	v_cvt_u32_f32_e32 v9, v9
	v_cvt_u32_f32_e32 v2, v2
	s_delay_alu instid0(VALU_DEP_2) | instskip(NEXT) | instid1(VALU_DEP_2)
	v_mul_lo_u32 v10, s0, v9
	v_mul_hi_u32 v11, s0, v2
	v_mul_lo_u32 v12, s27, v2
	s_delay_alu instid0(VALU_DEP_2) | instskip(SKIP_1) | instid1(VALU_DEP_2)
	v_add_nc_u32_e32 v10, v11, v10
	v_mul_lo_u32 v11, s0, v2
	v_add_nc_u32_e32 v10, v10, v12
	s_delay_alu instid0(VALU_DEP_2) | instskip(NEXT) | instid1(VALU_DEP_2)
	v_mul_hi_u32 v12, v2, v11
	v_mul_lo_u32 v13, v2, v10
	v_mul_hi_u32 v14, v2, v10
	v_mul_hi_u32 v15, v9, v11
	v_mul_lo_u32 v11, v9, v11
	v_mul_hi_u32 v16, v9, v10
	v_mul_lo_u32 v10, v9, v10
	v_add_co_u32 v12, vcc_lo, v12, v13
	v_add_co_ci_u32_e32 v13, vcc_lo, 0, v14, vcc_lo
	s_delay_alu instid0(VALU_DEP_2) | instskip(NEXT) | instid1(VALU_DEP_2)
	v_add_co_u32 v11, vcc_lo, v12, v11
	v_add_co_ci_u32_e32 v11, vcc_lo, v13, v15, vcc_lo
	v_add_co_ci_u32_e32 v12, vcc_lo, 0, v16, vcc_lo
	v_ashrrev_i32_e32 v15, 31, v4
	s_delay_alu instid0(VALU_DEP_3) | instskip(NEXT) | instid1(VALU_DEP_3)
	v_add_co_u32 v10, vcc_lo, v11, v10
	v_add_co_ci_u32_e32 v11, vcc_lo, 0, v12, vcc_lo
	s_delay_alu instid0(VALU_DEP_2) | instskip(NEXT) | instid1(VALU_DEP_2)
	v_add_co_u32 v2, vcc_lo, v2, v10
	v_add_co_ci_u32_e32 v9, vcc_lo, v9, v11, vcc_lo
	s_delay_alu instid0(VALU_DEP_2) | instskip(SKIP_1) | instid1(VALU_DEP_3)
	v_mul_hi_u32 v10, s0, v2
	v_mul_lo_u32 v12, s27, v2
	v_mul_lo_u32 v11, s0, v9
	s_delay_alu instid0(VALU_DEP_1) | instskip(SKIP_1) | instid1(VALU_DEP_2)
	v_add_nc_u32_e32 v10, v10, v11
	v_mul_lo_u32 v11, s0, v2
	v_add_nc_u32_e32 v10, v10, v12
	s_delay_alu instid0(VALU_DEP_2) | instskip(NEXT) | instid1(VALU_DEP_2)
	v_mul_hi_u32 v12, v2, v11
	v_mul_lo_u32 v13, v2, v10
	v_mul_hi_u32 v14, v2, v10
	v_mul_hi_u32 v16, v9, v11
	v_mul_lo_u32 v11, v9, v11
	v_mul_hi_u32 v17, v9, v10
	v_mul_lo_u32 v10, v9, v10
	v_add_co_u32 v12, vcc_lo, v12, v13
	v_add_co_ci_u32_e32 v13, vcc_lo, 0, v14, vcc_lo
	s_delay_alu instid0(VALU_DEP_2) | instskip(NEXT) | instid1(VALU_DEP_2)
	v_add_co_u32 v11, vcc_lo, v12, v11
	v_add_co_ci_u32_e32 v11, vcc_lo, v13, v16, vcc_lo
	v_add_co_ci_u32_e32 v12, vcc_lo, 0, v17, vcc_lo
	v_add_co_u32 v13, vcc_lo, v3, v15
	v_add_co_ci_u32_e32 v14, vcc_lo, v4, v15, vcc_lo
	s_delay_alu instid0(VALU_DEP_4) | instskip(NEXT) | instid1(VALU_DEP_4)
	v_add_co_u32 v10, vcc_lo, v11, v10
	v_add_co_ci_u32_e32 v11, vcc_lo, 0, v12, vcc_lo
	s_delay_alu instid0(VALU_DEP_4) | instskip(NEXT) | instid1(VALU_DEP_3)
	v_xor_b32_e32 v16, v13, v15
	v_add_co_u32 v2, vcc_lo, v2, v10
	s_delay_alu instid0(VALU_DEP_3) | instskip(SKIP_1) | instid1(VALU_DEP_3)
	v_add_co_ci_u32_e32 v17, vcc_lo, v9, v11, vcc_lo
	v_xor_b32_e32 v18, v14, v15
	v_mul_hi_u32 v19, v16, v2
	s_delay_alu instid0(VALU_DEP_3) | instskip(NEXT) | instid1(VALU_DEP_3)
	v_mad_u64_u32 v[9:10], null, v16, v17, 0
	v_mad_u64_u32 v[11:12], null, v18, v2, 0
	;; [unrolled: 1-line block ×3, first 2 shown]
	s_delay_alu instid0(VALU_DEP_3) | instskip(NEXT) | instid1(VALU_DEP_4)
	v_add_co_u32 v2, vcc_lo, v19, v9
	v_add_co_ci_u32_e32 v9, vcc_lo, 0, v10, vcc_lo
	s_delay_alu instid0(VALU_DEP_2) | instskip(NEXT) | instid1(VALU_DEP_2)
	v_add_co_u32 v2, vcc_lo, v2, v11
	v_add_co_ci_u32_e32 v2, vcc_lo, v9, v12, vcc_lo
	v_add_co_ci_u32_e32 v9, vcc_lo, 0, v14, vcc_lo
	s_delay_alu instid0(VALU_DEP_2) | instskip(NEXT) | instid1(VALU_DEP_2)
	v_add_co_u32 v2, vcc_lo, v2, v13
	v_add_co_ci_u32_e32 v11, vcc_lo, 0, v9, vcc_lo
	s_delay_alu instid0(VALU_DEP_2) | instskip(SKIP_1) | instid1(VALU_DEP_3)
	v_mul_lo_u32 v12, s29, v2
	v_mad_u64_u32 v[9:10], null, s28, v2, 0
	v_mul_lo_u32 v13, s28, v11
	s_delay_alu instid0(VALU_DEP_2) | instskip(NEXT) | instid1(VALU_DEP_2)
	v_sub_co_u32 v9, vcc_lo, v16, v9
	v_add3_u32 v10, v10, v13, v12
	s_delay_alu instid0(VALU_DEP_1) | instskip(NEXT) | instid1(VALU_DEP_1)
	v_sub_nc_u32_e32 v12, v18, v10
	v_subrev_co_ci_u32_e64 v12, s0, s29, v12, vcc_lo
	v_add_co_u32 v13, s0, v2, 2
	s_delay_alu instid0(VALU_DEP_1) | instskip(SKIP_3) | instid1(VALU_DEP_3)
	v_add_co_ci_u32_e64 v14, s0, 0, v11, s0
	v_sub_co_u32 v16, s0, v9, s28
	v_sub_co_ci_u32_e32 v10, vcc_lo, v18, v10, vcc_lo
	v_subrev_co_ci_u32_e64 v12, s0, 0, v12, s0
	v_cmp_le_u32_e32 vcc_lo, s28, v16
	s_delay_alu instid0(VALU_DEP_3) | instskip(SKIP_1) | instid1(VALU_DEP_4)
	v_cmp_eq_u32_e64 s0, s29, v10
	v_cndmask_b32_e64 v16, 0, -1, vcc_lo
	v_cmp_le_u32_e32 vcc_lo, s29, v12
	v_cndmask_b32_e64 v17, 0, -1, vcc_lo
	v_cmp_le_u32_e32 vcc_lo, s28, v9
	v_cndmask_b32_e64 v9, 0, -1, vcc_lo
	v_cmp_le_u32_e32 vcc_lo, s29, v10
	v_cndmask_b32_e64 v18, 0, -1, vcc_lo
	v_cmp_eq_u32_e32 vcc_lo, s29, v12
	s_delay_alu instid0(VALU_DEP_2) | instskip(SKIP_3) | instid1(VALU_DEP_3)
	v_cndmask_b32_e64 v9, v18, v9, s0
	v_cndmask_b32_e32 v12, v17, v16, vcc_lo
	v_add_co_u32 v16, vcc_lo, v2, 1
	v_add_co_ci_u32_e32 v17, vcc_lo, 0, v11, vcc_lo
	v_cmp_ne_u32_e32 vcc_lo, 0, v12
	s_delay_alu instid0(VALU_DEP_2) | instskip(NEXT) | instid1(VALU_DEP_4)
	v_cndmask_b32_e32 v10, v17, v14, vcc_lo
	v_cndmask_b32_e32 v12, v16, v13, vcc_lo
	v_cmp_ne_u32_e32 vcc_lo, 0, v9
	v_xor_b32_e32 v13, s26, v15
	s_delay_alu instid0(VALU_DEP_3) | instskip(NEXT) | instid1(VALU_DEP_1)
	v_dual_cndmask_b32 v2, v2, v12 :: v_dual_cndmask_b32 v9, v11, v10
	v_xor_b32_e32 v2, v2, v13
	s_delay_alu instid0(VALU_DEP_2) | instskip(NEXT) | instid1(VALU_DEP_2)
	v_xor_b32_e32 v10, v9, v13
	v_sub_co_u32 v9, vcc_lo, v2, v13
	s_delay_alu instid0(VALU_DEP_2)
	v_sub_co_ci_u32_e32 v10, vcc_lo, v10, v13, vcc_lo
.LBB62_5:                               ;   in Loop: Header=BB62_3 Depth=1
	s_and_not1_saveexec_b32 s0, s31
	s_cbranch_execz .LBB62_2
; %bb.6:                                ;   in Loop: Header=BB62_3 Depth=1
	v_mul_hi_u32 v2, v3, v0
	s_delay_alu instid0(VALU_DEP_1) | instskip(NEXT) | instid1(VALU_DEP_1)
	v_mul_lo_u32 v9, v2, s4
	v_sub_nc_u32_e32 v9, v3, v9
	s_delay_alu instid0(VALU_DEP_1) | instskip(SKIP_1) | instid1(VALU_DEP_2)
	v_subrev_nc_u32_e32 v11, s4, v9
	v_cmp_le_u32_e32 vcc_lo, s4, v9
	v_dual_cndmask_b32 v9, v9, v11 :: v_dual_add_nc_u32 v10, 1, v2
	s_delay_alu instid0(VALU_DEP_1) | instskip(NEXT) | instid1(VALU_DEP_2)
	v_cndmask_b32_e32 v2, v2, v10, vcc_lo
	v_cmp_le_u32_e32 vcc_lo, s4, v9
	s_delay_alu instid0(VALU_DEP_2) | instskip(NEXT) | instid1(VALU_DEP_1)
	v_add_nc_u32_e32 v10, 1, v2
	v_dual_cndmask_b32 v9, v2, v10 :: v_dual_mov_b32 v10, v1
	s_branch .LBB62_2
.LBB62_7:
	s_nop 0
	s_sendmsg sendmsg(MSG_DEALLOC_VGPRS)
	s_endpgm
	.section	.rodata,"a",@progbits
	.p2align	6, 0x0
	.amdhsa_kernel _ZN2at6native12_GLOBAL__N_16kernel17gru_cell_backwardIN3c108BFloat16EflLi1EEEvNS_4cuda6detail10TensorInfoIT_T1_EESB_SB_SB_SB_SA_SA_
		.amdhsa_group_segment_fixed_size 0
		.amdhsa_private_segment_fixed_size 0
		.amdhsa_kernarg_size 2352
		.amdhsa_user_sgpr_count 15
		.amdhsa_user_sgpr_dispatch_ptr 0
		.amdhsa_user_sgpr_queue_ptr 0
		.amdhsa_user_sgpr_kernarg_segment_ptr 1
		.amdhsa_user_sgpr_dispatch_id 0
		.amdhsa_user_sgpr_private_segment_size 0
		.amdhsa_wavefront_size32 1
		.amdhsa_uses_dynamic_stack 0
		.amdhsa_enable_private_segment 0
		.amdhsa_system_sgpr_workgroup_id_x 1
		.amdhsa_system_sgpr_workgroup_id_y 0
		.amdhsa_system_sgpr_workgroup_id_z 0
		.amdhsa_system_sgpr_workgroup_info 0
		.amdhsa_system_vgpr_workitem_id 0
		.amdhsa_next_free_vgpr 37
		.amdhsa_next_free_sgpr 36
		.amdhsa_reserve_vcc 1
		.amdhsa_float_round_mode_32 0
		.amdhsa_float_round_mode_16_64 0
		.amdhsa_float_denorm_mode_32 3
		.amdhsa_float_denorm_mode_16_64 3
		.amdhsa_dx10_clamp 1
		.amdhsa_ieee_mode 1
		.amdhsa_fp16_overflow 0
		.amdhsa_workgroup_processor_mode 1
		.amdhsa_memory_ordered 1
		.amdhsa_forward_progress 0
		.amdhsa_shared_vgpr_count 0
		.amdhsa_exception_fp_ieee_invalid_op 0
		.amdhsa_exception_fp_denorm_src 0
		.amdhsa_exception_fp_ieee_div_zero 0
		.amdhsa_exception_fp_ieee_overflow 0
		.amdhsa_exception_fp_ieee_underflow 0
		.amdhsa_exception_fp_ieee_inexact 0
		.amdhsa_exception_int_div_zero 0
	.end_amdhsa_kernel
	.section	.text._ZN2at6native12_GLOBAL__N_16kernel17gru_cell_backwardIN3c108BFloat16EflLi1EEEvNS_4cuda6detail10TensorInfoIT_T1_EESB_SB_SB_SB_SA_SA_,"axG",@progbits,_ZN2at6native12_GLOBAL__N_16kernel17gru_cell_backwardIN3c108BFloat16EflLi1EEEvNS_4cuda6detail10TensorInfoIT_T1_EESB_SB_SB_SB_SA_SA_,comdat
.Lfunc_end62:
	.size	_ZN2at6native12_GLOBAL__N_16kernel17gru_cell_backwardIN3c108BFloat16EflLi1EEEvNS_4cuda6detail10TensorInfoIT_T1_EESB_SB_SB_SB_SA_SA_, .Lfunc_end62-_ZN2at6native12_GLOBAL__N_16kernel17gru_cell_backwardIN3c108BFloat16EflLi1EEEvNS_4cuda6detail10TensorInfoIT_T1_EESB_SB_SB_SB_SA_SA_
                                        ; -- End function
	.section	.AMDGPU.csdata,"",@progbits
; Kernel info:
; codeLenInByte = 2804
; NumSgprs: 38
; NumVgprs: 37
; ScratchSize: 0
; MemoryBound: 0
; FloatMode: 240
; IeeeMode: 1
; LDSByteSize: 0 bytes/workgroup (compile time only)
; SGPRBlocks: 4
; VGPRBlocks: 4
; NumSGPRsForWavesPerEU: 38
; NumVGPRsForWavesPerEU: 37
; Occupancy: 16
; WaveLimiterHint : 1
; COMPUTE_PGM_RSRC2:SCRATCH_EN: 0
; COMPUTE_PGM_RSRC2:USER_SGPR: 15
; COMPUTE_PGM_RSRC2:TRAP_HANDLER: 0
; COMPUTE_PGM_RSRC2:TGID_X_EN: 1
; COMPUTE_PGM_RSRC2:TGID_Y_EN: 0
; COMPUTE_PGM_RSRC2:TGID_Z_EN: 0
; COMPUTE_PGM_RSRC2:TIDIG_COMP_CNT: 0
	.section	.text._ZN2at6native12_GLOBAL__N_16kernel17gru_cell_backwardIN3c108BFloat16EflLi2EEEvNS_4cuda6detail10TensorInfoIT_T1_EESB_SB_SB_SB_SA_SA_,"axG",@progbits,_ZN2at6native12_GLOBAL__N_16kernel17gru_cell_backwardIN3c108BFloat16EflLi2EEEvNS_4cuda6detail10TensorInfoIT_T1_EESB_SB_SB_SB_SA_SA_,comdat
	.globl	_ZN2at6native12_GLOBAL__N_16kernel17gru_cell_backwardIN3c108BFloat16EflLi2EEEvNS_4cuda6detail10TensorInfoIT_T1_EESB_SB_SB_SB_SA_SA_ ; -- Begin function _ZN2at6native12_GLOBAL__N_16kernel17gru_cell_backwardIN3c108BFloat16EflLi2EEEvNS_4cuda6detail10TensorInfoIT_T1_EESB_SB_SB_SB_SA_SA_
	.p2align	8
	.type	_ZN2at6native12_GLOBAL__N_16kernel17gru_cell_backwardIN3c108BFloat16EflLi2EEEvNS_4cuda6detail10TensorInfoIT_T1_EESB_SB_SB_SB_SA_SA_,@function
_ZN2at6native12_GLOBAL__N_16kernel17gru_cell_backwardIN3c108BFloat16EflLi2EEEvNS_4cuda6detail10TensorInfoIT_T1_EESB_SB_SB_SB_SA_SA_: ; @_ZN2at6native12_GLOBAL__N_16kernel17gru_cell_backwardIN3c108BFloat16EflLi2EEEvNS_4cuda6detail10TensorInfoIT_T1_EESB_SB_SB_SB_SA_SA_
; %bb.0:
	s_clause 0x1
	s_load_b32 s2, s[0:1], 0x83c
	s_load_b128 s[4:7], s[0:1], 0x820
	v_mov_b32_e32 v1, 0
	s_add_u32 s16, s0, 0x830
	s_addc_u32 s17, s1, 0
	s_waitcnt lgkmcnt(0)
	s_and_b32 s33, s2, 0xffff
	s_mov_b32 s2, exec_lo
	v_mad_u64_u32 v[3:4], null, s15, s33, v[0:1]
	v_mov_b32_e32 v4, v1
	s_delay_alu instid0(VALU_DEP_1)
	v_cmpx_gt_i64_e64 s[6:7], v[3:4]
	s_cbranch_execz .LBB63_59
; %bb.1:
	v_cvt_f32_u32_e32 v0, s4
	s_clause 0x5
	s_load_b64 s[2:3], s[0:1], 0x0
	s_load_b64 s[28:29], s[0:1], 0x10
	s_load_b128 s[8:11], s[0:1], 0xd0
	s_load_b64 s[30:31], s[0:1], 0x1a0
	s_load_b64 s[34:35], s[0:1], 0x1b0
	s_load_b128 s[12:15], s[0:1], 0x270
	s_load_b32 s48, s[16:17], 0x0
	s_clause 0x8
	s_load_b64 s[36:37], s[0:1], 0x340
	s_load_b64 s[38:39], s[0:1], 0x350
	s_load_b128 s[16:19], s[0:1], 0x410
	s_load_b64 s[40:41], s[0:1], 0x4e0
	s_load_b64 s[42:43], s[0:1], 0x4f0
	s_load_b128 s[20:23], s[0:1], 0x5b0
	;; [unrolled: 3-line block ×3, first 2 shown]
	s_lshl_b64 s[50:51], s[4:5], 1
	v_rcp_iflag_f32_e32 v0, v0
	s_mov_b32 s1, 0
	s_waitcnt_depctr 0xfff
	v_mul_f32_e32 v0, 0x4f7ffffe, v0
	s_waitcnt lgkmcnt(0)
	s_mul_i32 s33, s48, s33
	s_lshl_b64 s[48:49], s[4:5], 2
	s_sub_u32 s58, 0, s38
	v_cvt_u32_f32_e32 v0, v0
	s_subb_u32 s59, 0, s39
	s_sub_u32 s60, 0, s42
	s_subb_u32 s61, 0, s43
	s_ashr_i32 s52, s5, 31
	s_branch .LBB63_3
.LBB63_2:                               ;   in Loop: Header=BB63_3 Depth=1
	s_or_b32 exec_lo, exec_lo, s0
	s_delay_alu instid0(VALU_DEP_1) | instskip(NEXT) | instid1(VALU_DEP_2)
	v_mad_u64_u32 v[7:8], null, s60, v5, v[3:4]
	v_mul_lo_u32 v2, s60, v6
	v_mul_lo_u32 v11, s61, v5
	v_mul_f32_e32 v12, v14, v15
	v_mul_lo_u32 v13, v6, s20
	v_mul_lo_u32 v14, v5, s21
	v_mad_u64_u32 v[9:10], null, v5, s20, 0
	v_mad_u64_u32 v[5:6], null, v7, s22, 0
	v_add3_u32 v2, v11, v8, v2
	v_bfe_u32 v8, v12, 16, 1
	v_mul_lo_u32 v11, v7, s23
	v_add_co_u32 v3, vcc_lo, v3, s33
	s_delay_alu instid0(VALU_DEP_4) | instskip(SKIP_4) | instid1(VALU_DEP_4)
	v_mul_lo_u32 v2, v2, s22
	v_add3_u32 v10, v10, v14, v13
	v_add3_u32 v13, v12, v8, 0x7fff
	v_add_co_ci_u32_e32 v4, vcc_lo, 0, v4, vcc_lo
	v_cmp_o_f32_e32 vcc_lo, v12, v12
	v_lshlrev_b64 v[7:8], 1, v[9:10]
	s_delay_alu instid0(VALU_DEP_4) | instskip(SKIP_1) | instid1(VALU_DEP_2)
	v_lshrrev_b32_e32 v9, 16, v13
	v_add3_u32 v6, v6, v11, v2
	v_cndmask_b32_e32 v2, 0x7fc0, v9, vcc_lo
	s_delay_alu instid0(VALU_DEP_2) | instskip(SKIP_3) | instid1(VALU_DEP_3)
	v_lshlrev_b64 v[5:6], 1, v[5:6]
	v_add_co_u32 v7, vcc_lo, s40, v7
	v_add_co_ci_u32_e32 v8, vcc_lo, s41, v8, vcc_lo
	v_cmp_le_i64_e32 vcc_lo, s[6:7], v[3:4]
	v_add_co_u32 v5, s0, v7, v5
	s_delay_alu instid0(VALU_DEP_1)
	v_add_co_ci_u32_e64 v6, s0, v8, v6, s0
	s_or_b32 s1, vcc_lo, s1
	global_store_b16 v[5:6], v2, off
	s_and_not1_b32 exec_lo, exec_lo, s1
	s_cbranch_execz .LBB63_59
.LBB63_3:                               ; =>This Inner Loop Header: Depth=1
	v_or_b32_e32 v2, s5, v4
	v_ashrrev_i32_e32 v13, 31, v4
                                        ; implicit-def: $vgpr5_vgpr6
	s_mov_b32 s0, exec_lo
	s_delay_alu instid0(VALU_DEP_2)
	v_cmpx_ne_u64_e32 0, v[1:2]
	s_xor_b32 s56, exec_lo, s0
	s_cbranch_execz .LBB63_5
; %bb.4:                                ;   in Loop: Header=BB63_3 Depth=1
	s_add_u32 s54, s4, s52
	s_mov_b32 s53, s52
	s_addc_u32 s55, s5, s52
	s_delay_alu instid0(SALU_CYCLE_1) | instskip(NEXT) | instid1(SALU_CYCLE_1)
	s_xor_b64 s[54:55], s[54:55], s[52:53]
	v_cvt_f32_u32_e32 v2, s54
	v_cvt_f32_u32_e32 v5, s55
	s_sub_u32 s0, 0, s54
	s_subb_u32 s53, 0, s55
	s_delay_alu instid0(VALU_DEP_1) | instskip(NEXT) | instid1(VALU_DEP_1)
	v_fmac_f32_e32 v2, 0x4f800000, v5
	v_rcp_f32_e32 v2, v2
	s_waitcnt_depctr 0xfff
	v_mul_f32_e32 v2, 0x5f7ffffc, v2
	s_delay_alu instid0(VALU_DEP_1) | instskip(NEXT) | instid1(VALU_DEP_1)
	v_mul_f32_e32 v5, 0x2f800000, v2
	v_trunc_f32_e32 v5, v5
	s_delay_alu instid0(VALU_DEP_1) | instskip(SKIP_1) | instid1(VALU_DEP_2)
	v_fmac_f32_e32 v2, 0xcf800000, v5
	v_cvt_u32_f32_e32 v5, v5
	v_cvt_u32_f32_e32 v2, v2
	s_delay_alu instid0(VALU_DEP_2) | instskip(NEXT) | instid1(VALU_DEP_2)
	v_mul_lo_u32 v6, s0, v5
	v_mul_hi_u32 v7, s0, v2
	v_mul_lo_u32 v8, s53, v2
	s_delay_alu instid0(VALU_DEP_2) | instskip(SKIP_1) | instid1(VALU_DEP_2)
	v_add_nc_u32_e32 v6, v7, v6
	v_mul_lo_u32 v7, s0, v2
	v_add_nc_u32_e32 v6, v6, v8
	s_delay_alu instid0(VALU_DEP_2) | instskip(NEXT) | instid1(VALU_DEP_2)
	v_mul_hi_u32 v8, v2, v7
	v_mul_lo_u32 v9, v2, v6
	v_mul_hi_u32 v10, v2, v6
	v_mul_hi_u32 v11, v5, v7
	v_mul_lo_u32 v7, v5, v7
	v_mul_hi_u32 v12, v5, v6
	v_mul_lo_u32 v6, v5, v6
	v_add_co_u32 v8, vcc_lo, v8, v9
	v_add_co_ci_u32_e32 v9, vcc_lo, 0, v10, vcc_lo
	s_delay_alu instid0(VALU_DEP_2) | instskip(NEXT) | instid1(VALU_DEP_2)
	v_add_co_u32 v7, vcc_lo, v8, v7
	v_add_co_ci_u32_e32 v7, vcc_lo, v9, v11, vcc_lo
	v_add_co_ci_u32_e32 v8, vcc_lo, 0, v12, vcc_lo
	s_delay_alu instid0(VALU_DEP_2) | instskip(NEXT) | instid1(VALU_DEP_2)
	v_add_co_u32 v6, vcc_lo, v7, v6
	v_add_co_ci_u32_e32 v7, vcc_lo, 0, v8, vcc_lo
	s_delay_alu instid0(VALU_DEP_2) | instskip(NEXT) | instid1(VALU_DEP_2)
	v_add_co_u32 v2, vcc_lo, v2, v6
	v_add_co_ci_u32_e32 v5, vcc_lo, v5, v7, vcc_lo
	s_delay_alu instid0(VALU_DEP_2) | instskip(SKIP_1) | instid1(VALU_DEP_3)
	v_mul_hi_u32 v6, s0, v2
	v_mul_lo_u32 v8, s53, v2
	v_mul_lo_u32 v7, s0, v5
	s_delay_alu instid0(VALU_DEP_1) | instskip(SKIP_1) | instid1(VALU_DEP_2)
	v_add_nc_u32_e32 v6, v6, v7
	v_mul_lo_u32 v7, s0, v2
	v_add_nc_u32_e32 v6, v6, v8
	s_delay_alu instid0(VALU_DEP_2) | instskip(NEXT) | instid1(VALU_DEP_2)
	v_mul_hi_u32 v8, v2, v7
	v_mul_lo_u32 v9, v2, v6
	v_mul_hi_u32 v10, v2, v6
	v_mul_hi_u32 v11, v5, v7
	v_mul_lo_u32 v7, v5, v7
	v_mul_hi_u32 v12, v5, v6
	v_mul_lo_u32 v6, v5, v6
	v_add_co_u32 v8, vcc_lo, v8, v9
	v_add_co_ci_u32_e32 v9, vcc_lo, 0, v10, vcc_lo
	s_delay_alu instid0(VALU_DEP_2) | instskip(NEXT) | instid1(VALU_DEP_2)
	v_add_co_u32 v7, vcc_lo, v8, v7
	v_add_co_ci_u32_e32 v7, vcc_lo, v9, v11, vcc_lo
	v_add_co_ci_u32_e32 v8, vcc_lo, 0, v12, vcc_lo
	v_add_co_u32 v9, vcc_lo, v3, v13
	v_add_co_ci_u32_e32 v10, vcc_lo, v4, v13, vcc_lo
	s_delay_alu instid0(VALU_DEP_4) | instskip(NEXT) | instid1(VALU_DEP_4)
	v_add_co_u32 v6, vcc_lo, v7, v6
	v_add_co_ci_u32_e32 v7, vcc_lo, 0, v8, vcc_lo
	s_delay_alu instid0(VALU_DEP_4) | instskip(NEXT) | instid1(VALU_DEP_3)
	v_xor_b32_e32 v11, v9, v13
	v_add_co_u32 v2, vcc_lo, v2, v6
	s_delay_alu instid0(VALU_DEP_3) | instskip(SKIP_1) | instid1(VALU_DEP_3)
	v_add_co_ci_u32_e32 v12, vcc_lo, v5, v7, vcc_lo
	v_xor_b32_e32 v14, v10, v13
	v_mul_hi_u32 v15, v11, v2
	s_delay_alu instid0(VALU_DEP_3) | instskip(NEXT) | instid1(VALU_DEP_3)
	v_mad_u64_u32 v[5:6], null, v11, v12, 0
	v_mad_u64_u32 v[7:8], null, v14, v2, 0
	;; [unrolled: 1-line block ×3, first 2 shown]
	s_delay_alu instid0(VALU_DEP_3) | instskip(NEXT) | instid1(VALU_DEP_4)
	v_add_co_u32 v2, vcc_lo, v15, v5
	v_add_co_ci_u32_e32 v5, vcc_lo, 0, v6, vcc_lo
	s_delay_alu instid0(VALU_DEP_2) | instskip(NEXT) | instid1(VALU_DEP_2)
	v_add_co_u32 v2, vcc_lo, v2, v7
	v_add_co_ci_u32_e32 v2, vcc_lo, v5, v8, vcc_lo
	v_add_co_ci_u32_e32 v5, vcc_lo, 0, v10, vcc_lo
	s_delay_alu instid0(VALU_DEP_2) | instskip(NEXT) | instid1(VALU_DEP_2)
	v_add_co_u32 v2, vcc_lo, v2, v9
	v_add_co_ci_u32_e32 v7, vcc_lo, 0, v5, vcc_lo
	s_delay_alu instid0(VALU_DEP_2) | instskip(SKIP_1) | instid1(VALU_DEP_3)
	v_mul_lo_u32 v8, s55, v2
	v_mad_u64_u32 v[5:6], null, s54, v2, 0
	v_mul_lo_u32 v9, s54, v7
	s_delay_alu instid0(VALU_DEP_2) | instskip(NEXT) | instid1(VALU_DEP_2)
	v_sub_co_u32 v5, vcc_lo, v11, v5
	v_add3_u32 v6, v6, v9, v8
	s_delay_alu instid0(VALU_DEP_1) | instskip(NEXT) | instid1(VALU_DEP_1)
	v_sub_nc_u32_e32 v8, v14, v6
	v_subrev_co_ci_u32_e64 v8, s0, s55, v8, vcc_lo
	v_add_co_u32 v9, s0, v2, 2
	s_delay_alu instid0(VALU_DEP_1) | instskip(SKIP_3) | instid1(VALU_DEP_3)
	v_add_co_ci_u32_e64 v10, s0, 0, v7, s0
	v_sub_co_u32 v11, s0, v5, s54
	v_sub_co_ci_u32_e32 v6, vcc_lo, v14, v6, vcc_lo
	v_subrev_co_ci_u32_e64 v8, s0, 0, v8, s0
	v_cmp_le_u32_e32 vcc_lo, s54, v11
	s_delay_alu instid0(VALU_DEP_3) | instskip(SKIP_1) | instid1(VALU_DEP_4)
	v_cmp_eq_u32_e64 s0, s55, v6
	v_cndmask_b32_e64 v11, 0, -1, vcc_lo
	v_cmp_le_u32_e32 vcc_lo, s55, v8
	v_cndmask_b32_e64 v12, 0, -1, vcc_lo
	v_cmp_le_u32_e32 vcc_lo, s54, v5
	;; [unrolled: 2-line block ×3, first 2 shown]
	v_cndmask_b32_e64 v14, 0, -1, vcc_lo
	v_cmp_eq_u32_e32 vcc_lo, s55, v8
	s_delay_alu instid0(VALU_DEP_2) | instskip(SKIP_3) | instid1(VALU_DEP_3)
	v_cndmask_b32_e64 v5, v14, v5, s0
	v_cndmask_b32_e32 v8, v12, v11, vcc_lo
	v_add_co_u32 v11, vcc_lo, v2, 1
	v_add_co_ci_u32_e32 v12, vcc_lo, 0, v7, vcc_lo
	v_cmp_ne_u32_e32 vcc_lo, 0, v8
	s_delay_alu instid0(VALU_DEP_2) | instskip(NEXT) | instid1(VALU_DEP_4)
	v_cndmask_b32_e32 v6, v12, v10, vcc_lo
	v_cndmask_b32_e32 v8, v11, v9, vcc_lo
	v_cmp_ne_u32_e32 vcc_lo, 0, v5
	v_xor_b32_e32 v9, s52, v13
	s_delay_alu instid0(VALU_DEP_3) | instskip(NEXT) | instid1(VALU_DEP_1)
	v_dual_cndmask_b32 v2, v2, v8 :: v_dual_cndmask_b32 v5, v7, v6
	v_xor_b32_e32 v2, v2, v9
	s_delay_alu instid0(VALU_DEP_2) | instskip(NEXT) | instid1(VALU_DEP_2)
	v_xor_b32_e32 v6, v5, v9
	v_sub_co_u32 v5, vcc_lo, v2, v9
	s_delay_alu instid0(VALU_DEP_2)
	v_sub_co_ci_u32_e32 v6, vcc_lo, v6, v9, vcc_lo
.LBB63_5:                               ;   in Loop: Header=BB63_3 Depth=1
	s_and_not1_saveexec_b32 s0, s56
	s_cbranch_execz .LBB63_7
; %bb.6:                                ;   in Loop: Header=BB63_3 Depth=1
	s_sub_i32 s53, 0, s4
	s_delay_alu instid0(SALU_CYCLE_1) | instskip(NEXT) | instid1(VALU_DEP_1)
	v_mul_lo_u32 v2, s53, v0
	v_mul_hi_u32 v2, v0, v2
	s_delay_alu instid0(VALU_DEP_1) | instskip(NEXT) | instid1(VALU_DEP_1)
	v_add_nc_u32_e32 v2, v0, v2
	v_mul_hi_u32 v2, v3, v2
	s_delay_alu instid0(VALU_DEP_1) | instskip(SKIP_1) | instid1(VALU_DEP_2)
	v_mul_lo_u32 v5, v2, s4
	v_add_nc_u32_e32 v6, 1, v2
	v_sub_nc_u32_e32 v5, v3, v5
	s_delay_alu instid0(VALU_DEP_1) | instskip(SKIP_1) | instid1(VALU_DEP_2)
	v_subrev_nc_u32_e32 v7, s4, v5
	v_cmp_le_u32_e32 vcc_lo, s4, v5
	v_dual_cndmask_b32 v5, v5, v7 :: v_dual_cndmask_b32 v2, v2, v6
	s_delay_alu instid0(VALU_DEP_1) | instskip(NEXT) | instid1(VALU_DEP_2)
	v_cmp_le_u32_e32 vcc_lo, s4, v5
	v_add_nc_u32_e32 v6, 1, v2
	s_delay_alu instid0(VALU_DEP_1)
	v_dual_cndmask_b32 v5, v2, v6 :: v_dual_mov_b32 v6, v1
.LBB63_7:                               ;   in Loop: Header=BB63_3 Depth=1
	s_or_b32 exec_lo, exec_lo, s0
	s_delay_alu instid0(VALU_DEP_1) | instskip(NEXT) | instid1(VALU_DEP_2)
	v_mul_lo_u32 v2, s49, v5
	v_mul_lo_u32 v9, s48, v6
	v_mad_u64_u32 v[7:8], null, s48, v5, 0
	s_mov_b32 s0, exec_lo
	s_delay_alu instid0(VALU_DEP_1) | instskip(NEXT) | instid1(VALU_DEP_2)
	v_add3_u32 v8, v8, v9, v2
	v_add_co_u32 v11, vcc_lo, v3, v7
                                        ; implicit-def: $vgpr9_vgpr10
	s_delay_alu instid0(VALU_DEP_2) | instskip(NEXT) | instid1(VALU_DEP_1)
	v_add_co_ci_u32_e32 v12, vcc_lo, v4, v8, vcc_lo
	v_or_b32_e32 v2, s47, v12
	s_delay_alu instid0(VALU_DEP_1)
	v_cmpx_ne_u64_e32 0, v[1:2]
	s_xor_b32 s53, exec_lo, s0
	s_cbranch_execz .LBB63_9
; %bb.8:                                ;   in Loop: Header=BB63_3 Depth=1
	s_ashr_i32 s54, s47, 31
	s_delay_alu instid0(SALU_CYCLE_1) | instskip(SKIP_2) | instid1(SALU_CYCLE_1)
	s_add_u32 s56, s46, s54
	s_mov_b32 s55, s54
	s_addc_u32 s57, s47, s54
	s_xor_b64 s[56:57], s[56:57], s[54:55]
	s_delay_alu instid0(SALU_CYCLE_1) | instskip(SKIP_3) | instid1(VALU_DEP_1)
	v_cvt_f32_u32_e32 v2, s56
	v_cvt_f32_u32_e32 v9, s57
	s_sub_u32 s0, 0, s56
	s_subb_u32 s55, 0, s57
	v_fmac_f32_e32 v2, 0x4f800000, v9
	s_delay_alu instid0(VALU_DEP_1) | instskip(SKIP_2) | instid1(VALU_DEP_1)
	v_rcp_f32_e32 v2, v2
	s_waitcnt_depctr 0xfff
	v_mul_f32_e32 v2, 0x5f7ffffc, v2
	v_mul_f32_e32 v9, 0x2f800000, v2
	s_delay_alu instid0(VALU_DEP_1) | instskip(NEXT) | instid1(VALU_DEP_1)
	v_trunc_f32_e32 v9, v9
	v_fmac_f32_e32 v2, 0xcf800000, v9
	v_cvt_u32_f32_e32 v9, v9
	s_delay_alu instid0(VALU_DEP_2) | instskip(NEXT) | instid1(VALU_DEP_2)
	v_cvt_u32_f32_e32 v2, v2
	v_mul_lo_u32 v10, s0, v9
	s_delay_alu instid0(VALU_DEP_2) | instskip(SKIP_1) | instid1(VALU_DEP_2)
	v_mul_hi_u32 v14, s0, v2
	v_mul_lo_u32 v15, s55, v2
	v_add_nc_u32_e32 v10, v14, v10
	v_mul_lo_u32 v14, s0, v2
	s_delay_alu instid0(VALU_DEP_2) | instskip(NEXT) | instid1(VALU_DEP_2)
	v_add_nc_u32_e32 v10, v10, v15
	v_mul_hi_u32 v15, v2, v14
	s_delay_alu instid0(VALU_DEP_2)
	v_mul_lo_u32 v16, v2, v10
	v_mul_hi_u32 v17, v2, v10
	v_mul_hi_u32 v18, v9, v14
	v_mul_lo_u32 v14, v9, v14
	v_mul_hi_u32 v19, v9, v10
	v_mul_lo_u32 v10, v9, v10
	v_add_co_u32 v15, vcc_lo, v15, v16
	v_add_co_ci_u32_e32 v16, vcc_lo, 0, v17, vcc_lo
	s_delay_alu instid0(VALU_DEP_2) | instskip(NEXT) | instid1(VALU_DEP_2)
	v_add_co_u32 v14, vcc_lo, v15, v14
	v_add_co_ci_u32_e32 v14, vcc_lo, v16, v18, vcc_lo
	v_add_co_ci_u32_e32 v15, vcc_lo, 0, v19, vcc_lo
	v_ashrrev_i32_e32 v18, 31, v12
	s_delay_alu instid0(VALU_DEP_3) | instskip(NEXT) | instid1(VALU_DEP_3)
	v_add_co_u32 v10, vcc_lo, v14, v10
	v_add_co_ci_u32_e32 v14, vcc_lo, 0, v15, vcc_lo
	s_delay_alu instid0(VALU_DEP_2) | instskip(NEXT) | instid1(VALU_DEP_2)
	v_add_co_u32 v2, vcc_lo, v2, v10
	v_add_co_ci_u32_e32 v9, vcc_lo, v9, v14, vcc_lo
	s_delay_alu instid0(VALU_DEP_2) | instskip(SKIP_1) | instid1(VALU_DEP_3)
	v_mul_hi_u32 v10, s0, v2
	v_mul_lo_u32 v15, s55, v2
	v_mul_lo_u32 v14, s0, v9
	s_delay_alu instid0(VALU_DEP_1) | instskip(SKIP_1) | instid1(VALU_DEP_2)
	v_add_nc_u32_e32 v10, v10, v14
	v_mul_lo_u32 v14, s0, v2
	v_add_nc_u32_e32 v10, v10, v15
	s_delay_alu instid0(VALU_DEP_2) | instskip(NEXT) | instid1(VALU_DEP_2)
	v_mul_hi_u32 v15, v2, v14
	v_mul_lo_u32 v16, v2, v10
	v_mul_hi_u32 v17, v2, v10
	v_mul_hi_u32 v19, v9, v14
	v_mul_lo_u32 v14, v9, v14
	v_mul_hi_u32 v20, v9, v10
	v_mul_lo_u32 v10, v9, v10
	v_add_co_u32 v15, vcc_lo, v15, v16
	v_add_co_ci_u32_e32 v16, vcc_lo, 0, v17, vcc_lo
	s_delay_alu instid0(VALU_DEP_2) | instskip(NEXT) | instid1(VALU_DEP_2)
	v_add_co_u32 v14, vcc_lo, v15, v14
	v_add_co_ci_u32_e32 v14, vcc_lo, v16, v19, vcc_lo
	v_add_co_ci_u32_e32 v15, vcc_lo, 0, v20, vcc_lo
	v_add_co_u32 v11, vcc_lo, v11, v18
	v_add_co_ci_u32_e32 v12, vcc_lo, v12, v18, vcc_lo
	s_delay_alu instid0(VALU_DEP_4) | instskip(NEXT) | instid1(VALU_DEP_4)
	v_add_co_u32 v10, vcc_lo, v14, v10
	v_add_co_ci_u32_e32 v14, vcc_lo, 0, v15, vcc_lo
	s_delay_alu instid0(VALU_DEP_4) | instskip(NEXT) | instid1(VALU_DEP_3)
	v_xor_b32_e32 v16, v11, v18
	v_add_co_u32 v2, vcc_lo, v2, v10
	s_delay_alu instid0(VALU_DEP_3) | instskip(SKIP_1) | instid1(VALU_DEP_3)
	v_add_co_ci_u32_e32 v17, vcc_lo, v9, v14, vcc_lo
	v_xor_b32_e32 v19, v12, v18
	v_mul_hi_u32 v20, v16, v2
	s_delay_alu instid0(VALU_DEP_3) | instskip(NEXT) | instid1(VALU_DEP_3)
	v_mad_u64_u32 v[9:10], null, v16, v17, 0
	v_mad_u64_u32 v[11:12], null, v19, v2, 0
	;; [unrolled: 1-line block ×3, first 2 shown]
	s_delay_alu instid0(VALU_DEP_3) | instskip(NEXT) | instid1(VALU_DEP_4)
	v_add_co_u32 v2, vcc_lo, v20, v9
	v_add_co_ci_u32_e32 v9, vcc_lo, 0, v10, vcc_lo
	s_delay_alu instid0(VALU_DEP_2) | instskip(NEXT) | instid1(VALU_DEP_2)
	v_add_co_u32 v2, vcc_lo, v2, v11
	v_add_co_ci_u32_e32 v2, vcc_lo, v9, v12, vcc_lo
	v_add_co_ci_u32_e32 v9, vcc_lo, 0, v15, vcc_lo
	s_delay_alu instid0(VALU_DEP_2) | instskip(NEXT) | instid1(VALU_DEP_2)
	v_add_co_u32 v2, vcc_lo, v2, v14
	v_add_co_ci_u32_e32 v11, vcc_lo, 0, v9, vcc_lo
	s_delay_alu instid0(VALU_DEP_2) | instskip(SKIP_1) | instid1(VALU_DEP_3)
	v_mul_lo_u32 v12, s57, v2
	v_mad_u64_u32 v[9:10], null, s56, v2, 0
	v_mul_lo_u32 v14, s56, v11
	s_delay_alu instid0(VALU_DEP_2) | instskip(NEXT) | instid1(VALU_DEP_2)
	v_sub_co_u32 v9, vcc_lo, v16, v9
	v_add3_u32 v10, v10, v14, v12
	s_delay_alu instid0(VALU_DEP_1) | instskip(NEXT) | instid1(VALU_DEP_1)
	v_sub_nc_u32_e32 v12, v19, v10
	v_subrev_co_ci_u32_e64 v12, s0, s57, v12, vcc_lo
	v_add_co_u32 v14, s0, v2, 2
	s_delay_alu instid0(VALU_DEP_1) | instskip(SKIP_3) | instid1(VALU_DEP_3)
	v_add_co_ci_u32_e64 v15, s0, 0, v11, s0
	v_sub_co_u32 v16, s0, v9, s56
	v_sub_co_ci_u32_e32 v10, vcc_lo, v19, v10, vcc_lo
	v_subrev_co_ci_u32_e64 v12, s0, 0, v12, s0
	v_cmp_le_u32_e32 vcc_lo, s56, v16
	s_delay_alu instid0(VALU_DEP_3) | instskip(SKIP_1) | instid1(VALU_DEP_4)
	v_cmp_eq_u32_e64 s0, s57, v10
	v_cndmask_b32_e64 v16, 0, -1, vcc_lo
	v_cmp_le_u32_e32 vcc_lo, s57, v12
	v_cndmask_b32_e64 v17, 0, -1, vcc_lo
	v_cmp_le_u32_e32 vcc_lo, s56, v9
	v_cndmask_b32_e64 v9, 0, -1, vcc_lo
	v_cmp_le_u32_e32 vcc_lo, s57, v10
	v_cndmask_b32_e64 v19, 0, -1, vcc_lo
	v_cmp_eq_u32_e32 vcc_lo, s57, v12
	s_delay_alu instid0(VALU_DEP_2) | instskip(SKIP_3) | instid1(VALU_DEP_3)
	v_cndmask_b32_e64 v9, v19, v9, s0
	v_cndmask_b32_e32 v12, v17, v16, vcc_lo
	v_add_co_u32 v16, vcc_lo, v2, 1
	v_add_co_ci_u32_e32 v17, vcc_lo, 0, v11, vcc_lo
	v_cmp_ne_u32_e32 vcc_lo, 0, v12
	s_delay_alu instid0(VALU_DEP_2) | instskip(NEXT) | instid1(VALU_DEP_4)
	v_cndmask_b32_e32 v10, v17, v15, vcc_lo
	v_cndmask_b32_e32 v12, v16, v14, vcc_lo
	v_cmp_ne_u32_e32 vcc_lo, 0, v9
	v_xor_b32_e32 v14, s54, v18
	s_delay_alu instid0(VALU_DEP_3) | instskip(NEXT) | instid1(VALU_DEP_1)
	v_dual_cndmask_b32 v2, v2, v12 :: v_dual_cndmask_b32 v9, v11, v10
                                        ; implicit-def: $vgpr11
	v_xor_b32_e32 v2, v2, v14
	s_delay_alu instid0(VALU_DEP_2) | instskip(NEXT) | instid1(VALU_DEP_2)
	v_xor_b32_e32 v10, v9, v14
	v_sub_co_u32 v9, vcc_lo, v2, v14
	s_delay_alu instid0(VALU_DEP_2)
	v_sub_co_ci_u32_e32 v10, vcc_lo, v10, v14, vcc_lo
.LBB63_9:                               ;   in Loop: Header=BB63_3 Depth=1
	s_or_saveexec_b32 s0, s53
	v_cvt_f32_u32_e32 v17, s46
	s_xor_b32 exec_lo, exec_lo, s0
	s_cbranch_execz .LBB63_11
; %bb.10:                               ;   in Loop: Header=BB63_3 Depth=1
	s_delay_alu instid0(VALU_DEP_1) | instskip(SKIP_3) | instid1(VALU_DEP_1)
	v_rcp_iflag_f32_e32 v2, v17
	s_sub_i32 s53, 0, s46
	s_waitcnt_depctr 0xfff
	v_mul_f32_e32 v2, 0x4f7ffffe, v2
	v_cvt_u32_f32_e32 v2, v2
	s_delay_alu instid0(VALU_DEP_1) | instskip(NEXT) | instid1(VALU_DEP_1)
	v_mul_lo_u32 v9, s53, v2
	v_mul_hi_u32 v9, v2, v9
	s_delay_alu instid0(VALU_DEP_1) | instskip(NEXT) | instid1(VALU_DEP_1)
	v_add_nc_u32_e32 v2, v2, v9
	v_mul_hi_u32 v2, v11, v2
	s_delay_alu instid0(VALU_DEP_1) | instskip(SKIP_1) | instid1(VALU_DEP_2)
	v_mul_lo_u32 v9, v2, s46
	v_add_nc_u32_e32 v10, 1, v2
	v_sub_nc_u32_e32 v9, v11, v9
	s_delay_alu instid0(VALU_DEP_1) | instskip(SKIP_1) | instid1(VALU_DEP_2)
	v_subrev_nc_u32_e32 v11, s46, v9
	v_cmp_le_u32_e32 vcc_lo, s46, v9
	v_dual_cndmask_b32 v9, v9, v11 :: v_dual_cndmask_b32 v2, v2, v10
	s_delay_alu instid0(VALU_DEP_1) | instskip(NEXT) | instid1(VALU_DEP_2)
	v_cmp_le_u32_e32 vcc_lo, s46, v9
	v_add_nc_u32_e32 v10, 1, v2
	s_delay_alu instid0(VALU_DEP_1)
	v_dual_cndmask_b32 v9, v2, v10 :: v_dual_mov_b32 v10, v1
.LBB63_11:                              ;   in Loop: Header=BB63_3 Depth=1
	s_or_b32 exec_lo, exec_lo, s0
	s_delay_alu instid0(VALU_DEP_1) | instskip(NEXT) | instid1(VALU_DEP_2)
	v_mul_lo_u32 v2, v10, s46
	v_mul_lo_u32 v14, v9, s47
	v_mad_u64_u32 v[11:12], null, v9, s46, 0
	s_mov_b32 s0, exec_lo
	s_delay_alu instid0(VALU_DEP_1) | instskip(NEXT) | instid1(VALU_DEP_2)
	v_add3_u32 v2, v12, v14, v2
	v_sub_co_u32 v7, vcc_lo, v7, v11
	v_mul_lo_u32 v12, v10, s24
	v_mul_lo_u32 v11, v9, s25
	s_delay_alu instid0(VALU_DEP_4) | instskip(NEXT) | instid1(VALU_DEP_4)
	v_sub_co_ci_u32_e32 v2, vcc_lo, v8, v2, vcc_lo
	v_add_co_u32 v14, vcc_lo, v3, v7
	v_mad_u64_u32 v[7:8], null, v9, s24, 0
	s_delay_alu instid0(VALU_DEP_3) | instskip(NEXT) | instid1(VALU_DEP_3)
	v_add_co_ci_u32_e32 v2, vcc_lo, v4, v2, vcc_lo
	v_mul_lo_u32 v15, v14, s27
	v_mad_u64_u32 v[9:10], null, v14, s26, 0
	s_delay_alu instid0(VALU_DEP_3) | instskip(SKIP_1) | instid1(VALU_DEP_1)
	v_mul_lo_u32 v2, v2, s26
	v_add3_u32 v8, v8, v11, v12
	v_lshlrev_b64 v[7:8], 1, v[7:8]
	s_delay_alu instid0(VALU_DEP_3) | instskip(NEXT) | instid1(VALU_DEP_2)
	v_add3_u32 v10, v10, v15, v2
	v_add_co_u32 v2, vcc_lo, s44, v7
	s_delay_alu instid0(VALU_DEP_2) | instskip(NEXT) | instid1(VALU_DEP_4)
	v_lshlrev_b64 v[9:10], 1, v[9:10]
	v_add_co_ci_u32_e32 v8, vcc_lo, s45, v8, vcc_lo
	s_delay_alu instid0(VALU_DEP_2) | instskip(NEXT) | instid1(VALU_DEP_2)
	v_add_co_u32 v7, vcc_lo, v2, v9
	v_add_co_ci_u32_e32 v8, vcc_lo, v8, v10, vcc_lo
	v_alignbit_b32 v2, v6, v5, 30
	global_load_u16 v16, v[7:8], off
	v_lshlrev_b64 v[7:8], 2, v[5:6]
	v_mul_lo_u32 v2, s4, v2
	s_delay_alu instid0(VALU_DEP_2) | instskip(SKIP_1) | instid1(VALU_DEP_1)
	v_mul_lo_u32 v11, s5, v7
	v_mad_u64_u32 v[9:10], null, s4, v7, s[4:5]
	v_add3_u32 v10, v11, v10, v2
	s_delay_alu instid0(VALU_DEP_2) | instskip(NEXT) | instid1(VALU_DEP_2)
	v_add_co_u32 v14, vcc_lo, v3, v9
                                        ; implicit-def: $vgpr11_vgpr12
	v_add_co_ci_u32_e32 v15, vcc_lo, v4, v10, vcc_lo
	s_delay_alu instid0(VALU_DEP_1) | instskip(NEXT) | instid1(VALU_DEP_1)
	v_or_b32_e32 v2, s47, v15
	v_cmpx_ne_u64_e32 0, v[1:2]
	s_xor_b32 s53, exec_lo, s0
	s_cbranch_execz .LBB63_13
; %bb.12:                               ;   in Loop: Header=BB63_3 Depth=1
	s_ashr_i32 s54, s47, 31
	s_delay_alu instid0(SALU_CYCLE_1) | instskip(SKIP_2) | instid1(SALU_CYCLE_1)
	s_add_u32 s56, s46, s54
	s_mov_b32 s55, s54
	s_addc_u32 s57, s47, s54
	s_xor_b64 s[56:57], s[56:57], s[54:55]
	s_delay_alu instid0(SALU_CYCLE_1) | instskip(SKIP_3) | instid1(VALU_DEP_1)
	v_cvt_f32_u32_e32 v2, s56
	v_cvt_f32_u32_e32 v11, s57
	s_sub_u32 s0, 0, s56
	s_subb_u32 s55, 0, s57
	v_fmac_f32_e32 v2, 0x4f800000, v11
	s_delay_alu instid0(VALU_DEP_1) | instskip(SKIP_2) | instid1(VALU_DEP_1)
	v_rcp_f32_e32 v2, v2
	s_waitcnt_depctr 0xfff
	v_mul_f32_e32 v2, 0x5f7ffffc, v2
	v_mul_f32_e32 v11, 0x2f800000, v2
	s_delay_alu instid0(VALU_DEP_1) | instskip(NEXT) | instid1(VALU_DEP_1)
	v_trunc_f32_e32 v11, v11
	v_fmac_f32_e32 v2, 0xcf800000, v11
	v_cvt_u32_f32_e32 v11, v11
	s_delay_alu instid0(VALU_DEP_2) | instskip(NEXT) | instid1(VALU_DEP_2)
	v_cvt_u32_f32_e32 v2, v2
	v_mul_lo_u32 v12, s0, v11
	s_delay_alu instid0(VALU_DEP_2) | instskip(SKIP_1) | instid1(VALU_DEP_2)
	v_mul_hi_u32 v18, s0, v2
	v_mul_lo_u32 v19, s55, v2
	v_add_nc_u32_e32 v12, v18, v12
	v_mul_lo_u32 v18, s0, v2
	s_delay_alu instid0(VALU_DEP_2) | instskip(NEXT) | instid1(VALU_DEP_2)
	v_add_nc_u32_e32 v12, v12, v19
	v_mul_hi_u32 v19, v2, v18
	s_delay_alu instid0(VALU_DEP_2)
	v_mul_lo_u32 v20, v2, v12
	v_mul_hi_u32 v21, v2, v12
	v_mul_hi_u32 v22, v11, v18
	v_mul_lo_u32 v18, v11, v18
	v_mul_hi_u32 v23, v11, v12
	v_mul_lo_u32 v12, v11, v12
	v_add_co_u32 v19, vcc_lo, v19, v20
	v_add_co_ci_u32_e32 v20, vcc_lo, 0, v21, vcc_lo
	s_delay_alu instid0(VALU_DEP_2) | instskip(NEXT) | instid1(VALU_DEP_2)
	v_add_co_u32 v18, vcc_lo, v19, v18
	v_add_co_ci_u32_e32 v18, vcc_lo, v20, v22, vcc_lo
	v_add_co_ci_u32_e32 v19, vcc_lo, 0, v23, vcc_lo
	v_ashrrev_i32_e32 v22, 31, v15
	s_delay_alu instid0(VALU_DEP_3) | instskip(NEXT) | instid1(VALU_DEP_3)
	v_add_co_u32 v12, vcc_lo, v18, v12
	v_add_co_ci_u32_e32 v18, vcc_lo, 0, v19, vcc_lo
	s_delay_alu instid0(VALU_DEP_2) | instskip(NEXT) | instid1(VALU_DEP_2)
	v_add_co_u32 v2, vcc_lo, v2, v12
	v_add_co_ci_u32_e32 v11, vcc_lo, v11, v18, vcc_lo
	s_delay_alu instid0(VALU_DEP_2) | instskip(SKIP_1) | instid1(VALU_DEP_3)
	v_mul_hi_u32 v12, s0, v2
	v_mul_lo_u32 v19, s55, v2
	v_mul_lo_u32 v18, s0, v11
	s_delay_alu instid0(VALU_DEP_1) | instskip(SKIP_1) | instid1(VALU_DEP_2)
	v_add_nc_u32_e32 v12, v12, v18
	v_mul_lo_u32 v18, s0, v2
	v_add_nc_u32_e32 v12, v12, v19
	s_delay_alu instid0(VALU_DEP_2) | instskip(NEXT) | instid1(VALU_DEP_2)
	v_mul_hi_u32 v19, v2, v18
	v_mul_lo_u32 v20, v2, v12
	v_mul_hi_u32 v21, v2, v12
	v_mul_hi_u32 v23, v11, v18
	v_mul_lo_u32 v18, v11, v18
	v_mul_hi_u32 v24, v11, v12
	v_mul_lo_u32 v12, v11, v12
	v_add_co_u32 v19, vcc_lo, v19, v20
	v_add_co_ci_u32_e32 v20, vcc_lo, 0, v21, vcc_lo
	s_delay_alu instid0(VALU_DEP_2) | instskip(NEXT) | instid1(VALU_DEP_2)
	v_add_co_u32 v18, vcc_lo, v19, v18
	v_add_co_ci_u32_e32 v18, vcc_lo, v20, v23, vcc_lo
	v_add_co_ci_u32_e32 v19, vcc_lo, 0, v24, vcc_lo
	v_add_co_u32 v14, vcc_lo, v14, v22
	v_add_co_ci_u32_e32 v15, vcc_lo, v15, v22, vcc_lo
	s_delay_alu instid0(VALU_DEP_4) | instskip(NEXT) | instid1(VALU_DEP_4)
	v_add_co_u32 v12, vcc_lo, v18, v12
	v_add_co_ci_u32_e32 v18, vcc_lo, 0, v19, vcc_lo
	s_delay_alu instid0(VALU_DEP_4) | instskip(NEXT) | instid1(VALU_DEP_3)
	v_xor_b32_e32 v20, v14, v22
	v_add_co_u32 v2, vcc_lo, v2, v12
	s_delay_alu instid0(VALU_DEP_3) | instskip(SKIP_1) | instid1(VALU_DEP_3)
	v_add_co_ci_u32_e32 v21, vcc_lo, v11, v18, vcc_lo
	v_xor_b32_e32 v23, v15, v22
	v_mul_hi_u32 v24, v20, v2
	s_delay_alu instid0(VALU_DEP_3) | instskip(NEXT) | instid1(VALU_DEP_3)
	v_mad_u64_u32 v[11:12], null, v20, v21, 0
	v_mad_u64_u32 v[14:15], null, v23, v2, 0
	;; [unrolled: 1-line block ×3, first 2 shown]
	s_delay_alu instid0(VALU_DEP_3) | instskip(NEXT) | instid1(VALU_DEP_4)
	v_add_co_u32 v2, vcc_lo, v24, v11
	v_add_co_ci_u32_e32 v11, vcc_lo, 0, v12, vcc_lo
	s_delay_alu instid0(VALU_DEP_2) | instskip(NEXT) | instid1(VALU_DEP_2)
	v_add_co_u32 v2, vcc_lo, v2, v14
	v_add_co_ci_u32_e32 v2, vcc_lo, v11, v15, vcc_lo
	v_add_co_ci_u32_e32 v11, vcc_lo, 0, v19, vcc_lo
	s_delay_alu instid0(VALU_DEP_2) | instskip(NEXT) | instid1(VALU_DEP_2)
	v_add_co_u32 v2, vcc_lo, v2, v18
	v_add_co_ci_u32_e32 v14, vcc_lo, 0, v11, vcc_lo
	s_delay_alu instid0(VALU_DEP_2) | instskip(SKIP_1) | instid1(VALU_DEP_3)
	v_mul_lo_u32 v15, s57, v2
	v_mad_u64_u32 v[11:12], null, s56, v2, 0
	v_mul_lo_u32 v18, s56, v14
	s_delay_alu instid0(VALU_DEP_2) | instskip(NEXT) | instid1(VALU_DEP_2)
	v_sub_co_u32 v11, vcc_lo, v20, v11
	v_add3_u32 v12, v12, v18, v15
	s_delay_alu instid0(VALU_DEP_1) | instskip(NEXT) | instid1(VALU_DEP_1)
	v_sub_nc_u32_e32 v15, v23, v12
	v_subrev_co_ci_u32_e64 v15, s0, s57, v15, vcc_lo
	v_add_co_u32 v18, s0, v2, 2
	s_delay_alu instid0(VALU_DEP_1) | instskip(SKIP_3) | instid1(VALU_DEP_3)
	v_add_co_ci_u32_e64 v19, s0, 0, v14, s0
	v_sub_co_u32 v20, s0, v11, s56
	v_sub_co_ci_u32_e32 v12, vcc_lo, v23, v12, vcc_lo
	v_subrev_co_ci_u32_e64 v15, s0, 0, v15, s0
	v_cmp_le_u32_e32 vcc_lo, s56, v20
	s_delay_alu instid0(VALU_DEP_3) | instskip(SKIP_1) | instid1(VALU_DEP_4)
	v_cmp_eq_u32_e64 s0, s57, v12
	v_cndmask_b32_e64 v20, 0, -1, vcc_lo
	v_cmp_le_u32_e32 vcc_lo, s57, v15
	v_cndmask_b32_e64 v21, 0, -1, vcc_lo
	v_cmp_le_u32_e32 vcc_lo, s56, v11
	;; [unrolled: 2-line block ×3, first 2 shown]
	v_cndmask_b32_e64 v23, 0, -1, vcc_lo
	v_cmp_eq_u32_e32 vcc_lo, s57, v15
	s_delay_alu instid0(VALU_DEP_2) | instskip(SKIP_3) | instid1(VALU_DEP_3)
	v_cndmask_b32_e64 v11, v23, v11, s0
	v_cndmask_b32_e32 v15, v21, v20, vcc_lo
	v_add_co_u32 v20, vcc_lo, v2, 1
	v_add_co_ci_u32_e32 v21, vcc_lo, 0, v14, vcc_lo
	v_cmp_ne_u32_e32 vcc_lo, 0, v15
	s_delay_alu instid0(VALU_DEP_2) | instskip(SKIP_2) | instid1(VALU_DEP_3)
	v_dual_cndmask_b32 v15, v20, v18 :: v_dual_cndmask_b32 v12, v21, v19
	v_cmp_ne_u32_e32 vcc_lo, 0, v11
	v_xor_b32_e32 v18, s54, v22
	v_cndmask_b32_e32 v2, v2, v15, vcc_lo
	s_delay_alu instid0(VALU_DEP_4) | instskip(NEXT) | instid1(VALU_DEP_2)
	v_cndmask_b32_e32 v11, v14, v12, vcc_lo
                                        ; implicit-def: $vgpr14
	v_xor_b32_e32 v2, v2, v18
	s_delay_alu instid0(VALU_DEP_2) | instskip(NEXT) | instid1(VALU_DEP_2)
	v_xor_b32_e32 v12, v11, v18
	v_sub_co_u32 v11, vcc_lo, v2, v18
	s_delay_alu instid0(VALU_DEP_2)
	v_sub_co_ci_u32_e32 v12, vcc_lo, v12, v18, vcc_lo
.LBB63_13:                              ;   in Loop: Header=BB63_3 Depth=1
	s_and_not1_saveexec_b32 s0, s53
	s_cbranch_execz .LBB63_15
; %bb.14:                               ;   in Loop: Header=BB63_3 Depth=1
	v_rcp_iflag_f32_e32 v2, v17
	s_sub_i32 s53, 0, s46
	s_waitcnt_depctr 0xfff
	v_mul_f32_e32 v2, 0x4f7ffffe, v2
	s_delay_alu instid0(VALU_DEP_1) | instskip(NEXT) | instid1(VALU_DEP_1)
	v_cvt_u32_f32_e32 v2, v2
	v_mul_lo_u32 v11, s53, v2
	s_delay_alu instid0(VALU_DEP_1) | instskip(NEXT) | instid1(VALU_DEP_1)
	v_mul_hi_u32 v11, v2, v11
	v_add_nc_u32_e32 v2, v2, v11
	s_delay_alu instid0(VALU_DEP_1) | instskip(NEXT) | instid1(VALU_DEP_1)
	v_mul_hi_u32 v2, v14, v2
	v_mul_lo_u32 v11, v2, s46
	v_add_nc_u32_e32 v12, 1, v2
	s_delay_alu instid0(VALU_DEP_2) | instskip(NEXT) | instid1(VALU_DEP_1)
	v_sub_nc_u32_e32 v11, v14, v11
	v_subrev_nc_u32_e32 v14, s46, v11
	v_cmp_le_u32_e32 vcc_lo, s46, v11
	s_delay_alu instid0(VALU_DEP_2) | instskip(NEXT) | instid1(VALU_DEP_1)
	v_dual_cndmask_b32 v11, v11, v14 :: v_dual_cndmask_b32 v2, v2, v12
	v_cmp_le_u32_e32 vcc_lo, s46, v11
	s_delay_alu instid0(VALU_DEP_2) | instskip(NEXT) | instid1(VALU_DEP_1)
	v_add_nc_u32_e32 v12, 1, v2
	v_dual_cndmask_b32 v11, v2, v12 :: v_dual_mov_b32 v12, v1
.LBB63_15:                              ;   in Loop: Header=BB63_3 Depth=1
	s_or_b32 exec_lo, exec_lo, s0
	s_delay_alu instid0(VALU_DEP_1) | instskip(NEXT) | instid1(VALU_DEP_2)
	v_mul_lo_u32 v2, v12, s46
	v_mul_lo_u32 v18, v11, s47
	v_mad_u64_u32 v[14:15], null, v11, s46, 0
	s_mov_b32 s0, exec_lo
	s_delay_alu instid0(VALU_DEP_1) | instskip(NEXT) | instid1(VALU_DEP_2)
	v_add3_u32 v2, v15, v18, v2
	v_sub_co_u32 v9, vcc_lo, v9, v14
	v_mul_lo_u32 v15, v12, s24
	v_mul_lo_u32 v14, v11, s25
	s_delay_alu instid0(VALU_DEP_4) | instskip(NEXT) | instid1(VALU_DEP_4)
	v_sub_co_ci_u32_e32 v2, vcc_lo, v10, v2, vcc_lo
	v_add_co_u32 v18, vcc_lo, v3, v9
	v_mad_u64_u32 v[9:10], null, v11, s24, 0
	s_delay_alu instid0(VALU_DEP_3) | instskip(NEXT) | instid1(VALU_DEP_3)
	v_add_co_ci_u32_e32 v2, vcc_lo, v4, v2, vcc_lo
	v_mul_lo_u32 v19, v18, s27
	v_mad_u64_u32 v[11:12], null, v18, s26, 0
	s_delay_alu instid0(VALU_DEP_3) | instskip(SKIP_1) | instid1(VALU_DEP_1)
	v_mul_lo_u32 v2, v2, s26
	v_add3_u32 v10, v10, v14, v15
	v_lshlrev_b64 v[9:10], 1, v[9:10]
	s_delay_alu instid0(VALU_DEP_3) | instskip(NEXT) | instid1(VALU_DEP_2)
	v_add3_u32 v12, v12, v19, v2
	v_add_co_u32 v2, vcc_lo, s44, v9
	s_delay_alu instid0(VALU_DEP_2) | instskip(NEXT) | instid1(VALU_DEP_4)
	v_lshlrev_b64 v[11:12], 1, v[11:12]
	v_add_co_ci_u32_e32 v10, vcc_lo, s45, v10, vcc_lo
	s_delay_alu instid0(VALU_DEP_2) | instskip(NEXT) | instid1(VALU_DEP_2)
	v_add_co_u32 v9, vcc_lo, v2, v11
	v_add_co_ci_u32_e32 v10, vcc_lo, v10, v12, vcc_lo
	v_add_co_u32 v2, vcc_lo, v7, 2
	global_load_u16 v14, v[9:10], off
	v_add_co_ci_u32_e32 v9, vcc_lo, 0, v8, vcc_lo
	v_mul_lo_u32 v11, s5, v2
	s_delay_alu instid0(VALU_DEP_2) | instskip(SKIP_1) | instid1(VALU_DEP_1)
	v_mul_lo_u32 v12, s4, v9
	v_mad_u64_u32 v[9:10], null, s4, v2, 0
	v_add3_u32 v10, v10, v12, v11
	s_delay_alu instid0(VALU_DEP_2) | instskip(NEXT) | instid1(VALU_DEP_2)
	v_add_co_u32 v15, vcc_lo, v3, v9
                                        ; implicit-def: $vgpr11_vgpr12
	v_add_co_ci_u32_e32 v18, vcc_lo, v4, v10, vcc_lo
	s_delay_alu instid0(VALU_DEP_1) | instskip(NEXT) | instid1(VALU_DEP_1)
	v_or_b32_e32 v2, s47, v18
	v_cmpx_ne_u64_e32 0, v[1:2]
	s_xor_b32 s53, exec_lo, s0
	s_cbranch_execz .LBB63_17
; %bb.16:                               ;   in Loop: Header=BB63_3 Depth=1
	s_ashr_i32 s54, s47, 31
	s_delay_alu instid0(SALU_CYCLE_1) | instskip(SKIP_2) | instid1(SALU_CYCLE_1)
	s_add_u32 s56, s46, s54
	s_mov_b32 s55, s54
	s_addc_u32 s57, s47, s54
	s_xor_b64 s[56:57], s[56:57], s[54:55]
	s_delay_alu instid0(SALU_CYCLE_1) | instskip(SKIP_3) | instid1(VALU_DEP_1)
	v_cvt_f32_u32_e32 v2, s56
	v_cvt_f32_u32_e32 v11, s57
	s_sub_u32 s0, 0, s56
	s_subb_u32 s55, 0, s57
	v_fmac_f32_e32 v2, 0x4f800000, v11
	s_delay_alu instid0(VALU_DEP_1) | instskip(SKIP_2) | instid1(VALU_DEP_1)
	v_rcp_f32_e32 v2, v2
	s_waitcnt_depctr 0xfff
	v_mul_f32_e32 v2, 0x5f7ffffc, v2
	v_mul_f32_e32 v11, 0x2f800000, v2
	s_delay_alu instid0(VALU_DEP_1) | instskip(NEXT) | instid1(VALU_DEP_1)
	v_trunc_f32_e32 v11, v11
	v_fmac_f32_e32 v2, 0xcf800000, v11
	v_cvt_u32_f32_e32 v11, v11
	s_delay_alu instid0(VALU_DEP_2) | instskip(NEXT) | instid1(VALU_DEP_2)
	v_cvt_u32_f32_e32 v2, v2
	v_mul_lo_u32 v12, s0, v11
	s_delay_alu instid0(VALU_DEP_2) | instskip(SKIP_1) | instid1(VALU_DEP_2)
	v_mul_hi_u32 v19, s0, v2
	v_mul_lo_u32 v20, s55, v2
	v_add_nc_u32_e32 v12, v19, v12
	v_mul_lo_u32 v19, s0, v2
	s_delay_alu instid0(VALU_DEP_2) | instskip(NEXT) | instid1(VALU_DEP_2)
	v_add_nc_u32_e32 v12, v12, v20
	v_mul_hi_u32 v20, v2, v19
	s_delay_alu instid0(VALU_DEP_2)
	v_mul_lo_u32 v21, v2, v12
	v_mul_hi_u32 v22, v2, v12
	v_mul_hi_u32 v23, v11, v19
	v_mul_lo_u32 v19, v11, v19
	v_mul_hi_u32 v24, v11, v12
	v_mul_lo_u32 v12, v11, v12
	v_add_co_u32 v20, vcc_lo, v20, v21
	v_add_co_ci_u32_e32 v21, vcc_lo, 0, v22, vcc_lo
	s_delay_alu instid0(VALU_DEP_2) | instskip(NEXT) | instid1(VALU_DEP_2)
	v_add_co_u32 v19, vcc_lo, v20, v19
	v_add_co_ci_u32_e32 v19, vcc_lo, v21, v23, vcc_lo
	v_add_co_ci_u32_e32 v20, vcc_lo, 0, v24, vcc_lo
	v_ashrrev_i32_e32 v23, 31, v18
	s_delay_alu instid0(VALU_DEP_3) | instskip(NEXT) | instid1(VALU_DEP_3)
	v_add_co_u32 v12, vcc_lo, v19, v12
	v_add_co_ci_u32_e32 v19, vcc_lo, 0, v20, vcc_lo
	s_delay_alu instid0(VALU_DEP_2) | instskip(NEXT) | instid1(VALU_DEP_2)
	v_add_co_u32 v2, vcc_lo, v2, v12
	v_add_co_ci_u32_e32 v11, vcc_lo, v11, v19, vcc_lo
	s_delay_alu instid0(VALU_DEP_2) | instskip(SKIP_1) | instid1(VALU_DEP_3)
	v_mul_hi_u32 v12, s0, v2
	v_mul_lo_u32 v20, s55, v2
	v_mul_lo_u32 v19, s0, v11
	s_delay_alu instid0(VALU_DEP_1) | instskip(SKIP_1) | instid1(VALU_DEP_2)
	v_add_nc_u32_e32 v12, v12, v19
	v_mul_lo_u32 v19, s0, v2
	v_add_nc_u32_e32 v12, v12, v20
	s_delay_alu instid0(VALU_DEP_2) | instskip(NEXT) | instid1(VALU_DEP_2)
	v_mul_hi_u32 v20, v2, v19
	v_mul_lo_u32 v21, v2, v12
	v_mul_hi_u32 v22, v2, v12
	v_mul_hi_u32 v24, v11, v19
	v_mul_lo_u32 v19, v11, v19
	v_mul_hi_u32 v25, v11, v12
	v_mul_lo_u32 v12, v11, v12
	v_add_co_u32 v20, vcc_lo, v20, v21
	v_add_co_ci_u32_e32 v21, vcc_lo, 0, v22, vcc_lo
	s_delay_alu instid0(VALU_DEP_2) | instskip(NEXT) | instid1(VALU_DEP_2)
	v_add_co_u32 v19, vcc_lo, v20, v19
	v_add_co_ci_u32_e32 v19, vcc_lo, v21, v24, vcc_lo
	v_add_co_ci_u32_e32 v20, vcc_lo, 0, v25, vcc_lo
	v_add_co_u32 v15, vcc_lo, v15, v23
	v_add_co_ci_u32_e32 v18, vcc_lo, v18, v23, vcc_lo
	s_delay_alu instid0(VALU_DEP_4) | instskip(NEXT) | instid1(VALU_DEP_4)
	v_add_co_u32 v12, vcc_lo, v19, v12
	v_add_co_ci_u32_e32 v19, vcc_lo, 0, v20, vcc_lo
	s_delay_alu instid0(VALU_DEP_4) | instskip(NEXT) | instid1(VALU_DEP_3)
	v_xor_b32_e32 v15, v15, v23
	v_add_co_u32 v2, vcc_lo, v2, v12
	s_delay_alu instid0(VALU_DEP_3) | instskip(SKIP_1) | instid1(VALU_DEP_3)
	v_add_co_ci_u32_e32 v22, vcc_lo, v11, v19, vcc_lo
	v_xor_b32_e32 v24, v18, v23
	v_mul_hi_u32 v25, v15, v2
	s_delay_alu instid0(VALU_DEP_3) | instskip(NEXT) | instid1(VALU_DEP_3)
	v_mad_u64_u32 v[11:12], null, v15, v22, 0
	v_mad_u64_u32 v[18:19], null, v24, v2, 0
	v_mad_u64_u32 v[20:21], null, v24, v22, 0
	s_delay_alu instid0(VALU_DEP_3) | instskip(NEXT) | instid1(VALU_DEP_4)
	v_add_co_u32 v2, vcc_lo, v25, v11
	v_add_co_ci_u32_e32 v11, vcc_lo, 0, v12, vcc_lo
	s_delay_alu instid0(VALU_DEP_2) | instskip(NEXT) | instid1(VALU_DEP_2)
	v_add_co_u32 v2, vcc_lo, v2, v18
	v_add_co_ci_u32_e32 v2, vcc_lo, v11, v19, vcc_lo
	v_add_co_ci_u32_e32 v11, vcc_lo, 0, v21, vcc_lo
	s_delay_alu instid0(VALU_DEP_2) | instskip(NEXT) | instid1(VALU_DEP_2)
	v_add_co_u32 v2, vcc_lo, v2, v20
	v_add_co_ci_u32_e32 v18, vcc_lo, 0, v11, vcc_lo
	s_delay_alu instid0(VALU_DEP_2) | instskip(SKIP_1) | instid1(VALU_DEP_3)
	v_mul_lo_u32 v19, s57, v2
	v_mad_u64_u32 v[11:12], null, s56, v2, 0
	v_mul_lo_u32 v20, s56, v18
	s_delay_alu instid0(VALU_DEP_2) | instskip(NEXT) | instid1(VALU_DEP_2)
	v_sub_co_u32 v11, vcc_lo, v15, v11
	v_add3_u32 v12, v12, v20, v19
	s_delay_alu instid0(VALU_DEP_1) | instskip(NEXT) | instid1(VALU_DEP_1)
	v_sub_nc_u32_e32 v19, v24, v12
	v_subrev_co_ci_u32_e64 v15, s0, s57, v19, vcc_lo
	v_add_co_u32 v19, s0, v2, 2
	s_delay_alu instid0(VALU_DEP_1) | instskip(SKIP_3) | instid1(VALU_DEP_3)
	v_add_co_ci_u32_e64 v20, s0, 0, v18, s0
	v_sub_co_u32 v21, s0, v11, s56
	v_sub_co_ci_u32_e32 v12, vcc_lo, v24, v12, vcc_lo
	v_subrev_co_ci_u32_e64 v15, s0, 0, v15, s0
	v_cmp_le_u32_e32 vcc_lo, s56, v21
	s_delay_alu instid0(VALU_DEP_3) | instskip(SKIP_1) | instid1(VALU_DEP_4)
	v_cmp_eq_u32_e64 s0, s57, v12
	v_cndmask_b32_e64 v21, 0, -1, vcc_lo
	v_cmp_le_u32_e32 vcc_lo, s57, v15
	v_cndmask_b32_e64 v22, 0, -1, vcc_lo
	v_cmp_le_u32_e32 vcc_lo, s56, v11
	;; [unrolled: 2-line block ×3, first 2 shown]
	v_cndmask_b32_e64 v24, 0, -1, vcc_lo
	v_cmp_eq_u32_e32 vcc_lo, s57, v15
	s_delay_alu instid0(VALU_DEP_2) | instskip(SKIP_3) | instid1(VALU_DEP_3)
	v_cndmask_b32_e64 v11, v24, v11, s0
	v_cndmask_b32_e32 v15, v22, v21, vcc_lo
	v_add_co_u32 v21, vcc_lo, v2, 1
	v_add_co_ci_u32_e32 v22, vcc_lo, 0, v18, vcc_lo
	v_cmp_ne_u32_e32 vcc_lo, 0, v15
	s_delay_alu instid0(VALU_DEP_2) | instskip(SKIP_2) | instid1(VALU_DEP_3)
	v_dual_cndmask_b32 v12, v22, v20 :: v_dual_cndmask_b32 v15, v21, v19
	v_cmp_ne_u32_e32 vcc_lo, 0, v11
	v_xor_b32_e32 v19, s54, v23
	v_cndmask_b32_e32 v11, v18, v12, vcc_lo
	s_delay_alu instid0(VALU_DEP_4) | instskip(NEXT) | instid1(VALU_DEP_2)
	v_cndmask_b32_e32 v2, v2, v15, vcc_lo
                                        ; implicit-def: $vgpr15
	v_xor_b32_e32 v12, v11, v19
	s_delay_alu instid0(VALU_DEP_2) | instskip(NEXT) | instid1(VALU_DEP_1)
	v_xor_b32_e32 v2, v2, v19
	v_sub_co_u32 v11, vcc_lo, v2, v19
	s_delay_alu instid0(VALU_DEP_3)
	v_sub_co_ci_u32_e32 v12, vcc_lo, v12, v19, vcc_lo
.LBB63_17:                              ;   in Loop: Header=BB63_3 Depth=1
	s_and_not1_saveexec_b32 s0, s53
	s_cbranch_execz .LBB63_19
; %bb.18:                               ;   in Loop: Header=BB63_3 Depth=1
	v_rcp_iflag_f32_e32 v2, v17
	s_sub_i32 s53, 0, s46
	s_waitcnt_depctr 0xfff
	v_mul_f32_e32 v2, 0x4f7ffffe, v2
	s_delay_alu instid0(VALU_DEP_1) | instskip(NEXT) | instid1(VALU_DEP_1)
	v_cvt_u32_f32_e32 v2, v2
	v_mul_lo_u32 v11, s53, v2
	s_delay_alu instid0(VALU_DEP_1) | instskip(NEXT) | instid1(VALU_DEP_1)
	v_mul_hi_u32 v11, v2, v11
	v_add_nc_u32_e32 v2, v2, v11
	s_delay_alu instid0(VALU_DEP_1) | instskip(NEXT) | instid1(VALU_DEP_1)
	v_mul_hi_u32 v2, v15, v2
	v_mul_lo_u32 v11, v2, s46
	v_add_nc_u32_e32 v12, 1, v2
	s_delay_alu instid0(VALU_DEP_2) | instskip(NEXT) | instid1(VALU_DEP_1)
	v_sub_nc_u32_e32 v11, v15, v11
	v_subrev_nc_u32_e32 v15, s46, v11
	v_cmp_le_u32_e32 vcc_lo, s46, v11
	s_delay_alu instid0(VALU_DEP_2) | instskip(NEXT) | instid1(VALU_DEP_1)
	v_dual_cndmask_b32 v11, v11, v15 :: v_dual_cndmask_b32 v2, v2, v12
	v_cmp_le_u32_e32 vcc_lo, s46, v11
	s_delay_alu instid0(VALU_DEP_2) | instskip(NEXT) | instid1(VALU_DEP_1)
	v_add_nc_u32_e32 v12, 1, v2
	v_dual_cndmask_b32 v11, v2, v12 :: v_dual_mov_b32 v12, v1
.LBB63_19:                              ;   in Loop: Header=BB63_3 Depth=1
	s_or_b32 exec_lo, exec_lo, s0
	s_delay_alu instid0(VALU_DEP_1) | instskip(NEXT) | instid1(VALU_DEP_2)
	v_mul_lo_u32 v2, v12, s46
	v_mul_lo_u32 v15, v11, s47
	v_mad_u64_u32 v[18:19], null, v11, s46, 0
	s_mov_b32 s0, exec_lo
	s_delay_alu instid0(VALU_DEP_1) | instskip(NEXT) | instid1(VALU_DEP_2)
	v_add3_u32 v2, v19, v15, v2
	v_sub_co_u32 v9, vcc_lo, v9, v18
	v_mul_lo_u32 v15, v12, s24
	v_mul_lo_u32 v18, v11, s25
	s_delay_alu instid0(VALU_DEP_4) | instskip(NEXT) | instid1(VALU_DEP_4)
	v_sub_co_ci_u32_e32 v2, vcc_lo, v10, v2, vcc_lo
	v_add_co_u32 v19, vcc_lo, v3, v9
	v_mad_u64_u32 v[9:10], null, v11, s24, 0
	s_delay_alu instid0(VALU_DEP_3) | instskip(NEXT) | instid1(VALU_DEP_3)
	v_add_co_ci_u32_e32 v2, vcc_lo, v4, v2, vcc_lo
	v_mul_lo_u32 v20, v19, s27
	v_mad_u64_u32 v[11:12], null, v19, s26, 0
	s_delay_alu instid0(VALU_DEP_3) | instskip(SKIP_1) | instid1(VALU_DEP_1)
	v_mul_lo_u32 v2, v2, s26
	v_add3_u32 v10, v10, v18, v15
	v_lshlrev_b64 v[9:10], 1, v[9:10]
	s_delay_alu instid0(VALU_DEP_3) | instskip(NEXT) | instid1(VALU_DEP_2)
	v_add3_u32 v12, v12, v20, v2
	v_add_co_u32 v2, vcc_lo, s44, v9
	s_delay_alu instid0(VALU_DEP_2) | instskip(NEXT) | instid1(VALU_DEP_4)
	v_lshlrev_b64 v[11:12], 1, v[11:12]
	v_add_co_ci_u32_e32 v10, vcc_lo, s45, v10, vcc_lo
	s_delay_alu instid0(VALU_DEP_2) | instskip(NEXT) | instid1(VALU_DEP_2)
	v_add_co_u32 v9, vcc_lo, v2, v11
	v_add_co_ci_u32_e32 v10, vcc_lo, v10, v12, vcc_lo
	v_add_co_u32 v2, vcc_lo, v7, 3
	global_load_u16 v15, v[9:10], off
	v_add_co_ci_u32_e32 v9, vcc_lo, 0, v8, vcc_lo
	v_mul_lo_u32 v11, s5, v2
	s_delay_alu instid0(VALU_DEP_2) | instskip(SKIP_1) | instid1(VALU_DEP_1)
	v_mul_lo_u32 v12, s4, v9
	v_mad_u64_u32 v[9:10], null, s4, v2, 0
	v_add3_u32 v10, v10, v12, v11
	s_delay_alu instid0(VALU_DEP_2) | instskip(NEXT) | instid1(VALU_DEP_2)
	v_add_co_u32 v18, vcc_lo, v3, v9
                                        ; implicit-def: $vgpr11_vgpr12
	v_add_co_ci_u32_e32 v19, vcc_lo, v4, v10, vcc_lo
	s_delay_alu instid0(VALU_DEP_1) | instskip(NEXT) | instid1(VALU_DEP_1)
	v_or_b32_e32 v2, s47, v19
	v_cmpx_ne_u64_e32 0, v[1:2]
	s_xor_b32 s53, exec_lo, s0
	s_cbranch_execz .LBB63_21
; %bb.20:                               ;   in Loop: Header=BB63_3 Depth=1
	s_ashr_i32 s54, s47, 31
	s_delay_alu instid0(SALU_CYCLE_1) | instskip(SKIP_2) | instid1(SALU_CYCLE_1)
	s_add_u32 s56, s46, s54
	s_mov_b32 s55, s54
	s_addc_u32 s57, s47, s54
	s_xor_b64 s[56:57], s[56:57], s[54:55]
	s_delay_alu instid0(SALU_CYCLE_1) | instskip(SKIP_3) | instid1(VALU_DEP_1)
	v_cvt_f32_u32_e32 v2, s56
	v_cvt_f32_u32_e32 v11, s57
	s_sub_u32 s0, 0, s56
	s_subb_u32 s55, 0, s57
	v_fmac_f32_e32 v2, 0x4f800000, v11
	s_delay_alu instid0(VALU_DEP_1) | instskip(SKIP_2) | instid1(VALU_DEP_1)
	v_rcp_f32_e32 v2, v2
	s_waitcnt_depctr 0xfff
	v_mul_f32_e32 v2, 0x5f7ffffc, v2
	v_mul_f32_e32 v11, 0x2f800000, v2
	s_delay_alu instid0(VALU_DEP_1) | instskip(NEXT) | instid1(VALU_DEP_1)
	v_trunc_f32_e32 v11, v11
	v_fmac_f32_e32 v2, 0xcf800000, v11
	v_cvt_u32_f32_e32 v11, v11
	s_delay_alu instid0(VALU_DEP_2) | instskip(NEXT) | instid1(VALU_DEP_2)
	v_cvt_u32_f32_e32 v2, v2
	v_mul_lo_u32 v12, s0, v11
	s_delay_alu instid0(VALU_DEP_2) | instskip(SKIP_1) | instid1(VALU_DEP_2)
	v_mul_hi_u32 v20, s0, v2
	v_mul_lo_u32 v21, s55, v2
	v_add_nc_u32_e32 v12, v20, v12
	v_mul_lo_u32 v20, s0, v2
	s_delay_alu instid0(VALU_DEP_2) | instskip(NEXT) | instid1(VALU_DEP_2)
	v_add_nc_u32_e32 v12, v12, v21
	v_mul_hi_u32 v21, v2, v20
	s_delay_alu instid0(VALU_DEP_2)
	v_mul_lo_u32 v22, v2, v12
	v_mul_hi_u32 v23, v2, v12
	v_mul_hi_u32 v24, v11, v20
	v_mul_lo_u32 v20, v11, v20
	v_mul_hi_u32 v25, v11, v12
	v_mul_lo_u32 v12, v11, v12
	v_add_co_u32 v21, vcc_lo, v21, v22
	v_add_co_ci_u32_e32 v22, vcc_lo, 0, v23, vcc_lo
	s_delay_alu instid0(VALU_DEP_2) | instskip(NEXT) | instid1(VALU_DEP_2)
	v_add_co_u32 v20, vcc_lo, v21, v20
	v_add_co_ci_u32_e32 v20, vcc_lo, v22, v24, vcc_lo
	v_add_co_ci_u32_e32 v21, vcc_lo, 0, v25, vcc_lo
	v_ashrrev_i32_e32 v24, 31, v19
	s_delay_alu instid0(VALU_DEP_3) | instskip(NEXT) | instid1(VALU_DEP_3)
	v_add_co_u32 v12, vcc_lo, v20, v12
	v_add_co_ci_u32_e32 v20, vcc_lo, 0, v21, vcc_lo
	s_delay_alu instid0(VALU_DEP_2) | instskip(NEXT) | instid1(VALU_DEP_2)
	v_add_co_u32 v2, vcc_lo, v2, v12
	v_add_co_ci_u32_e32 v11, vcc_lo, v11, v20, vcc_lo
	s_delay_alu instid0(VALU_DEP_2) | instskip(SKIP_1) | instid1(VALU_DEP_3)
	v_mul_hi_u32 v12, s0, v2
	v_mul_lo_u32 v21, s55, v2
	v_mul_lo_u32 v20, s0, v11
	s_delay_alu instid0(VALU_DEP_1) | instskip(SKIP_1) | instid1(VALU_DEP_2)
	v_add_nc_u32_e32 v12, v12, v20
	v_mul_lo_u32 v20, s0, v2
	v_add_nc_u32_e32 v12, v12, v21
	s_delay_alu instid0(VALU_DEP_2) | instskip(NEXT) | instid1(VALU_DEP_2)
	v_mul_hi_u32 v21, v2, v20
	v_mul_lo_u32 v22, v2, v12
	v_mul_hi_u32 v23, v2, v12
	v_mul_hi_u32 v25, v11, v20
	v_mul_lo_u32 v20, v11, v20
	v_mul_hi_u32 v26, v11, v12
	v_mul_lo_u32 v12, v11, v12
	v_add_co_u32 v21, vcc_lo, v21, v22
	v_add_co_ci_u32_e32 v22, vcc_lo, 0, v23, vcc_lo
	s_delay_alu instid0(VALU_DEP_2) | instskip(NEXT) | instid1(VALU_DEP_2)
	v_add_co_u32 v20, vcc_lo, v21, v20
	v_add_co_ci_u32_e32 v20, vcc_lo, v22, v25, vcc_lo
	v_add_co_ci_u32_e32 v21, vcc_lo, 0, v26, vcc_lo
	v_add_co_u32 v18, vcc_lo, v18, v24
	v_add_co_ci_u32_e32 v19, vcc_lo, v19, v24, vcc_lo
	s_delay_alu instid0(VALU_DEP_4) | instskip(NEXT) | instid1(VALU_DEP_4)
	v_add_co_u32 v12, vcc_lo, v20, v12
	v_add_co_ci_u32_e32 v20, vcc_lo, 0, v21, vcc_lo
	s_delay_alu instid0(VALU_DEP_4) | instskip(NEXT) | instid1(VALU_DEP_3)
	v_xor_b32_e32 v22, v18, v24
	v_add_co_u32 v2, vcc_lo, v2, v12
	s_delay_alu instid0(VALU_DEP_3) | instskip(SKIP_1) | instid1(VALU_DEP_3)
	v_add_co_ci_u32_e32 v23, vcc_lo, v11, v20, vcc_lo
	v_xor_b32_e32 v25, v19, v24
	v_mul_hi_u32 v26, v22, v2
	s_delay_alu instid0(VALU_DEP_3) | instskip(NEXT) | instid1(VALU_DEP_3)
	v_mad_u64_u32 v[11:12], null, v22, v23, 0
	v_mad_u64_u32 v[18:19], null, v25, v2, 0
	;; [unrolled: 1-line block ×3, first 2 shown]
	s_delay_alu instid0(VALU_DEP_3) | instskip(NEXT) | instid1(VALU_DEP_4)
	v_add_co_u32 v2, vcc_lo, v26, v11
	v_add_co_ci_u32_e32 v11, vcc_lo, 0, v12, vcc_lo
	s_delay_alu instid0(VALU_DEP_2) | instskip(NEXT) | instid1(VALU_DEP_2)
	v_add_co_u32 v2, vcc_lo, v2, v18
	v_add_co_ci_u32_e32 v2, vcc_lo, v11, v19, vcc_lo
	v_add_co_ci_u32_e32 v11, vcc_lo, 0, v21, vcc_lo
	s_delay_alu instid0(VALU_DEP_2) | instskip(NEXT) | instid1(VALU_DEP_2)
	v_add_co_u32 v2, vcc_lo, v2, v20
	v_add_co_ci_u32_e32 v18, vcc_lo, 0, v11, vcc_lo
	s_delay_alu instid0(VALU_DEP_2) | instskip(SKIP_1) | instid1(VALU_DEP_3)
	v_mul_lo_u32 v19, s57, v2
	v_mad_u64_u32 v[11:12], null, s56, v2, 0
	v_mul_lo_u32 v20, s56, v18
	s_delay_alu instid0(VALU_DEP_2) | instskip(NEXT) | instid1(VALU_DEP_2)
	v_sub_co_u32 v11, vcc_lo, v22, v11
	v_add3_u32 v12, v12, v20, v19
	s_delay_alu instid0(VALU_DEP_1) | instskip(NEXT) | instid1(VALU_DEP_1)
	v_sub_nc_u32_e32 v19, v25, v12
	v_subrev_co_ci_u32_e64 v19, s0, s57, v19, vcc_lo
	v_add_co_u32 v20, s0, v2, 2
	s_delay_alu instid0(VALU_DEP_1) | instskip(SKIP_3) | instid1(VALU_DEP_3)
	v_add_co_ci_u32_e64 v21, s0, 0, v18, s0
	v_sub_co_u32 v22, s0, v11, s56
	v_sub_co_ci_u32_e32 v12, vcc_lo, v25, v12, vcc_lo
	v_subrev_co_ci_u32_e64 v19, s0, 0, v19, s0
	v_cmp_le_u32_e32 vcc_lo, s56, v22
	s_delay_alu instid0(VALU_DEP_3) | instskip(SKIP_1) | instid1(VALU_DEP_4)
	v_cmp_eq_u32_e64 s0, s57, v12
	v_cndmask_b32_e64 v22, 0, -1, vcc_lo
	v_cmp_le_u32_e32 vcc_lo, s57, v19
	v_cndmask_b32_e64 v23, 0, -1, vcc_lo
	v_cmp_le_u32_e32 vcc_lo, s56, v11
	;; [unrolled: 2-line block ×3, first 2 shown]
	v_cndmask_b32_e64 v25, 0, -1, vcc_lo
	v_cmp_eq_u32_e32 vcc_lo, s57, v19
	s_delay_alu instid0(VALU_DEP_2) | instskip(SKIP_3) | instid1(VALU_DEP_3)
	v_cndmask_b32_e64 v11, v25, v11, s0
	v_cndmask_b32_e32 v19, v23, v22, vcc_lo
	v_add_co_u32 v22, vcc_lo, v2, 1
	v_add_co_ci_u32_e32 v23, vcc_lo, 0, v18, vcc_lo
	v_cmp_ne_u32_e32 vcc_lo, 0, v19
	s_delay_alu instid0(VALU_DEP_2) | instskip(SKIP_2) | instid1(VALU_DEP_3)
	v_dual_cndmask_b32 v12, v23, v21 :: v_dual_cndmask_b32 v19, v22, v20
	v_cmp_ne_u32_e32 vcc_lo, 0, v11
	v_xor_b32_e32 v20, s54, v24
	v_cndmask_b32_e32 v11, v18, v12, vcc_lo
	s_delay_alu instid0(VALU_DEP_4) | instskip(NEXT) | instid1(VALU_DEP_2)
	v_cndmask_b32_e32 v2, v2, v19, vcc_lo
                                        ; implicit-def: $vgpr18
	v_xor_b32_e32 v12, v11, v20
	s_delay_alu instid0(VALU_DEP_2) | instskip(NEXT) | instid1(VALU_DEP_1)
	v_xor_b32_e32 v2, v2, v20
	v_sub_co_u32 v11, vcc_lo, v2, v20
	s_delay_alu instid0(VALU_DEP_3)
	v_sub_co_ci_u32_e32 v12, vcc_lo, v12, v20, vcc_lo
.LBB63_21:                              ;   in Loop: Header=BB63_3 Depth=1
	s_and_not1_saveexec_b32 s0, s53
	s_cbranch_execz .LBB63_23
; %bb.22:                               ;   in Loop: Header=BB63_3 Depth=1
	v_rcp_iflag_f32_e32 v2, v17
	s_sub_i32 s53, 0, s46
	s_waitcnt_depctr 0xfff
	v_mul_f32_e32 v2, 0x4f7ffffe, v2
	s_delay_alu instid0(VALU_DEP_1) | instskip(NEXT) | instid1(VALU_DEP_1)
	v_cvt_u32_f32_e32 v2, v2
	v_mul_lo_u32 v11, s53, v2
	s_delay_alu instid0(VALU_DEP_1) | instskip(NEXT) | instid1(VALU_DEP_1)
	v_mul_hi_u32 v11, v2, v11
	v_add_nc_u32_e32 v2, v2, v11
	s_delay_alu instid0(VALU_DEP_1) | instskip(NEXT) | instid1(VALU_DEP_1)
	v_mul_hi_u32 v2, v18, v2
	v_mul_lo_u32 v11, v2, s46
	v_add_nc_u32_e32 v12, 1, v2
	s_delay_alu instid0(VALU_DEP_2) | instskip(NEXT) | instid1(VALU_DEP_1)
	v_sub_nc_u32_e32 v11, v18, v11
	v_subrev_nc_u32_e32 v18, s46, v11
	v_cmp_le_u32_e32 vcc_lo, s46, v11
	s_delay_alu instid0(VALU_DEP_2) | instskip(NEXT) | instid1(VALU_DEP_1)
	v_dual_cndmask_b32 v11, v11, v18 :: v_dual_cndmask_b32 v2, v2, v12
	v_cmp_le_u32_e32 vcc_lo, s46, v11
	s_delay_alu instid0(VALU_DEP_2) | instskip(NEXT) | instid1(VALU_DEP_1)
	v_add_nc_u32_e32 v12, 1, v2
	v_dual_cndmask_b32 v11, v2, v12 :: v_dual_mov_b32 v12, v1
.LBB63_23:                              ;   in Loop: Header=BB63_3 Depth=1
	s_or_b32 exec_lo, exec_lo, s0
	s_delay_alu instid0(VALU_DEP_1) | instskip(NEXT) | instid1(VALU_DEP_2)
	v_mul_lo_u32 v2, v12, s46
	v_mul_lo_u32 v20, v11, s47
	v_mad_u64_u32 v[18:19], null, v11, s46, 0
	s_mov_b32 s0, exec_lo
	s_delay_alu instid0(VALU_DEP_1) | instskip(NEXT) | instid1(VALU_DEP_2)
	v_add3_u32 v2, v19, v20, v2
	v_sub_co_u32 v9, vcc_lo, v9, v18
	v_mul_lo_u32 v19, v12, s24
	v_mul_lo_u32 v18, v11, s25
	s_delay_alu instid0(VALU_DEP_4) | instskip(NEXT) | instid1(VALU_DEP_4)
	v_sub_co_ci_u32_e32 v2, vcc_lo, v10, v2, vcc_lo
	v_add_co_u32 v20, vcc_lo, v3, v9
	v_mad_u64_u32 v[9:10], null, v11, s24, 0
	s_delay_alu instid0(VALU_DEP_3) | instskip(NEXT) | instid1(VALU_DEP_3)
	v_add_co_ci_u32_e32 v2, vcc_lo, v4, v2, vcc_lo
	v_mul_lo_u32 v21, v20, s27
	v_mad_u64_u32 v[11:12], null, v20, s26, 0
	s_delay_alu instid0(VALU_DEP_3) | instskip(SKIP_1) | instid1(VALU_DEP_1)
	v_mul_lo_u32 v2, v2, s26
	v_add3_u32 v10, v10, v18, v19
	v_lshlrev_b64 v[9:10], 1, v[9:10]
	s_delay_alu instid0(VALU_DEP_3) | instskip(NEXT) | instid1(VALU_DEP_2)
	v_add3_u32 v12, v12, v21, v2
	v_add_co_u32 v2, vcc_lo, s44, v9
	s_delay_alu instid0(VALU_DEP_2) | instskip(NEXT) | instid1(VALU_DEP_4)
	v_lshlrev_b64 v[11:12], 1, v[11:12]
	v_add_co_ci_u32_e32 v10, vcc_lo, s45, v10, vcc_lo
	s_delay_alu instid0(VALU_DEP_2) | instskip(NEXT) | instid1(VALU_DEP_2)
	v_add_co_u32 v9, vcc_lo, v2, v11
	v_add_co_ci_u32_e32 v10, vcc_lo, v10, v12, vcc_lo
	v_add_co_u32 v2, vcc_lo, v7, 4
	v_add_co_ci_u32_e32 v7, vcc_lo, 0, v8, vcc_lo
	global_load_u16 v18, v[9:10], off
	v_mul_lo_u32 v9, s5, v2
	v_mul_lo_u32 v10, s4, v7
	v_mad_u64_u32 v[7:8], null, s4, v2, 0
	s_delay_alu instid0(VALU_DEP_1) | instskip(NEXT) | instid1(VALU_DEP_2)
	v_add3_u32 v8, v8, v10, v9
	v_add_co_u32 v11, vcc_lo, v3, v7
                                        ; implicit-def: $vgpr9_vgpr10
	s_delay_alu instid0(VALU_DEP_2) | instskip(NEXT) | instid1(VALU_DEP_1)
	v_add_co_ci_u32_e32 v12, vcc_lo, v4, v8, vcc_lo
	v_or_b32_e32 v2, s47, v12
	s_delay_alu instid0(VALU_DEP_1)
	v_cmpx_ne_u64_e32 0, v[1:2]
	s_xor_b32 s53, exec_lo, s0
	s_cbranch_execz .LBB63_25
; %bb.24:                               ;   in Loop: Header=BB63_3 Depth=1
	s_ashr_i32 s54, s47, 31
	s_delay_alu instid0(SALU_CYCLE_1) | instskip(SKIP_2) | instid1(SALU_CYCLE_1)
	s_add_u32 s56, s46, s54
	s_mov_b32 s55, s54
	s_addc_u32 s57, s47, s54
	s_xor_b64 s[56:57], s[56:57], s[54:55]
	s_delay_alu instid0(SALU_CYCLE_1) | instskip(SKIP_3) | instid1(VALU_DEP_1)
	v_cvt_f32_u32_e32 v2, s56
	v_cvt_f32_u32_e32 v9, s57
	s_sub_u32 s0, 0, s56
	s_subb_u32 s55, 0, s57
	v_fmac_f32_e32 v2, 0x4f800000, v9
	s_delay_alu instid0(VALU_DEP_1) | instskip(SKIP_2) | instid1(VALU_DEP_1)
	v_rcp_f32_e32 v2, v2
	s_waitcnt_depctr 0xfff
	v_mul_f32_e32 v2, 0x5f7ffffc, v2
	v_mul_f32_e32 v9, 0x2f800000, v2
	s_delay_alu instid0(VALU_DEP_1) | instskip(NEXT) | instid1(VALU_DEP_1)
	v_trunc_f32_e32 v9, v9
	v_fmac_f32_e32 v2, 0xcf800000, v9
	v_cvt_u32_f32_e32 v9, v9
	s_delay_alu instid0(VALU_DEP_2) | instskip(NEXT) | instid1(VALU_DEP_2)
	v_cvt_u32_f32_e32 v2, v2
	v_mul_lo_u32 v10, s0, v9
	s_delay_alu instid0(VALU_DEP_2) | instskip(SKIP_1) | instid1(VALU_DEP_2)
	v_mul_hi_u32 v17, s0, v2
	v_mul_lo_u32 v19, s55, v2
	v_add_nc_u32_e32 v10, v17, v10
	v_mul_lo_u32 v17, s0, v2
	s_delay_alu instid0(VALU_DEP_2) | instskip(NEXT) | instid1(VALU_DEP_2)
	v_add_nc_u32_e32 v10, v10, v19
	v_mul_hi_u32 v19, v2, v17
	s_delay_alu instid0(VALU_DEP_2)
	v_mul_lo_u32 v20, v2, v10
	v_mul_hi_u32 v21, v2, v10
	v_mul_hi_u32 v22, v9, v17
	v_mul_lo_u32 v17, v9, v17
	v_mul_hi_u32 v23, v9, v10
	v_mul_lo_u32 v10, v9, v10
	v_add_co_u32 v19, vcc_lo, v19, v20
	v_add_co_ci_u32_e32 v20, vcc_lo, 0, v21, vcc_lo
	s_delay_alu instid0(VALU_DEP_2) | instskip(NEXT) | instid1(VALU_DEP_2)
	v_add_co_u32 v17, vcc_lo, v19, v17
	v_add_co_ci_u32_e32 v17, vcc_lo, v20, v22, vcc_lo
	v_add_co_ci_u32_e32 v19, vcc_lo, 0, v23, vcc_lo
	v_ashrrev_i32_e32 v22, 31, v12
	s_delay_alu instid0(VALU_DEP_3) | instskip(NEXT) | instid1(VALU_DEP_3)
	v_add_co_u32 v10, vcc_lo, v17, v10
	v_add_co_ci_u32_e32 v17, vcc_lo, 0, v19, vcc_lo
	s_delay_alu instid0(VALU_DEP_2) | instskip(NEXT) | instid1(VALU_DEP_2)
	v_add_co_u32 v2, vcc_lo, v2, v10
	v_add_co_ci_u32_e32 v9, vcc_lo, v9, v17, vcc_lo
	s_delay_alu instid0(VALU_DEP_2) | instskip(SKIP_1) | instid1(VALU_DEP_3)
	v_mul_hi_u32 v10, s0, v2
	v_mul_lo_u32 v19, s55, v2
	v_mul_lo_u32 v17, s0, v9
	s_delay_alu instid0(VALU_DEP_1) | instskip(SKIP_1) | instid1(VALU_DEP_2)
	v_add_nc_u32_e32 v10, v10, v17
	v_mul_lo_u32 v17, s0, v2
	v_add_nc_u32_e32 v10, v10, v19
	s_delay_alu instid0(VALU_DEP_2) | instskip(NEXT) | instid1(VALU_DEP_2)
	v_mul_hi_u32 v19, v2, v17
	v_mul_lo_u32 v20, v2, v10
	v_mul_hi_u32 v21, v2, v10
	v_mul_hi_u32 v23, v9, v17
	v_mul_lo_u32 v17, v9, v17
	v_mul_hi_u32 v24, v9, v10
	v_mul_lo_u32 v10, v9, v10
	v_add_co_u32 v19, vcc_lo, v19, v20
	v_add_co_ci_u32_e32 v20, vcc_lo, 0, v21, vcc_lo
	s_delay_alu instid0(VALU_DEP_2) | instskip(NEXT) | instid1(VALU_DEP_2)
	v_add_co_u32 v17, vcc_lo, v19, v17
	v_add_co_ci_u32_e32 v17, vcc_lo, v20, v23, vcc_lo
	v_add_co_ci_u32_e32 v19, vcc_lo, 0, v24, vcc_lo
	v_add_co_u32 v11, vcc_lo, v11, v22
	v_add_co_ci_u32_e32 v12, vcc_lo, v12, v22, vcc_lo
	s_delay_alu instid0(VALU_DEP_4) | instskip(NEXT) | instid1(VALU_DEP_4)
	v_add_co_u32 v10, vcc_lo, v17, v10
	v_add_co_ci_u32_e32 v17, vcc_lo, 0, v19, vcc_lo
	s_delay_alu instid0(VALU_DEP_4) | instskip(NEXT) | instid1(VALU_DEP_3)
	v_xor_b32_e32 v21, v11, v22
	v_add_co_u32 v2, vcc_lo, v2, v10
	s_delay_alu instid0(VALU_DEP_3) | instskip(SKIP_1) | instid1(VALU_DEP_3)
	v_add_co_ci_u32_e32 v17, vcc_lo, v9, v17, vcc_lo
	v_xor_b32_e32 v23, v12, v22
	v_mul_hi_u32 v24, v21, v2
	s_delay_alu instid0(VALU_DEP_3) | instskip(NEXT) | instid1(VALU_DEP_3)
	v_mad_u64_u32 v[9:10], null, v21, v17, 0
	v_mad_u64_u32 v[11:12], null, v23, v2, 0
	v_mad_u64_u32 v[19:20], null, v23, v17, 0
	s_delay_alu instid0(VALU_DEP_3) | instskip(NEXT) | instid1(VALU_DEP_4)
	v_add_co_u32 v2, vcc_lo, v24, v9
	v_add_co_ci_u32_e32 v9, vcc_lo, 0, v10, vcc_lo
	s_delay_alu instid0(VALU_DEP_2) | instskip(NEXT) | instid1(VALU_DEP_2)
	v_add_co_u32 v2, vcc_lo, v2, v11
	v_add_co_ci_u32_e32 v2, vcc_lo, v9, v12, vcc_lo
	v_add_co_ci_u32_e32 v9, vcc_lo, 0, v20, vcc_lo
	s_delay_alu instid0(VALU_DEP_2) | instskip(NEXT) | instid1(VALU_DEP_2)
	v_add_co_u32 v2, vcc_lo, v2, v19
	v_add_co_ci_u32_e32 v11, vcc_lo, 0, v9, vcc_lo
	s_delay_alu instid0(VALU_DEP_2) | instskip(SKIP_1) | instid1(VALU_DEP_3)
	v_mul_lo_u32 v12, s57, v2
	v_mad_u64_u32 v[9:10], null, s56, v2, 0
	v_mul_lo_u32 v17, s56, v11
	s_delay_alu instid0(VALU_DEP_2) | instskip(NEXT) | instid1(VALU_DEP_2)
	v_sub_co_u32 v9, vcc_lo, v21, v9
	v_add3_u32 v10, v10, v17, v12
	s_delay_alu instid0(VALU_DEP_1) | instskip(NEXT) | instid1(VALU_DEP_1)
	v_sub_nc_u32_e32 v12, v23, v10
	v_subrev_co_ci_u32_e64 v12, s0, s57, v12, vcc_lo
	v_add_co_u32 v17, s0, v2, 2
	s_delay_alu instid0(VALU_DEP_1) | instskip(SKIP_3) | instid1(VALU_DEP_3)
	v_add_co_ci_u32_e64 v19, s0, 0, v11, s0
	v_sub_co_u32 v20, s0, v9, s56
	v_sub_co_ci_u32_e32 v10, vcc_lo, v23, v10, vcc_lo
	v_subrev_co_ci_u32_e64 v12, s0, 0, v12, s0
	v_cmp_le_u32_e32 vcc_lo, s56, v20
	s_delay_alu instid0(VALU_DEP_3) | instskip(SKIP_1) | instid1(VALU_DEP_4)
	v_cmp_eq_u32_e64 s0, s57, v10
	v_cndmask_b32_e64 v20, 0, -1, vcc_lo
	v_cmp_le_u32_e32 vcc_lo, s57, v12
	v_cndmask_b32_e64 v21, 0, -1, vcc_lo
	v_cmp_le_u32_e32 vcc_lo, s56, v9
	;; [unrolled: 2-line block ×3, first 2 shown]
	v_cndmask_b32_e64 v23, 0, -1, vcc_lo
	v_cmp_eq_u32_e32 vcc_lo, s57, v12
	s_delay_alu instid0(VALU_DEP_2) | instskip(SKIP_3) | instid1(VALU_DEP_3)
	v_cndmask_b32_e64 v9, v23, v9, s0
	v_cndmask_b32_e32 v12, v21, v20, vcc_lo
	v_add_co_u32 v20, vcc_lo, v2, 1
	v_add_co_ci_u32_e32 v21, vcc_lo, 0, v11, vcc_lo
	v_cmp_ne_u32_e32 vcc_lo, 0, v12
	s_delay_alu instid0(VALU_DEP_2) | instskip(NEXT) | instid1(VALU_DEP_4)
	v_cndmask_b32_e32 v10, v21, v19, vcc_lo
	v_cndmask_b32_e32 v12, v20, v17, vcc_lo
	v_cmp_ne_u32_e32 vcc_lo, 0, v9
	v_xor_b32_e32 v17, s54, v22
	s_delay_alu instid0(VALU_DEP_3) | instskip(NEXT) | instid1(VALU_DEP_1)
	v_dual_cndmask_b32 v2, v2, v12 :: v_dual_cndmask_b32 v9, v11, v10
                                        ; implicit-def: $vgpr11
	v_xor_b32_e32 v2, v2, v17
	s_delay_alu instid0(VALU_DEP_2) | instskip(NEXT) | instid1(VALU_DEP_2)
	v_xor_b32_e32 v10, v9, v17
	v_sub_co_u32 v9, vcc_lo, v2, v17
	s_delay_alu instid0(VALU_DEP_2)
	v_sub_co_ci_u32_e32 v10, vcc_lo, v10, v17, vcc_lo
                                        ; implicit-def: $vgpr17
.LBB63_25:                              ;   in Loop: Header=BB63_3 Depth=1
	s_and_not1_saveexec_b32 s0, s53
	s_cbranch_execz .LBB63_27
; %bb.26:                               ;   in Loop: Header=BB63_3 Depth=1
	v_rcp_iflag_f32_e32 v2, v17
	s_sub_i32 s53, 0, s46
	s_waitcnt_depctr 0xfff
	v_mul_f32_e32 v2, 0x4f7ffffe, v2
	s_delay_alu instid0(VALU_DEP_1) | instskip(NEXT) | instid1(VALU_DEP_1)
	v_cvt_u32_f32_e32 v2, v2
	v_mul_lo_u32 v9, s53, v2
	s_delay_alu instid0(VALU_DEP_1) | instskip(NEXT) | instid1(VALU_DEP_1)
	v_mul_hi_u32 v9, v2, v9
	v_add_nc_u32_e32 v2, v2, v9
	s_delay_alu instid0(VALU_DEP_1) | instskip(NEXT) | instid1(VALU_DEP_1)
	v_mul_hi_u32 v2, v11, v2
	v_mul_lo_u32 v9, v2, s46
	v_add_nc_u32_e32 v10, 1, v2
	s_delay_alu instid0(VALU_DEP_2) | instskip(NEXT) | instid1(VALU_DEP_1)
	v_sub_nc_u32_e32 v9, v11, v9
	v_subrev_nc_u32_e32 v11, s46, v9
	v_cmp_le_u32_e32 vcc_lo, s46, v9
	s_delay_alu instid0(VALU_DEP_2) | instskip(NEXT) | instid1(VALU_DEP_1)
	v_dual_cndmask_b32 v9, v9, v11 :: v_dual_cndmask_b32 v2, v2, v10
	v_cmp_le_u32_e32 vcc_lo, s46, v9
	s_delay_alu instid0(VALU_DEP_2) | instskip(NEXT) | instid1(VALU_DEP_1)
	v_add_nc_u32_e32 v10, 1, v2
	v_dual_cndmask_b32 v9, v2, v10 :: v_dual_mov_b32 v10, v1
.LBB63_27:                              ;   in Loop: Header=BB63_3 Depth=1
	s_or_b32 exec_lo, exec_lo, s0
	s_delay_alu instid0(VALU_DEP_1) | instskip(NEXT) | instid1(VALU_DEP_2)
	v_mul_lo_u32 v2, v10, s46
	v_mul_lo_u32 v17, v9, s47
	v_mad_u64_u32 v[11:12], null, v9, s46, 0
	s_mov_b32 s0, exec_lo
	s_delay_alu instid0(VALU_DEP_1) | instskip(NEXT) | instid1(VALU_DEP_2)
	v_add3_u32 v2, v12, v17, v2
	v_sub_co_u32 v7, vcc_lo, v7, v11
	v_mul_lo_u32 v12, v10, s24
	v_mul_lo_u32 v11, v9, s25
	s_delay_alu instid0(VALU_DEP_4) | instskip(NEXT) | instid1(VALU_DEP_4)
	v_sub_co_ci_u32_e32 v2, vcc_lo, v8, v2, vcc_lo
	v_add_co_u32 v17, vcc_lo, v3, v7
	v_mad_u64_u32 v[7:8], null, v9, s24, 0
	s_delay_alu instid0(VALU_DEP_3) | instskip(NEXT) | instid1(VALU_DEP_3)
	v_add_co_ci_u32_e32 v2, vcc_lo, v4, v2, vcc_lo
	v_mul_lo_u32 v19, v17, s27
	v_mad_u64_u32 v[9:10], null, v17, s26, 0
	s_delay_alu instid0(VALU_DEP_3) | instskip(SKIP_1) | instid1(VALU_DEP_1)
	v_mul_lo_u32 v2, v2, s26
	v_add3_u32 v8, v8, v11, v12
	v_lshlrev_b64 v[7:8], 1, v[7:8]
	s_delay_alu instid0(VALU_DEP_3) | instskip(NEXT) | instid1(VALU_DEP_2)
	v_add3_u32 v10, v10, v19, v2
	v_add_co_u32 v2, vcc_lo, s44, v7
	s_delay_alu instid0(VALU_DEP_2) | instskip(NEXT) | instid1(VALU_DEP_4)
	v_lshlrev_b64 v[9:10], 1, v[9:10]
	v_add_co_ci_u32_e32 v8, vcc_lo, s45, v8, vcc_lo
	s_delay_alu instid0(VALU_DEP_2) | instskip(NEXT) | instid1(VALU_DEP_2)
	v_add_co_u32 v7, vcc_lo, v2, v9
	v_add_co_ci_u32_e32 v8, vcc_lo, v8, v10, vcc_lo
	v_or_b32_e32 v2, s39, v4
	global_load_u16 v11, v[7:8], off
                                        ; implicit-def: $vgpr7_vgpr8
	v_cmpx_ne_u64_e32 0, v[1:2]
	s_xor_b32 s53, exec_lo, s0
	s_cbranch_execz .LBB63_29
; %bb.28:                               ;   in Loop: Header=BB63_3 Depth=1
	s_ashr_i32 s54, s39, 31
	s_delay_alu instid0(SALU_CYCLE_1) | instskip(SKIP_2) | instid1(SALU_CYCLE_1)
	s_add_u32 s56, s38, s54
	s_mov_b32 s55, s54
	s_addc_u32 s57, s39, s54
	s_xor_b64 s[56:57], s[56:57], s[54:55]
	s_delay_alu instid0(SALU_CYCLE_1) | instskip(SKIP_3) | instid1(VALU_DEP_1)
	v_cvt_f32_u32_e32 v2, s56
	v_cvt_f32_u32_e32 v7, s57
	s_sub_u32 s0, 0, s56
	s_subb_u32 s55, 0, s57
	v_fmac_f32_e32 v2, 0x4f800000, v7
	s_delay_alu instid0(VALU_DEP_1) | instskip(SKIP_2) | instid1(VALU_DEP_1)
	v_rcp_f32_e32 v2, v2
	s_waitcnt_depctr 0xfff
	v_mul_f32_e32 v2, 0x5f7ffffc, v2
	v_mul_f32_e32 v7, 0x2f800000, v2
	s_delay_alu instid0(VALU_DEP_1) | instskip(NEXT) | instid1(VALU_DEP_1)
	v_trunc_f32_e32 v7, v7
	v_fmac_f32_e32 v2, 0xcf800000, v7
	v_cvt_u32_f32_e32 v7, v7
	s_delay_alu instid0(VALU_DEP_2) | instskip(NEXT) | instid1(VALU_DEP_2)
	v_cvt_u32_f32_e32 v2, v2
	v_mul_lo_u32 v8, s0, v7
	s_delay_alu instid0(VALU_DEP_2) | instskip(SKIP_1) | instid1(VALU_DEP_2)
	v_mul_hi_u32 v9, s0, v2
	v_mul_lo_u32 v10, s55, v2
	v_add_nc_u32_e32 v8, v9, v8
	v_mul_lo_u32 v9, s0, v2
	s_delay_alu instid0(VALU_DEP_2) | instskip(NEXT) | instid1(VALU_DEP_2)
	v_add_nc_u32_e32 v8, v8, v10
	v_mul_hi_u32 v10, v2, v9
	s_delay_alu instid0(VALU_DEP_2)
	v_mul_lo_u32 v12, v2, v8
	v_mul_hi_u32 v17, v2, v8
	v_mul_hi_u32 v19, v7, v9
	v_mul_lo_u32 v9, v7, v9
	v_mul_hi_u32 v20, v7, v8
	v_mul_lo_u32 v8, v7, v8
	v_add_co_u32 v10, vcc_lo, v10, v12
	v_add_co_ci_u32_e32 v12, vcc_lo, 0, v17, vcc_lo
	s_delay_alu instid0(VALU_DEP_2) | instskip(NEXT) | instid1(VALU_DEP_2)
	v_add_co_u32 v9, vcc_lo, v10, v9
	v_add_co_ci_u32_e32 v9, vcc_lo, v12, v19, vcc_lo
	v_add_co_ci_u32_e32 v10, vcc_lo, 0, v20, vcc_lo
	s_delay_alu instid0(VALU_DEP_2) | instskip(NEXT) | instid1(VALU_DEP_2)
	v_add_co_u32 v8, vcc_lo, v9, v8
	v_add_co_ci_u32_e32 v9, vcc_lo, 0, v10, vcc_lo
	s_delay_alu instid0(VALU_DEP_2) | instskip(NEXT) | instid1(VALU_DEP_2)
	v_add_co_u32 v2, vcc_lo, v2, v8
	v_add_co_ci_u32_e32 v7, vcc_lo, v7, v9, vcc_lo
	s_delay_alu instid0(VALU_DEP_2) | instskip(SKIP_1) | instid1(VALU_DEP_3)
	v_mul_hi_u32 v8, s0, v2
	v_mul_lo_u32 v10, s55, v2
	v_mul_lo_u32 v9, s0, v7
	s_delay_alu instid0(VALU_DEP_1) | instskip(SKIP_1) | instid1(VALU_DEP_2)
	v_add_nc_u32_e32 v8, v8, v9
	v_mul_lo_u32 v9, s0, v2
	v_add_nc_u32_e32 v8, v8, v10
	s_delay_alu instid0(VALU_DEP_2) | instskip(NEXT) | instid1(VALU_DEP_2)
	v_mul_hi_u32 v10, v2, v9
	v_mul_lo_u32 v12, v2, v8
	v_mul_hi_u32 v17, v2, v8
	v_mul_hi_u32 v19, v7, v9
	v_mul_lo_u32 v9, v7, v9
	v_mul_hi_u32 v20, v7, v8
	v_mul_lo_u32 v8, v7, v8
	v_add_co_u32 v10, vcc_lo, v10, v12
	v_add_co_ci_u32_e32 v12, vcc_lo, 0, v17, vcc_lo
	s_delay_alu instid0(VALU_DEP_2) | instskip(NEXT) | instid1(VALU_DEP_2)
	v_add_co_u32 v9, vcc_lo, v10, v9
	v_add_co_ci_u32_e32 v9, vcc_lo, v12, v19, vcc_lo
	v_add_co_ci_u32_e32 v10, vcc_lo, 0, v20, vcc_lo
	v_add_co_u32 v12, vcc_lo, v3, v13
	v_add_co_ci_u32_e32 v17, vcc_lo, v4, v13, vcc_lo
	s_delay_alu instid0(VALU_DEP_4) | instskip(NEXT) | instid1(VALU_DEP_4)
	v_add_co_u32 v8, vcc_lo, v9, v8
	v_add_co_ci_u32_e32 v9, vcc_lo, 0, v10, vcc_lo
	s_delay_alu instid0(VALU_DEP_4) | instskip(NEXT) | instid1(VALU_DEP_3)
	v_xor_b32_e32 v12, v12, v13
	v_add_co_u32 v2, vcc_lo, v2, v8
	s_delay_alu instid0(VALU_DEP_3) | instskip(SKIP_1) | instid1(VALU_DEP_3)
	v_add_co_ci_u32_e32 v21, vcc_lo, v7, v9, vcc_lo
	v_xor_b32_e32 v17, v17, v13
	v_mul_hi_u32 v22, v12, v2
	s_delay_alu instid0(VALU_DEP_3) | instskip(NEXT) | instid1(VALU_DEP_3)
	v_mad_u64_u32 v[7:8], null, v12, v21, 0
	v_mad_u64_u32 v[9:10], null, v17, v2, 0
	;; [unrolled: 1-line block ×3, first 2 shown]
	s_delay_alu instid0(VALU_DEP_3) | instskip(NEXT) | instid1(VALU_DEP_4)
	v_add_co_u32 v2, vcc_lo, v22, v7
	v_add_co_ci_u32_e32 v7, vcc_lo, 0, v8, vcc_lo
	s_delay_alu instid0(VALU_DEP_2) | instskip(NEXT) | instid1(VALU_DEP_2)
	v_add_co_u32 v2, vcc_lo, v2, v9
	v_add_co_ci_u32_e32 v2, vcc_lo, v7, v10, vcc_lo
	v_add_co_ci_u32_e32 v7, vcc_lo, 0, v20, vcc_lo
	s_delay_alu instid0(VALU_DEP_2) | instskip(NEXT) | instid1(VALU_DEP_2)
	v_add_co_u32 v2, vcc_lo, v2, v19
	v_add_co_ci_u32_e32 v9, vcc_lo, 0, v7, vcc_lo
	s_delay_alu instid0(VALU_DEP_2) | instskip(SKIP_1) | instid1(VALU_DEP_3)
	v_mul_lo_u32 v10, s57, v2
	v_mad_u64_u32 v[7:8], null, s56, v2, 0
	v_mul_lo_u32 v19, s56, v9
	s_delay_alu instid0(VALU_DEP_2) | instskip(NEXT) | instid1(VALU_DEP_2)
	v_sub_co_u32 v7, vcc_lo, v12, v7
	v_add3_u32 v8, v8, v19, v10
	s_delay_alu instid0(VALU_DEP_1) | instskip(NEXT) | instid1(VALU_DEP_1)
	v_sub_nc_u32_e32 v10, v17, v8
	v_subrev_co_ci_u32_e64 v10, s0, s57, v10, vcc_lo
	v_add_co_u32 v12, s0, v2, 2
	s_delay_alu instid0(VALU_DEP_1) | instskip(SKIP_3) | instid1(VALU_DEP_3)
	v_add_co_ci_u32_e64 v19, s0, 0, v9, s0
	v_sub_co_u32 v20, s0, v7, s56
	v_sub_co_ci_u32_e32 v8, vcc_lo, v17, v8, vcc_lo
	v_subrev_co_ci_u32_e64 v10, s0, 0, v10, s0
	v_cmp_le_u32_e32 vcc_lo, s56, v20
	s_delay_alu instid0(VALU_DEP_3) | instskip(SKIP_1) | instid1(VALU_DEP_4)
	v_cmp_eq_u32_e64 s0, s57, v8
	v_cndmask_b32_e64 v17, 0, -1, vcc_lo
	v_cmp_le_u32_e32 vcc_lo, s57, v10
	v_cndmask_b32_e64 v20, 0, -1, vcc_lo
	v_cmp_le_u32_e32 vcc_lo, s56, v7
	;; [unrolled: 2-line block ×3, first 2 shown]
	v_cndmask_b32_e64 v21, 0, -1, vcc_lo
	v_cmp_eq_u32_e32 vcc_lo, s57, v10
	s_delay_alu instid0(VALU_DEP_2) | instskip(SKIP_3) | instid1(VALU_DEP_3)
	v_cndmask_b32_e64 v7, v21, v7, s0
	v_cndmask_b32_e32 v10, v20, v17, vcc_lo
	v_add_co_u32 v17, vcc_lo, v2, 1
	v_add_co_ci_u32_e32 v20, vcc_lo, 0, v9, vcc_lo
	v_cmp_ne_u32_e32 vcc_lo, 0, v10
	s_delay_alu instid0(VALU_DEP_2) | instskip(NEXT) | instid1(VALU_DEP_4)
	v_cndmask_b32_e32 v8, v20, v19, vcc_lo
	v_cndmask_b32_e32 v10, v17, v12, vcc_lo
	v_cmp_ne_u32_e32 vcc_lo, 0, v7
	v_xor_b32_e32 v12, s54, v13
	s_delay_alu instid0(VALU_DEP_3) | instskip(NEXT) | instid1(VALU_DEP_1)
	v_dual_cndmask_b32 v2, v2, v10 :: v_dual_cndmask_b32 v7, v9, v8
	v_xor_b32_e32 v2, v2, v12
	s_delay_alu instid0(VALU_DEP_2) | instskip(NEXT) | instid1(VALU_DEP_2)
	v_xor_b32_e32 v8, v7, v12
	v_sub_co_u32 v7, vcc_lo, v2, v12
	s_delay_alu instid0(VALU_DEP_2)
	v_sub_co_ci_u32_e32 v8, vcc_lo, v8, v12, vcc_lo
.LBB63_29:                              ;   in Loop: Header=BB63_3 Depth=1
	s_and_not1_saveexec_b32 s0, s53
	s_cbranch_execz .LBB63_31
; %bb.30:                               ;   in Loop: Header=BB63_3 Depth=1
	v_cvt_f32_u32_e32 v2, s38
	s_sub_i32 s53, 0, s38
	s_delay_alu instid0(VALU_DEP_1) | instskip(SKIP_2) | instid1(VALU_DEP_1)
	v_rcp_iflag_f32_e32 v2, v2
	s_waitcnt_depctr 0xfff
	v_mul_f32_e32 v2, 0x4f7ffffe, v2
	v_cvt_u32_f32_e32 v2, v2
	s_delay_alu instid0(VALU_DEP_1) | instskip(NEXT) | instid1(VALU_DEP_1)
	v_mul_lo_u32 v7, s53, v2
	v_mul_hi_u32 v7, v2, v7
	s_delay_alu instid0(VALU_DEP_1) | instskip(NEXT) | instid1(VALU_DEP_1)
	v_add_nc_u32_e32 v2, v2, v7
	v_mul_hi_u32 v2, v3, v2
	s_delay_alu instid0(VALU_DEP_1) | instskip(SKIP_1) | instid1(VALU_DEP_2)
	v_mul_lo_u32 v7, v2, s38
	v_add_nc_u32_e32 v8, 1, v2
	v_sub_nc_u32_e32 v7, v3, v7
	s_delay_alu instid0(VALU_DEP_1) | instskip(SKIP_1) | instid1(VALU_DEP_2)
	v_subrev_nc_u32_e32 v9, s38, v7
	v_cmp_le_u32_e32 vcc_lo, s38, v7
	v_dual_cndmask_b32 v7, v7, v9 :: v_dual_cndmask_b32 v2, v2, v8
	s_delay_alu instid0(VALU_DEP_1) | instskip(NEXT) | instid1(VALU_DEP_2)
	v_cmp_le_u32_e32 vcc_lo, s38, v7
	v_add_nc_u32_e32 v8, 1, v2
	s_delay_alu instid0(VALU_DEP_1)
	v_dual_cndmask_b32 v7, v2, v8 :: v_dual_mov_b32 v8, v1
.LBB63_31:                              ;   in Loop: Header=BB63_3 Depth=1
	s_or_b32 exec_lo, exec_lo, s0
	s_delay_alu instid0(VALU_DEP_1) | instskip(NEXT) | instid1(VALU_DEP_2)
	v_mad_u64_u32 v[9:10], null, s58, v7, v[3:4]
	v_mul_lo_u32 v2, s58, v8
	v_mul_lo_u32 v12, s59, v7
	;; [unrolled: 1-line block ×4, first 2 shown]
	v_mad_u64_u32 v[19:20], null, v7, s16, 0
	v_mad_u64_u32 v[7:8], null, v9, s18, 0
	s_mov_b32 s0, exec_lo
	v_add3_u32 v2, v12, v10, v2
	v_mul_lo_u32 v10, v9, s19
	s_delay_alu instid0(VALU_DEP_4) | instskip(NEXT) | instid1(VALU_DEP_3)
	v_add3_u32 v20, v20, v21, v17
	v_mul_lo_u32 v2, v2, s18
	s_delay_alu instid0(VALU_DEP_1) | instskip(NEXT) | instid1(VALU_DEP_3)
	v_add3_u32 v8, v8, v10, v2
	v_lshlrev_b64 v[9:10], 1, v[19:20]
	s_delay_alu instid0(VALU_DEP_2) | instskip(NEXT) | instid1(VALU_DEP_2)
	v_lshlrev_b64 v[7:8], 1, v[7:8]
	v_add_co_u32 v2, vcc_lo, s36, v9
	s_delay_alu instid0(VALU_DEP_3) | instskip(NEXT) | instid1(VALU_DEP_2)
	v_add_co_ci_u32_e32 v9, vcc_lo, s37, v10, vcc_lo
	v_add_co_u32 v7, vcc_lo, v2, v7
	s_delay_alu instid0(VALU_DEP_2) | instskip(SKIP_4) | instid1(VALU_DEP_1)
	v_add_co_ci_u32_e32 v8, vcc_lo, v9, v8, vcc_lo
	v_mul_lo_u32 v2, s51, v5
	v_mul_lo_u32 v9, s50, v6
	global_load_u16 v12, v[7:8], off
	v_mad_u64_u32 v[7:8], null, s50, v5, 0
	v_add3_u32 v8, v8, v9, v2
	s_delay_alu instid0(VALU_DEP_2) | instskip(NEXT) | instid1(VALU_DEP_2)
	v_add_co_u32 v21, vcc_lo, v3, v7
                                        ; implicit-def: $vgpr9_vgpr10
	v_add_co_ci_u32_e32 v22, vcc_lo, v4, v8, vcc_lo
	s_delay_alu instid0(VALU_DEP_1) | instskip(SKIP_1) | instid1(VALU_DEP_2)
	v_or_b32_e32 v2, s29, v22
	v_ashrrev_i32_e32 v19, 31, v22
	v_cmpx_ne_u64_e32 0, v[1:2]
	s_xor_b32 s53, exec_lo, s0
	s_cbranch_execz .LBB63_33
; %bb.32:                               ;   in Loop: Header=BB63_3 Depth=1
	s_ashr_i32 s54, s29, 31
	s_delay_alu instid0(SALU_CYCLE_1) | instskip(SKIP_2) | instid1(SALU_CYCLE_1)
	s_add_u32 s56, s28, s54
	s_mov_b32 s55, s54
	s_addc_u32 s57, s29, s54
	s_xor_b64 s[56:57], s[56:57], s[54:55]
	s_delay_alu instid0(SALU_CYCLE_1) | instskip(SKIP_3) | instid1(VALU_DEP_1)
	v_cvt_f32_u32_e32 v2, s56
	v_cvt_f32_u32_e32 v9, s57
	s_sub_u32 s0, 0, s56
	s_subb_u32 s55, 0, s57
	v_fmac_f32_e32 v2, 0x4f800000, v9
	s_delay_alu instid0(VALU_DEP_1) | instskip(SKIP_2) | instid1(VALU_DEP_1)
	v_rcp_f32_e32 v2, v2
	s_waitcnt_depctr 0xfff
	v_mul_f32_e32 v2, 0x5f7ffffc, v2
	v_mul_f32_e32 v9, 0x2f800000, v2
	s_delay_alu instid0(VALU_DEP_1) | instskip(NEXT) | instid1(VALU_DEP_1)
	v_trunc_f32_e32 v9, v9
	v_fmac_f32_e32 v2, 0xcf800000, v9
	v_cvt_u32_f32_e32 v9, v9
	s_delay_alu instid0(VALU_DEP_2) | instskip(NEXT) | instid1(VALU_DEP_2)
	v_cvt_u32_f32_e32 v2, v2
	v_mul_lo_u32 v10, s0, v9
	s_delay_alu instid0(VALU_DEP_2) | instskip(SKIP_1) | instid1(VALU_DEP_2)
	v_mul_hi_u32 v17, s0, v2
	v_mul_lo_u32 v20, s55, v2
	v_add_nc_u32_e32 v10, v17, v10
	v_mul_lo_u32 v17, s0, v2
	s_delay_alu instid0(VALU_DEP_2) | instskip(NEXT) | instid1(VALU_DEP_2)
	v_add_nc_u32_e32 v10, v10, v20
	v_mul_hi_u32 v20, v2, v17
	s_delay_alu instid0(VALU_DEP_2)
	v_mul_lo_u32 v23, v2, v10
	v_mul_hi_u32 v24, v2, v10
	v_mul_hi_u32 v25, v9, v17
	v_mul_lo_u32 v17, v9, v17
	v_mul_hi_u32 v26, v9, v10
	v_mul_lo_u32 v10, v9, v10
	v_add_co_u32 v20, vcc_lo, v20, v23
	v_add_co_ci_u32_e32 v23, vcc_lo, 0, v24, vcc_lo
	s_delay_alu instid0(VALU_DEP_2) | instskip(NEXT) | instid1(VALU_DEP_2)
	v_add_co_u32 v17, vcc_lo, v20, v17
	v_add_co_ci_u32_e32 v17, vcc_lo, v23, v25, vcc_lo
	v_add_co_ci_u32_e32 v20, vcc_lo, 0, v26, vcc_lo
	s_delay_alu instid0(VALU_DEP_2) | instskip(NEXT) | instid1(VALU_DEP_2)
	v_add_co_u32 v10, vcc_lo, v17, v10
	v_add_co_ci_u32_e32 v17, vcc_lo, 0, v20, vcc_lo
	s_delay_alu instid0(VALU_DEP_2) | instskip(NEXT) | instid1(VALU_DEP_2)
	v_add_co_u32 v2, vcc_lo, v2, v10
	v_add_co_ci_u32_e32 v9, vcc_lo, v9, v17, vcc_lo
	s_delay_alu instid0(VALU_DEP_2) | instskip(SKIP_1) | instid1(VALU_DEP_3)
	v_mul_hi_u32 v10, s0, v2
	v_mul_lo_u32 v20, s55, v2
	v_mul_lo_u32 v17, s0, v9
	s_delay_alu instid0(VALU_DEP_1) | instskip(SKIP_1) | instid1(VALU_DEP_2)
	v_add_nc_u32_e32 v10, v10, v17
	v_mul_lo_u32 v17, s0, v2
	v_add_nc_u32_e32 v10, v10, v20
	s_delay_alu instid0(VALU_DEP_2) | instskip(NEXT) | instid1(VALU_DEP_2)
	v_mul_hi_u32 v20, v2, v17
	v_mul_lo_u32 v23, v2, v10
	v_mul_hi_u32 v24, v2, v10
	v_mul_hi_u32 v25, v9, v17
	v_mul_lo_u32 v17, v9, v17
	v_mul_hi_u32 v26, v9, v10
	v_mul_lo_u32 v10, v9, v10
	v_add_co_u32 v20, vcc_lo, v20, v23
	v_add_co_ci_u32_e32 v23, vcc_lo, 0, v24, vcc_lo
	s_delay_alu instid0(VALU_DEP_2) | instskip(NEXT) | instid1(VALU_DEP_2)
	v_add_co_u32 v17, vcc_lo, v20, v17
	v_add_co_ci_u32_e32 v17, vcc_lo, v23, v25, vcc_lo
	v_add_co_ci_u32_e32 v20, vcc_lo, 0, v26, vcc_lo
	v_add_co_u32 v23, vcc_lo, v21, v19
	v_add_co_ci_u32_e32 v24, vcc_lo, v22, v19, vcc_lo
	s_delay_alu instid0(VALU_DEP_4) | instskip(NEXT) | instid1(VALU_DEP_4)
	v_add_co_u32 v10, vcc_lo, v17, v10
	v_add_co_ci_u32_e32 v17, vcc_lo, 0, v20, vcc_lo
	s_delay_alu instid0(VALU_DEP_4) | instskip(NEXT) | instid1(VALU_DEP_3)
	v_xor_b32_e32 v20, v23, v19
	v_add_co_u32 v2, vcc_lo, v2, v10
	s_delay_alu instid0(VALU_DEP_3) | instskip(SKIP_1) | instid1(VALU_DEP_3)
	v_add_co_ci_u32_e32 v17, vcc_lo, v9, v17, vcc_lo
	v_xor_b32_e32 v27, v24, v19
	v_mul_hi_u32 v28, v20, v2
	s_delay_alu instid0(VALU_DEP_3) | instskip(NEXT) | instid1(VALU_DEP_3)
	v_mad_u64_u32 v[9:10], null, v20, v17, 0
	v_mad_u64_u32 v[23:24], null, v27, v2, 0
	;; [unrolled: 1-line block ×3, first 2 shown]
	s_delay_alu instid0(VALU_DEP_3) | instskip(NEXT) | instid1(VALU_DEP_4)
	v_add_co_u32 v2, vcc_lo, v28, v9
	v_add_co_ci_u32_e32 v9, vcc_lo, 0, v10, vcc_lo
	s_delay_alu instid0(VALU_DEP_2) | instskip(NEXT) | instid1(VALU_DEP_2)
	v_add_co_u32 v2, vcc_lo, v2, v23
	v_add_co_ci_u32_e32 v2, vcc_lo, v9, v24, vcc_lo
	v_add_co_ci_u32_e32 v9, vcc_lo, 0, v26, vcc_lo
	s_delay_alu instid0(VALU_DEP_2) | instskip(NEXT) | instid1(VALU_DEP_2)
	v_add_co_u32 v2, vcc_lo, v2, v25
	v_add_co_ci_u32_e32 v17, vcc_lo, 0, v9, vcc_lo
	s_delay_alu instid0(VALU_DEP_2) | instskip(SKIP_1) | instid1(VALU_DEP_3)
	v_mul_lo_u32 v23, s57, v2
	v_mad_u64_u32 v[9:10], null, s56, v2, 0
	v_mul_lo_u32 v24, s56, v17
	s_delay_alu instid0(VALU_DEP_2) | instskip(NEXT) | instid1(VALU_DEP_2)
	v_sub_co_u32 v9, vcc_lo, v20, v9
	v_add3_u32 v10, v10, v24, v23
	s_delay_alu instid0(VALU_DEP_1) | instskip(NEXT) | instid1(VALU_DEP_1)
	v_sub_nc_u32_e32 v23, v27, v10
	v_subrev_co_ci_u32_e64 v20, s0, s57, v23, vcc_lo
	v_add_co_u32 v23, s0, v2, 2
	s_delay_alu instid0(VALU_DEP_1) | instskip(SKIP_3) | instid1(VALU_DEP_3)
	v_add_co_ci_u32_e64 v24, s0, 0, v17, s0
	v_sub_co_u32 v25, s0, v9, s56
	v_sub_co_ci_u32_e32 v10, vcc_lo, v27, v10, vcc_lo
	v_subrev_co_ci_u32_e64 v20, s0, 0, v20, s0
	v_cmp_le_u32_e32 vcc_lo, s56, v25
	s_delay_alu instid0(VALU_DEP_3) | instskip(SKIP_1) | instid1(VALU_DEP_4)
	v_cmp_eq_u32_e64 s0, s57, v10
	v_cndmask_b32_e64 v25, 0, -1, vcc_lo
	v_cmp_le_u32_e32 vcc_lo, s57, v20
	v_cndmask_b32_e64 v26, 0, -1, vcc_lo
	v_cmp_le_u32_e32 vcc_lo, s56, v9
	;; [unrolled: 2-line block ×3, first 2 shown]
	v_cndmask_b32_e64 v27, 0, -1, vcc_lo
	v_cmp_eq_u32_e32 vcc_lo, s57, v20
	s_delay_alu instid0(VALU_DEP_2) | instskip(SKIP_3) | instid1(VALU_DEP_3)
	v_cndmask_b32_e64 v9, v27, v9, s0
	v_cndmask_b32_e32 v20, v26, v25, vcc_lo
	v_add_co_u32 v25, vcc_lo, v2, 1
	v_add_co_ci_u32_e32 v26, vcc_lo, 0, v17, vcc_lo
	v_cmp_ne_u32_e32 vcc_lo, 0, v20
	s_delay_alu instid0(VALU_DEP_2) | instskip(NEXT) | instid1(VALU_DEP_4)
	v_cndmask_b32_e32 v10, v26, v24, vcc_lo
	v_cndmask_b32_e32 v20, v25, v23, vcc_lo
	v_cmp_ne_u32_e32 vcc_lo, 0, v9
	v_xor_b32_e32 v23, s54, v19
	s_delay_alu instid0(VALU_DEP_3) | instskip(NEXT) | instid1(VALU_DEP_1)
	v_dual_cndmask_b32 v2, v2, v20 :: v_dual_cndmask_b32 v9, v17, v10
	v_xor_b32_e32 v2, v2, v23
	s_delay_alu instid0(VALU_DEP_2) | instskip(NEXT) | instid1(VALU_DEP_2)
	v_xor_b32_e32 v10, v9, v23
	v_sub_co_u32 v9, vcc_lo, v2, v23
	s_delay_alu instid0(VALU_DEP_2)
	v_sub_co_ci_u32_e32 v10, vcc_lo, v10, v23, vcc_lo
.LBB63_33:                              ;   in Loop: Header=BB63_3 Depth=1
	s_or_saveexec_b32 s0, s53
	v_cvt_f32_u32_e32 v29, s28
	s_xor_b32 exec_lo, exec_lo, s0
	s_cbranch_execz .LBB63_35
; %bb.34:                               ;   in Loop: Header=BB63_3 Depth=1
	s_delay_alu instid0(VALU_DEP_1) | instskip(SKIP_3) | instid1(VALU_DEP_1)
	v_rcp_iflag_f32_e32 v2, v29
	s_sub_i32 s53, 0, s28
	s_waitcnt_depctr 0xfff
	v_mul_f32_e32 v2, 0x4f7ffffe, v2
	v_cvt_u32_f32_e32 v2, v2
	s_delay_alu instid0(VALU_DEP_1) | instskip(NEXT) | instid1(VALU_DEP_1)
	v_mul_lo_u32 v9, s53, v2
	v_mul_hi_u32 v9, v2, v9
	s_delay_alu instid0(VALU_DEP_1) | instskip(NEXT) | instid1(VALU_DEP_1)
	v_add_nc_u32_e32 v2, v2, v9
	v_mul_hi_u32 v2, v21, v2
	s_delay_alu instid0(VALU_DEP_1) | instskip(SKIP_1) | instid1(VALU_DEP_2)
	v_mul_lo_u32 v9, v2, s28
	v_add_nc_u32_e32 v10, 1, v2
	v_sub_nc_u32_e32 v9, v21, v9
	s_delay_alu instid0(VALU_DEP_1) | instskip(SKIP_1) | instid1(VALU_DEP_2)
	v_subrev_nc_u32_e32 v17, s28, v9
	v_cmp_le_u32_e32 vcc_lo, s28, v9
	v_dual_cndmask_b32 v9, v9, v17 :: v_dual_cndmask_b32 v2, v2, v10
	s_delay_alu instid0(VALU_DEP_1) | instskip(NEXT) | instid1(VALU_DEP_2)
	v_cmp_le_u32_e32 vcc_lo, s28, v9
	v_add_nc_u32_e32 v10, 1, v2
	s_delay_alu instid0(VALU_DEP_1)
	v_dual_cndmask_b32 v9, v2, v10 :: v_dual_mov_b32 v10, v1
.LBB63_35:                              ;   in Loop: Header=BB63_3 Depth=1
	s_or_b32 exec_lo, exec_lo, s0
	s_waitcnt vmcnt(3)
	v_lshlrev_b32_e32 v26, 16, v15
	s_waitcnt vmcnt(1)
	v_lshlrev_b32_e32 v27, 16, v11
	;; [unrolled: 2-line block ×3, first 2 shown]
	v_lshlrev_b32_e32 v14, 16, v14
	v_mul_lo_u32 v2, v10, s28
	v_mul_lo_u32 v20, v9, s29
	v_mad_u64_u32 v[23:24], null, v9, s28, 0
	s_delay_alu instid0(VALU_DEP_4)
	v_sub_f32_e32 v25, 1.0, v14
	v_fma_f32 v12, -v26, v26, 1.0
	v_mul_lo_u32 v28, v10, s8
	v_mul_lo_u32 v30, v9, s9
	s_mov_b32 s0, exec_lo
	v_dual_mul_f32 v17, v25, v15 :: v_dual_lshlrev_b32 v16, 16, v16
	v_add3_u32 v2, v24, v20, v2
	v_sub_co_u32 v20, vcc_lo, v7, v23
	s_delay_alu instid0(VALU_DEP_3) | instskip(SKIP_3) | instid1(VALU_DEP_4)
	v_mul_f32_e32 v17, v12, v17
	v_mad_u64_u32 v[11:12], null, v9, s8, 0
	v_sub_f32_e32 v9, 1.0, v16
	v_sub_co_ci_u32_e32 v2, vcc_lo, v8, v2, vcc_lo
	v_mul_f32_e32 v10, v17, v27
	v_add_co_u32 v20, vcc_lo, v3, v20
	s_delay_alu instid0(VALU_DEP_3) | instskip(NEXT) | instid1(VALU_DEP_3)
	v_add_co_ci_u32_e32 v2, vcc_lo, v4, v2, vcc_lo
	v_mul_f32_e32 v9, v9, v10
	s_delay_alu instid0(VALU_DEP_3) | instskip(SKIP_1) | instid1(VALU_DEP_4)
	v_mul_lo_u32 v31, v20, s11
	v_mad_u64_u32 v[23:24], null, v20, s10, 0
	v_mul_lo_u32 v2, v2, s10
	s_delay_alu instid0(VALU_DEP_4) | instskip(SKIP_3) | instid1(VALU_DEP_4)
	v_mul_f32_e32 v27, v9, v16
	v_lshlrev_b64 v[9:10], 1, v[5:6]
	v_alignbit_b32 v5, v6, v5, 31
	v_add3_u32 v12, v12, v30, v28
	v_bfe_u32 v32, v27, 16, 1
	v_cmp_o_f32_e32 vcc_lo, v27, v27
	s_delay_alu instid0(VALU_DEP_4)
	v_mul_lo_u32 v20, s4, v5
	v_mul_lo_u32 v33, s5, v9
	v_mad_u64_u32 v[5:6], null, s4, v9, s[4:5]
	v_add3_u32 v32, v27, v32, 0x7fff
	v_add3_u32 v24, v24, v31, v2
	v_lshlrev_b64 v[11:12], 1, v[11:12]
	s_delay_alu instid0(VALU_DEP_3) | instskip(SKIP_1) | instid1(VALU_DEP_4)
	v_lshrrev_b32_e32 v2, 16, v32
	v_add3_u32 v6, v33, v6, v20
	v_lshlrev_b64 v[30:31], 1, v[23:24]
	s_delay_alu instid0(VALU_DEP_3) | instskip(SKIP_1) | instid1(VALU_DEP_4)
	v_cndmask_b32_e32 v27, 0x7fc0, v2, vcc_lo
	v_add_co_u32 v23, vcc_lo, v3, v5
	v_add_co_ci_u32_e32 v24, vcc_lo, v4, v6, vcc_lo
	v_add_co_u32 v11, vcc_lo, s2, v11
	v_add_co_ci_u32_e32 v12, vcc_lo, s3, v12, vcc_lo
	s_delay_alu instid0(VALU_DEP_3) | instskip(NEXT) | instid1(VALU_DEP_3)
	v_or_b32_e32 v2, s29, v24
	v_add_co_u32 v11, vcc_lo, v11, v30
	s_delay_alu instid0(VALU_DEP_3)
	v_add_co_ci_u32_e32 v12, vcc_lo, v12, v31, vcc_lo
	v_ashrrev_i32_e32 v20, 31, v24
	global_store_b16 v[11:12], v27, off
                                        ; implicit-def: $vgpr11_vgpr12
	v_cmpx_ne_u64_e32 0, v[1:2]
	s_xor_b32 s53, exec_lo, s0
	s_cbranch_execz .LBB63_37
; %bb.36:                               ;   in Loop: Header=BB63_3 Depth=1
	s_ashr_i32 s54, s29, 31
	s_delay_alu instid0(SALU_CYCLE_1) | instskip(SKIP_2) | instid1(SALU_CYCLE_1)
	s_add_u32 s56, s28, s54
	s_mov_b32 s55, s54
	s_addc_u32 s57, s29, s54
	s_xor_b64 s[56:57], s[56:57], s[54:55]
	s_delay_alu instid0(SALU_CYCLE_1) | instskip(SKIP_3) | instid1(VALU_DEP_1)
	v_cvt_f32_u32_e32 v2, s56
	v_cvt_f32_u32_e32 v11, s57
	s_sub_u32 s0, 0, s56
	s_subb_u32 s55, 0, s57
	v_fmac_f32_e32 v2, 0x4f800000, v11
	s_delay_alu instid0(VALU_DEP_1) | instskip(SKIP_2) | instid1(VALU_DEP_1)
	v_rcp_f32_e32 v2, v2
	s_waitcnt_depctr 0xfff
	v_mul_f32_e32 v2, 0x5f7ffffc, v2
	v_mul_f32_e32 v11, 0x2f800000, v2
	s_delay_alu instid0(VALU_DEP_1) | instskip(NEXT) | instid1(VALU_DEP_1)
	v_trunc_f32_e32 v11, v11
	v_fmac_f32_e32 v2, 0xcf800000, v11
	v_cvt_u32_f32_e32 v11, v11
	s_delay_alu instid0(VALU_DEP_2) | instskip(NEXT) | instid1(VALU_DEP_2)
	v_cvt_u32_f32_e32 v2, v2
	v_mul_lo_u32 v12, s0, v11
	s_delay_alu instid0(VALU_DEP_2) | instskip(SKIP_1) | instid1(VALU_DEP_2)
	v_mul_hi_u32 v28, s0, v2
	v_mul_lo_u32 v30, s55, v2
	v_add_nc_u32_e32 v12, v28, v12
	v_mul_lo_u32 v28, s0, v2
	s_delay_alu instid0(VALU_DEP_2) | instskip(NEXT) | instid1(VALU_DEP_2)
	v_add_nc_u32_e32 v12, v12, v30
	v_mul_hi_u32 v30, v2, v28
	s_delay_alu instid0(VALU_DEP_2)
	v_mul_lo_u32 v31, v2, v12
	v_mul_hi_u32 v32, v2, v12
	v_mul_hi_u32 v33, v11, v28
	v_mul_lo_u32 v28, v11, v28
	v_mul_hi_u32 v34, v11, v12
	v_mul_lo_u32 v12, v11, v12
	v_add_co_u32 v30, vcc_lo, v30, v31
	v_add_co_ci_u32_e32 v31, vcc_lo, 0, v32, vcc_lo
	s_delay_alu instid0(VALU_DEP_2) | instskip(NEXT) | instid1(VALU_DEP_2)
	v_add_co_u32 v28, vcc_lo, v30, v28
	v_add_co_ci_u32_e32 v28, vcc_lo, v31, v33, vcc_lo
	v_add_co_ci_u32_e32 v30, vcc_lo, 0, v34, vcc_lo
	s_delay_alu instid0(VALU_DEP_2) | instskip(NEXT) | instid1(VALU_DEP_2)
	v_add_co_u32 v12, vcc_lo, v28, v12
	v_add_co_ci_u32_e32 v28, vcc_lo, 0, v30, vcc_lo
	s_delay_alu instid0(VALU_DEP_2) | instskip(NEXT) | instid1(VALU_DEP_2)
	v_add_co_u32 v2, vcc_lo, v2, v12
	v_add_co_ci_u32_e32 v11, vcc_lo, v11, v28, vcc_lo
	s_delay_alu instid0(VALU_DEP_2) | instskip(SKIP_1) | instid1(VALU_DEP_3)
	v_mul_hi_u32 v12, s0, v2
	v_mul_lo_u32 v30, s55, v2
	v_mul_lo_u32 v28, s0, v11
	s_delay_alu instid0(VALU_DEP_1) | instskip(SKIP_1) | instid1(VALU_DEP_2)
	v_add_nc_u32_e32 v12, v12, v28
	v_mul_lo_u32 v28, s0, v2
	v_add_nc_u32_e32 v12, v12, v30
	s_delay_alu instid0(VALU_DEP_2) | instskip(NEXT) | instid1(VALU_DEP_2)
	v_mul_hi_u32 v30, v2, v28
	v_mul_lo_u32 v31, v2, v12
	v_mul_hi_u32 v32, v2, v12
	v_mul_hi_u32 v33, v11, v28
	v_mul_lo_u32 v28, v11, v28
	v_mul_hi_u32 v34, v11, v12
	v_mul_lo_u32 v12, v11, v12
	v_add_co_u32 v30, vcc_lo, v30, v31
	v_add_co_ci_u32_e32 v31, vcc_lo, 0, v32, vcc_lo
	s_delay_alu instid0(VALU_DEP_2) | instskip(NEXT) | instid1(VALU_DEP_2)
	v_add_co_u32 v28, vcc_lo, v30, v28
	v_add_co_ci_u32_e32 v28, vcc_lo, v31, v33, vcc_lo
	v_add_co_ci_u32_e32 v30, vcc_lo, 0, v34, vcc_lo
	v_add_co_u32 v31, vcc_lo, v23, v20
	v_add_co_ci_u32_e32 v32, vcc_lo, v24, v20, vcc_lo
	s_delay_alu instid0(VALU_DEP_4) | instskip(NEXT) | instid1(VALU_DEP_4)
	v_add_co_u32 v12, vcc_lo, v28, v12
	v_add_co_ci_u32_e32 v28, vcc_lo, 0, v30, vcc_lo
	s_delay_alu instid0(VALU_DEP_4) | instskip(NEXT) | instid1(VALU_DEP_3)
	v_xor_b32_e32 v34, v31, v20
	v_add_co_u32 v2, vcc_lo, v2, v12
	s_delay_alu instid0(VALU_DEP_3) | instskip(SKIP_1) | instid1(VALU_DEP_3)
	v_add_co_ci_u32_e32 v28, vcc_lo, v11, v28, vcc_lo
	v_xor_b32_e32 v35, v32, v20
	v_mul_hi_u32 v36, v34, v2
	s_delay_alu instid0(VALU_DEP_3) | instskip(NEXT) | instid1(VALU_DEP_3)
	v_mad_u64_u32 v[11:12], null, v34, v28, 0
	v_mad_u64_u32 v[30:31], null, v35, v2, 0
	;; [unrolled: 1-line block ×3, first 2 shown]
	s_delay_alu instid0(VALU_DEP_3) | instskip(NEXT) | instid1(VALU_DEP_4)
	v_add_co_u32 v2, vcc_lo, v36, v11
	v_add_co_ci_u32_e32 v11, vcc_lo, 0, v12, vcc_lo
	s_delay_alu instid0(VALU_DEP_2) | instskip(NEXT) | instid1(VALU_DEP_2)
	v_add_co_u32 v2, vcc_lo, v2, v30
	v_add_co_ci_u32_e32 v2, vcc_lo, v11, v31, vcc_lo
	v_add_co_ci_u32_e32 v11, vcc_lo, 0, v33, vcc_lo
	s_delay_alu instid0(VALU_DEP_2) | instskip(NEXT) | instid1(VALU_DEP_2)
	v_add_co_u32 v2, vcc_lo, v2, v32
	v_add_co_ci_u32_e32 v28, vcc_lo, 0, v11, vcc_lo
	s_delay_alu instid0(VALU_DEP_2) | instskip(SKIP_1) | instid1(VALU_DEP_3)
	v_mul_lo_u32 v30, s57, v2
	v_mad_u64_u32 v[11:12], null, s56, v2, 0
	v_mul_lo_u32 v31, s56, v28
	s_delay_alu instid0(VALU_DEP_2) | instskip(NEXT) | instid1(VALU_DEP_2)
	v_sub_co_u32 v11, vcc_lo, v34, v11
	v_add3_u32 v12, v12, v31, v30
	s_delay_alu instid0(VALU_DEP_1) | instskip(NEXT) | instid1(VALU_DEP_1)
	v_sub_nc_u32_e32 v30, v35, v12
	v_subrev_co_ci_u32_e64 v30, s0, s57, v30, vcc_lo
	v_add_co_u32 v31, s0, v2, 2
	s_delay_alu instid0(VALU_DEP_1) | instskip(SKIP_3) | instid1(VALU_DEP_3)
	v_add_co_ci_u32_e64 v32, s0, 0, v28, s0
	v_sub_co_u32 v33, s0, v11, s56
	v_sub_co_ci_u32_e32 v12, vcc_lo, v35, v12, vcc_lo
	v_subrev_co_ci_u32_e64 v30, s0, 0, v30, s0
	v_cmp_le_u32_e32 vcc_lo, s56, v33
	s_delay_alu instid0(VALU_DEP_3) | instskip(SKIP_1) | instid1(VALU_DEP_4)
	v_cmp_eq_u32_e64 s0, s57, v12
	v_cndmask_b32_e64 v33, 0, -1, vcc_lo
	v_cmp_le_u32_e32 vcc_lo, s57, v30
	v_cndmask_b32_e64 v34, 0, -1, vcc_lo
	v_cmp_le_u32_e32 vcc_lo, s56, v11
	;; [unrolled: 2-line block ×3, first 2 shown]
	v_cndmask_b32_e64 v35, 0, -1, vcc_lo
	v_cmp_eq_u32_e32 vcc_lo, s57, v30
	s_delay_alu instid0(VALU_DEP_2) | instskip(SKIP_3) | instid1(VALU_DEP_3)
	v_cndmask_b32_e64 v11, v35, v11, s0
	v_cndmask_b32_e32 v30, v34, v33, vcc_lo
	v_add_co_u32 v33, vcc_lo, v2, 1
	v_add_co_ci_u32_e32 v34, vcc_lo, 0, v28, vcc_lo
	v_cmp_ne_u32_e32 vcc_lo, 0, v30
	s_delay_alu instid0(VALU_DEP_2) | instskip(NEXT) | instid1(VALU_DEP_4)
	v_cndmask_b32_e32 v12, v34, v32, vcc_lo
	v_cndmask_b32_e32 v30, v33, v31, vcc_lo
	v_cmp_ne_u32_e32 vcc_lo, 0, v11
	v_xor_b32_e32 v31, s54, v20
	s_delay_alu instid0(VALU_DEP_3) | instskip(NEXT) | instid1(VALU_DEP_1)
	v_dual_cndmask_b32 v2, v2, v30 :: v_dual_cndmask_b32 v11, v28, v12
	v_xor_b32_e32 v2, v2, v31
	s_delay_alu instid0(VALU_DEP_2) | instskip(NEXT) | instid1(VALU_DEP_2)
	v_xor_b32_e32 v12, v11, v31
	v_sub_co_u32 v11, vcc_lo, v2, v31
	s_delay_alu instid0(VALU_DEP_2)
	v_sub_co_ci_u32_e32 v12, vcc_lo, v12, v31, vcc_lo
.LBB63_37:                              ;   in Loop: Header=BB63_3 Depth=1
	s_and_not1_saveexec_b32 s0, s53
	s_cbranch_execz .LBB63_39
; %bb.38:                               ;   in Loop: Header=BB63_3 Depth=1
	v_rcp_iflag_f32_e32 v2, v29
	s_sub_i32 s53, 0, s28
	s_waitcnt_depctr 0xfff
	v_mul_f32_e32 v2, 0x4f7ffffe, v2
	s_delay_alu instid0(VALU_DEP_1) | instskip(NEXT) | instid1(VALU_DEP_1)
	v_cvt_u32_f32_e32 v2, v2
	v_mul_lo_u32 v11, s53, v2
	s_delay_alu instid0(VALU_DEP_1) | instskip(NEXT) | instid1(VALU_DEP_1)
	v_mul_hi_u32 v11, v2, v11
	v_add_nc_u32_e32 v2, v2, v11
	s_delay_alu instid0(VALU_DEP_1) | instskip(NEXT) | instid1(VALU_DEP_1)
	v_mul_hi_u32 v2, v23, v2
	v_mul_lo_u32 v11, v2, s28
	v_add_nc_u32_e32 v12, 1, v2
	s_delay_alu instid0(VALU_DEP_2) | instskip(NEXT) | instid1(VALU_DEP_1)
	v_sub_nc_u32_e32 v11, v23, v11
	v_subrev_nc_u32_e32 v28, s28, v11
	v_cmp_le_u32_e32 vcc_lo, s28, v11
	s_delay_alu instid0(VALU_DEP_2) | instskip(SKIP_1) | instid1(VALU_DEP_2)
	v_cndmask_b32_e32 v11, v11, v28, vcc_lo
	v_cndmask_b32_e32 v2, v2, v12, vcc_lo
	v_cmp_le_u32_e32 vcc_lo, s28, v11
	s_delay_alu instid0(VALU_DEP_2) | instskip(NEXT) | instid1(VALU_DEP_1)
	v_add_nc_u32_e32 v12, 1, v2
	v_dual_cndmask_b32 v11, v2, v12 :: v_dual_mov_b32 v12, v1
.LBB63_39:                              ;   in Loop: Header=BB63_3 Depth=1
	s_or_b32 exec_lo, exec_lo, s0
	v_lshlrev_b32_e32 v2, 16, v18
	s_delay_alu instid0(VALU_DEP_2) | instskip(NEXT) | instid1(VALU_DEP_3)
	v_mul_lo_u32 v18, v12, s28
	v_mul_lo_u32 v28, v11, s29
	v_mad_u64_u32 v[30:31], null, v11, s28, 0
	s_delay_alu instid0(VALU_DEP_4) | instskip(SKIP_3) | instid1(VALU_DEP_4)
	v_sub_f32_e32 v2, v2, v26
	v_mul_lo_u32 v34, v11, s9
	v_mad_u64_u32 v[32:33], null, v11, s8, 0
	v_mul_lo_u32 v26, v12, s8
	v_mul_f32_e32 v2, v2, v15
	v_add3_u32 v11, v31, v28, v18
	v_sub_co_u32 v12, vcc_lo, v5, v30
	s_mov_b32 s0, exec_lo
	s_delay_alu instid0(VALU_DEP_3) | instskip(NEXT) | instid1(VALU_DEP_3)
	v_mul_f32_e32 v2, v25, v2
	v_sub_co_ci_u32_e32 v11, vcc_lo, v6, v11, vcc_lo
	s_delay_alu instid0(VALU_DEP_3) | instskip(NEXT) | instid1(VALU_DEP_3)
	v_add_co_u32 v18, vcc_lo, v3, v12
	v_mul_f32_e32 v2, v2, v14
	s_delay_alu instid0(VALU_DEP_3) | instskip(SKIP_1) | instid1(VALU_DEP_3)
	v_add_co_ci_u32_e32 v11, vcc_lo, v4, v11, vcc_lo
	v_add_co_u32 v25, vcc_lo, v9, 2
	v_bfe_u32 v12, v2, 16, 1
	v_add_co_ci_u32_e32 v9, vcc_lo, 0, v10, vcc_lo
	v_mul_lo_u32 v28, v18, s11
	v_mul_lo_u32 v30, v11, s10
	s_delay_alu instid0(VALU_DEP_4)
	v_add3_u32 v31, v2, v12, 0x7fff
	v_mad_u64_u32 v[11:12], null, v18, s10, 0
	v_mul_lo_u32 v18, s5, v25
	v_mul_lo_u32 v35, s4, v9
	v_mad_u64_u32 v[9:10], null, s4, v25, 0
	v_add3_u32 v33, v33, v34, v26
	v_lshrrev_b32_e32 v25, 16, v31
	v_cmp_o_f32_e32 vcc_lo, v2, v2
	v_add3_u32 v12, v12, v28, v30
	s_delay_alu instid0(VALU_DEP_4) | instskip(SKIP_4) | instid1(VALU_DEP_4)
	v_lshlrev_b64 v[30:31], 1, v[32:33]
	v_add3_u32 v10, v10, v35, v18
	v_cndmask_b32_e32 v28, 0x7fc0, v25, vcc_lo
	v_add_co_u32 v25, vcc_lo, v3, v9
	v_lshlrev_b64 v[11:12], 1, v[11:12]
	v_add_co_ci_u32_e32 v26, vcc_lo, v4, v10, vcc_lo
	v_add_co_u32 v18, vcc_lo, s2, v30
	v_add_co_ci_u32_e32 v30, vcc_lo, s3, v31, vcc_lo
	s_delay_alu instid0(VALU_DEP_3) | instskip(NEXT) | instid1(VALU_DEP_3)
	v_or_b32_e32 v2, s29, v26
	v_add_co_u32 v11, vcc_lo, v18, v11
	s_delay_alu instid0(VALU_DEP_3)
	v_add_co_ci_u32_e32 v12, vcc_lo, v30, v12, vcc_lo
	v_ashrrev_i32_e32 v18, 31, v26
	global_store_b16 v[11:12], v28, off
                                        ; implicit-def: $vgpr11_vgpr12
	v_cmpx_ne_u64_e32 0, v[1:2]
	s_xor_b32 s53, exec_lo, s0
	s_cbranch_execz .LBB63_41
; %bb.40:                               ;   in Loop: Header=BB63_3 Depth=1
	s_ashr_i32 s54, s29, 31
	s_delay_alu instid0(SALU_CYCLE_1) | instskip(SKIP_2) | instid1(SALU_CYCLE_1)
	s_add_u32 s56, s28, s54
	s_mov_b32 s55, s54
	s_addc_u32 s57, s29, s54
	s_xor_b64 s[56:57], s[56:57], s[54:55]
	s_delay_alu instid0(SALU_CYCLE_1) | instskip(SKIP_3) | instid1(VALU_DEP_1)
	v_cvt_f32_u32_e32 v2, s56
	v_cvt_f32_u32_e32 v11, s57
	s_sub_u32 s0, 0, s56
	s_subb_u32 s55, 0, s57
	v_fmac_f32_e32 v2, 0x4f800000, v11
	s_delay_alu instid0(VALU_DEP_1) | instskip(SKIP_2) | instid1(VALU_DEP_1)
	v_rcp_f32_e32 v2, v2
	s_waitcnt_depctr 0xfff
	v_mul_f32_e32 v2, 0x5f7ffffc, v2
	v_mul_f32_e32 v11, 0x2f800000, v2
	s_delay_alu instid0(VALU_DEP_1) | instskip(NEXT) | instid1(VALU_DEP_1)
	v_trunc_f32_e32 v11, v11
	v_fmac_f32_e32 v2, 0xcf800000, v11
	v_cvt_u32_f32_e32 v11, v11
	s_delay_alu instid0(VALU_DEP_2) | instskip(NEXT) | instid1(VALU_DEP_2)
	v_cvt_u32_f32_e32 v2, v2
	v_mul_lo_u32 v12, s0, v11
	s_delay_alu instid0(VALU_DEP_2) | instskip(SKIP_1) | instid1(VALU_DEP_2)
	v_mul_hi_u32 v29, s0, v2
	v_mul_lo_u32 v30, s55, v2
	v_add_nc_u32_e32 v12, v29, v12
	v_mul_lo_u32 v29, s0, v2
	s_delay_alu instid0(VALU_DEP_2) | instskip(NEXT) | instid1(VALU_DEP_2)
	v_add_nc_u32_e32 v12, v12, v30
	v_mul_hi_u32 v30, v2, v29
	s_delay_alu instid0(VALU_DEP_2)
	v_mul_lo_u32 v31, v2, v12
	v_mul_hi_u32 v32, v2, v12
	v_mul_hi_u32 v33, v11, v29
	v_mul_lo_u32 v29, v11, v29
	v_mul_hi_u32 v34, v11, v12
	v_mul_lo_u32 v12, v11, v12
	v_add_co_u32 v30, vcc_lo, v30, v31
	v_add_co_ci_u32_e32 v31, vcc_lo, 0, v32, vcc_lo
	s_delay_alu instid0(VALU_DEP_2) | instskip(NEXT) | instid1(VALU_DEP_2)
	v_add_co_u32 v29, vcc_lo, v30, v29
	v_add_co_ci_u32_e32 v29, vcc_lo, v31, v33, vcc_lo
	v_add_co_ci_u32_e32 v30, vcc_lo, 0, v34, vcc_lo
	s_delay_alu instid0(VALU_DEP_2) | instskip(NEXT) | instid1(VALU_DEP_2)
	v_add_co_u32 v12, vcc_lo, v29, v12
	v_add_co_ci_u32_e32 v29, vcc_lo, 0, v30, vcc_lo
	s_delay_alu instid0(VALU_DEP_2) | instskip(NEXT) | instid1(VALU_DEP_2)
	v_add_co_u32 v2, vcc_lo, v2, v12
	v_add_co_ci_u32_e32 v11, vcc_lo, v11, v29, vcc_lo
	s_delay_alu instid0(VALU_DEP_2) | instskip(SKIP_1) | instid1(VALU_DEP_3)
	v_mul_hi_u32 v12, s0, v2
	v_mul_lo_u32 v30, s55, v2
	v_mul_lo_u32 v29, s0, v11
	s_delay_alu instid0(VALU_DEP_1) | instskip(SKIP_1) | instid1(VALU_DEP_2)
	v_add_nc_u32_e32 v12, v12, v29
	v_mul_lo_u32 v29, s0, v2
	v_add_nc_u32_e32 v12, v12, v30
	s_delay_alu instid0(VALU_DEP_2) | instskip(NEXT) | instid1(VALU_DEP_2)
	v_mul_hi_u32 v30, v2, v29
	v_mul_lo_u32 v31, v2, v12
	v_mul_hi_u32 v32, v2, v12
	v_mul_hi_u32 v33, v11, v29
	v_mul_lo_u32 v29, v11, v29
	v_mul_hi_u32 v34, v11, v12
	v_mul_lo_u32 v12, v11, v12
	v_add_co_u32 v30, vcc_lo, v30, v31
	v_add_co_ci_u32_e32 v31, vcc_lo, 0, v32, vcc_lo
	s_delay_alu instid0(VALU_DEP_2) | instskip(NEXT) | instid1(VALU_DEP_2)
	v_add_co_u32 v29, vcc_lo, v30, v29
	v_add_co_ci_u32_e32 v29, vcc_lo, v31, v33, vcc_lo
	v_add_co_ci_u32_e32 v30, vcc_lo, 0, v34, vcc_lo
	v_add_co_u32 v31, vcc_lo, v25, v18
	v_add_co_ci_u32_e32 v32, vcc_lo, v26, v18, vcc_lo
	s_delay_alu instid0(VALU_DEP_4) | instskip(NEXT) | instid1(VALU_DEP_4)
	v_add_co_u32 v12, vcc_lo, v29, v12
	v_add_co_ci_u32_e32 v29, vcc_lo, 0, v30, vcc_lo
	s_delay_alu instid0(VALU_DEP_4) | instskip(NEXT) | instid1(VALU_DEP_3)
	v_xor_b32_e32 v33, v31, v18
	v_add_co_u32 v2, vcc_lo, v2, v12
	s_delay_alu instid0(VALU_DEP_3) | instskip(SKIP_1) | instid1(VALU_DEP_3)
	v_add_co_ci_u32_e32 v34, vcc_lo, v11, v29, vcc_lo
	v_xor_b32_e32 v35, v32, v18
	v_mul_hi_u32 v36, v33, v2
	s_delay_alu instid0(VALU_DEP_3) | instskip(NEXT) | instid1(VALU_DEP_3)
	v_mad_u64_u32 v[11:12], null, v33, v34, 0
	v_mad_u64_u32 v[29:30], null, v35, v2, 0
	;; [unrolled: 1-line block ×3, first 2 shown]
	s_delay_alu instid0(VALU_DEP_3) | instskip(NEXT) | instid1(VALU_DEP_4)
	v_add_co_u32 v2, vcc_lo, v36, v11
	v_add_co_ci_u32_e32 v11, vcc_lo, 0, v12, vcc_lo
	s_delay_alu instid0(VALU_DEP_2) | instskip(NEXT) | instid1(VALU_DEP_2)
	v_add_co_u32 v2, vcc_lo, v2, v29
	v_add_co_ci_u32_e32 v2, vcc_lo, v11, v30, vcc_lo
	v_add_co_ci_u32_e32 v11, vcc_lo, 0, v32, vcc_lo
	s_delay_alu instid0(VALU_DEP_2) | instskip(NEXT) | instid1(VALU_DEP_2)
	v_add_co_u32 v2, vcc_lo, v2, v31
	v_add_co_ci_u32_e32 v29, vcc_lo, 0, v11, vcc_lo
	s_delay_alu instid0(VALU_DEP_2) | instskip(SKIP_1) | instid1(VALU_DEP_3)
	v_mul_lo_u32 v30, s57, v2
	v_mad_u64_u32 v[11:12], null, s56, v2, 0
	v_mul_lo_u32 v31, s56, v29
	s_delay_alu instid0(VALU_DEP_2) | instskip(NEXT) | instid1(VALU_DEP_2)
	v_sub_co_u32 v11, vcc_lo, v33, v11
	v_add3_u32 v12, v12, v31, v30
	s_delay_alu instid0(VALU_DEP_1) | instskip(NEXT) | instid1(VALU_DEP_1)
	v_sub_nc_u32_e32 v30, v35, v12
	v_subrev_co_ci_u32_e64 v30, s0, s57, v30, vcc_lo
	v_add_co_u32 v31, s0, v2, 2
	s_delay_alu instid0(VALU_DEP_1) | instskip(SKIP_3) | instid1(VALU_DEP_3)
	v_add_co_ci_u32_e64 v32, s0, 0, v29, s0
	v_sub_co_u32 v33, s0, v11, s56
	v_sub_co_ci_u32_e32 v12, vcc_lo, v35, v12, vcc_lo
	v_subrev_co_ci_u32_e64 v30, s0, 0, v30, s0
	v_cmp_le_u32_e32 vcc_lo, s56, v33
	s_delay_alu instid0(VALU_DEP_3) | instskip(SKIP_1) | instid1(VALU_DEP_4)
	v_cmp_eq_u32_e64 s0, s57, v12
	v_cndmask_b32_e64 v33, 0, -1, vcc_lo
	v_cmp_le_u32_e32 vcc_lo, s57, v30
	v_cndmask_b32_e64 v34, 0, -1, vcc_lo
	v_cmp_le_u32_e32 vcc_lo, s56, v11
	;; [unrolled: 2-line block ×3, first 2 shown]
	v_cndmask_b32_e64 v35, 0, -1, vcc_lo
	v_cmp_eq_u32_e32 vcc_lo, s57, v30
	s_delay_alu instid0(VALU_DEP_2) | instskip(SKIP_3) | instid1(VALU_DEP_3)
	v_cndmask_b32_e64 v11, v35, v11, s0
	v_cndmask_b32_e32 v30, v34, v33, vcc_lo
	v_add_co_u32 v33, vcc_lo, v2, 1
	v_add_co_ci_u32_e32 v34, vcc_lo, 0, v29, vcc_lo
	v_cmp_ne_u32_e32 vcc_lo, 0, v30
	s_delay_alu instid0(VALU_DEP_2) | instskip(NEXT) | instid1(VALU_DEP_4)
	v_cndmask_b32_e32 v12, v34, v32, vcc_lo
	v_cndmask_b32_e32 v30, v33, v31, vcc_lo
	v_cmp_ne_u32_e32 vcc_lo, 0, v11
	v_xor_b32_e32 v31, s54, v18
	s_delay_alu instid0(VALU_DEP_3) | instskip(NEXT) | instid1(VALU_DEP_1)
	v_dual_cndmask_b32 v2, v2, v30 :: v_dual_cndmask_b32 v11, v29, v12
                                        ; implicit-def: $vgpr29
	v_xor_b32_e32 v2, v2, v31
	s_delay_alu instid0(VALU_DEP_2) | instskip(NEXT) | instid1(VALU_DEP_2)
	v_xor_b32_e32 v12, v11, v31
	v_sub_co_u32 v11, vcc_lo, v2, v31
	s_delay_alu instid0(VALU_DEP_2)
	v_sub_co_ci_u32_e32 v12, vcc_lo, v12, v31, vcc_lo
.LBB63_41:                              ;   in Loop: Header=BB63_3 Depth=1
	s_and_not1_saveexec_b32 s0, s53
	s_cbranch_execz .LBB63_43
; %bb.42:                               ;   in Loop: Header=BB63_3 Depth=1
	v_rcp_iflag_f32_e32 v2, v29
	s_sub_i32 s53, 0, s28
	s_waitcnt_depctr 0xfff
	v_mul_f32_e32 v2, 0x4f7ffffe, v2
	s_delay_alu instid0(VALU_DEP_1) | instskip(NEXT) | instid1(VALU_DEP_1)
	v_cvt_u32_f32_e32 v2, v2
	v_mul_lo_u32 v11, s53, v2
	s_delay_alu instid0(VALU_DEP_1) | instskip(NEXT) | instid1(VALU_DEP_1)
	v_mul_hi_u32 v11, v2, v11
	v_add_nc_u32_e32 v2, v2, v11
	s_delay_alu instid0(VALU_DEP_1) | instskip(NEXT) | instid1(VALU_DEP_1)
	v_mul_hi_u32 v2, v25, v2
	v_mul_lo_u32 v11, v2, s28
	v_add_nc_u32_e32 v12, 1, v2
	s_delay_alu instid0(VALU_DEP_2) | instskip(NEXT) | instid1(VALU_DEP_1)
	v_sub_nc_u32_e32 v11, v25, v11
	v_subrev_nc_u32_e32 v29, s28, v11
	v_cmp_le_u32_e32 vcc_lo, s28, v11
	s_delay_alu instid0(VALU_DEP_2) | instskip(NEXT) | instid1(VALU_DEP_1)
	v_dual_cndmask_b32 v11, v11, v29 :: v_dual_cndmask_b32 v2, v2, v12
	v_cmp_le_u32_e32 vcc_lo, s28, v11
	s_delay_alu instid0(VALU_DEP_2) | instskip(NEXT) | instid1(VALU_DEP_1)
	v_add_nc_u32_e32 v12, 1, v2
	v_dual_cndmask_b32 v11, v2, v12 :: v_dual_mov_b32 v12, v1
.LBB63_43:                              ;   in Loop: Header=BB63_3 Depth=1
	s_or_b32 exec_lo, exec_lo, s0
	s_delay_alu instid0(VALU_DEP_1) | instskip(NEXT) | instid1(VALU_DEP_2)
	v_mul_lo_u32 v2, v12, s28
	v_mul_lo_u32 v31, v11, s29
	v_mad_u64_u32 v[29:30], null, v11, s28, 0
	v_mul_lo_u32 v32, v11, s9
	s_mov_b32 s0, exec_lo
	s_delay_alu instid0(VALU_DEP_2) | instskip(SKIP_1) | instid1(VALU_DEP_4)
	v_add3_u32 v2, v30, v31, v2
	v_mul_lo_u32 v31, v12, s8
	v_sub_co_u32 v12, vcc_lo, v9, v29
	v_mad_u64_u32 v[29:30], null, v11, s8, 0
	s_delay_alu instid0(VALU_DEP_4) | instskip(NEXT) | instid1(VALU_DEP_3)
	v_sub_co_ci_u32_e32 v2, vcc_lo, v10, v2, vcc_lo
	v_add_co_u32 v33, vcc_lo, v3, v12
	s_delay_alu instid0(VALU_DEP_2) | instskip(NEXT) | instid1(VALU_DEP_2)
	v_add_co_ci_u32_e32 v2, vcc_lo, v4, v2, vcc_lo
	v_mul_lo_u32 v34, v33, s11
	v_mad_u64_u32 v[11:12], null, v33, s10, 0
	s_delay_alu instid0(VALU_DEP_3) | instskip(SKIP_2) | instid1(VALU_DEP_2)
	v_mul_lo_u32 v2, v2, s10
	v_add3_u32 v30, v30, v32, v31
	v_bfe_u32 v33, v17, 16, 1
	v_lshlrev_b64 v[29:30], 1, v[29:30]
	s_delay_alu instid0(VALU_DEP_2) | instskip(SKIP_2) | instid1(VALU_DEP_4)
	v_add3_u32 v31, v17, v33, 0x7fff
	v_add3_u32 v12, v12, v34, v2
	v_or_b32_e32 v2, s35, v22
	v_add_co_u32 v29, vcc_lo, s2, v29
	s_delay_alu instid0(VALU_DEP_3) | instskip(SKIP_3) | instid1(VALU_DEP_2)
	v_lshlrev_b64 v[11:12], 1, v[11:12]
	v_add_co_ci_u32_e32 v30, vcc_lo, s3, v30, vcc_lo
	v_lshrrev_b32_e32 v31, 16, v31
	v_cmp_o_f32_e32 vcc_lo, v17, v17
	v_cndmask_b32_e32 v31, 0x7fc0, v31, vcc_lo
	v_add_co_u32 v11, vcc_lo, v29, v11
	v_add_co_ci_u32_e32 v12, vcc_lo, v30, v12, vcc_lo
	global_store_b16 v[11:12], v31, off
                                        ; implicit-def: $vgpr11_vgpr12
	v_cmpx_ne_u64_e32 0, v[1:2]
	s_xor_b32 s53, exec_lo, s0
	s_cbranch_execz .LBB63_45
; %bb.44:                               ;   in Loop: Header=BB63_3 Depth=1
	s_ashr_i32 s54, s35, 31
	s_delay_alu instid0(SALU_CYCLE_1) | instskip(SKIP_2) | instid1(SALU_CYCLE_1)
	s_add_u32 s56, s34, s54
	s_mov_b32 s55, s54
	s_addc_u32 s57, s35, s54
	s_xor_b64 s[56:57], s[56:57], s[54:55]
	s_delay_alu instid0(SALU_CYCLE_1) | instskip(SKIP_3) | instid1(VALU_DEP_1)
	v_cvt_f32_u32_e32 v2, s56
	v_cvt_f32_u32_e32 v11, s57
	s_sub_u32 s0, 0, s56
	s_subb_u32 s55, 0, s57
	v_fmac_f32_e32 v2, 0x4f800000, v11
	s_delay_alu instid0(VALU_DEP_1) | instskip(SKIP_2) | instid1(VALU_DEP_1)
	v_rcp_f32_e32 v2, v2
	s_waitcnt_depctr 0xfff
	v_mul_f32_e32 v2, 0x5f7ffffc, v2
	v_mul_f32_e32 v11, 0x2f800000, v2
	s_delay_alu instid0(VALU_DEP_1) | instskip(NEXT) | instid1(VALU_DEP_1)
	v_trunc_f32_e32 v11, v11
	v_fmac_f32_e32 v2, 0xcf800000, v11
	v_cvt_u32_f32_e32 v11, v11
	s_delay_alu instid0(VALU_DEP_2) | instskip(NEXT) | instid1(VALU_DEP_2)
	v_cvt_u32_f32_e32 v2, v2
	v_mul_lo_u32 v12, s0, v11
	s_delay_alu instid0(VALU_DEP_2) | instskip(SKIP_1) | instid1(VALU_DEP_2)
	v_mul_hi_u32 v29, s0, v2
	v_mul_lo_u32 v30, s55, v2
	v_add_nc_u32_e32 v12, v29, v12
	v_mul_lo_u32 v29, s0, v2
	s_delay_alu instid0(VALU_DEP_2) | instskip(NEXT) | instid1(VALU_DEP_2)
	v_add_nc_u32_e32 v12, v12, v30
	v_mul_hi_u32 v30, v2, v29
	s_delay_alu instid0(VALU_DEP_2)
	v_mul_lo_u32 v31, v2, v12
	v_mul_hi_u32 v32, v2, v12
	v_mul_hi_u32 v33, v11, v29
	v_mul_lo_u32 v29, v11, v29
	v_mul_hi_u32 v34, v11, v12
	v_mul_lo_u32 v12, v11, v12
	v_add_co_u32 v30, vcc_lo, v30, v31
	v_add_co_ci_u32_e32 v31, vcc_lo, 0, v32, vcc_lo
	s_delay_alu instid0(VALU_DEP_2) | instskip(NEXT) | instid1(VALU_DEP_2)
	v_add_co_u32 v29, vcc_lo, v30, v29
	v_add_co_ci_u32_e32 v29, vcc_lo, v31, v33, vcc_lo
	v_add_co_ci_u32_e32 v30, vcc_lo, 0, v34, vcc_lo
	s_delay_alu instid0(VALU_DEP_2) | instskip(NEXT) | instid1(VALU_DEP_2)
	v_add_co_u32 v12, vcc_lo, v29, v12
	v_add_co_ci_u32_e32 v29, vcc_lo, 0, v30, vcc_lo
	s_delay_alu instid0(VALU_DEP_2) | instskip(NEXT) | instid1(VALU_DEP_2)
	v_add_co_u32 v2, vcc_lo, v2, v12
	v_add_co_ci_u32_e32 v11, vcc_lo, v11, v29, vcc_lo
	s_delay_alu instid0(VALU_DEP_2) | instskip(SKIP_1) | instid1(VALU_DEP_3)
	v_mul_hi_u32 v12, s0, v2
	v_mul_lo_u32 v30, s55, v2
	v_mul_lo_u32 v29, s0, v11
	s_delay_alu instid0(VALU_DEP_1) | instskip(SKIP_1) | instid1(VALU_DEP_2)
	v_add_nc_u32_e32 v12, v12, v29
	v_mul_lo_u32 v29, s0, v2
	v_add_nc_u32_e32 v12, v12, v30
	s_delay_alu instid0(VALU_DEP_2) | instskip(NEXT) | instid1(VALU_DEP_2)
	v_mul_hi_u32 v30, v2, v29
	v_mul_lo_u32 v31, v2, v12
	v_mul_hi_u32 v32, v2, v12
	v_mul_hi_u32 v33, v11, v29
	v_mul_lo_u32 v29, v11, v29
	v_mul_hi_u32 v34, v11, v12
	v_mul_lo_u32 v12, v11, v12
	v_add_co_u32 v30, vcc_lo, v30, v31
	v_add_co_ci_u32_e32 v31, vcc_lo, 0, v32, vcc_lo
	s_delay_alu instid0(VALU_DEP_2) | instskip(NEXT) | instid1(VALU_DEP_2)
	v_add_co_u32 v29, vcc_lo, v30, v29
	v_add_co_ci_u32_e32 v29, vcc_lo, v31, v33, vcc_lo
	v_add_co_ci_u32_e32 v30, vcc_lo, 0, v34, vcc_lo
	v_add_co_u32 v21, vcc_lo, v21, v19
	v_add_co_ci_u32_e32 v22, vcc_lo, v22, v19, vcc_lo
	s_delay_alu instid0(VALU_DEP_4) | instskip(NEXT) | instid1(VALU_DEP_4)
	v_add_co_u32 v12, vcc_lo, v29, v12
	v_add_co_ci_u32_e32 v29, vcc_lo, 0, v30, vcc_lo
	s_delay_alu instid0(VALU_DEP_4) | instskip(NEXT) | instid1(VALU_DEP_3)
	v_xor_b32_e32 v31, v21, v19
	v_add_co_u32 v2, vcc_lo, v2, v12
	s_delay_alu instid0(VALU_DEP_3) | instskip(SKIP_1) | instid1(VALU_DEP_3)
	v_add_co_ci_u32_e32 v32, vcc_lo, v11, v29, vcc_lo
	v_xor_b32_e32 v33, v22, v19
	v_mul_hi_u32 v34, v31, v2
	v_xor_b32_e32 v19, s54, v19
	s_delay_alu instid0(VALU_DEP_4) | instskip(NEXT) | instid1(VALU_DEP_4)
	v_mad_u64_u32 v[11:12], null, v31, v32, 0
	v_mad_u64_u32 v[21:22], null, v33, v2, 0
	;; [unrolled: 1-line block ×3, first 2 shown]
	s_delay_alu instid0(VALU_DEP_3) | instskip(NEXT) | instid1(VALU_DEP_4)
	v_add_co_u32 v2, vcc_lo, v34, v11
	v_add_co_ci_u32_e32 v11, vcc_lo, 0, v12, vcc_lo
	s_delay_alu instid0(VALU_DEP_2) | instskip(NEXT) | instid1(VALU_DEP_2)
	v_add_co_u32 v2, vcc_lo, v2, v21
	v_add_co_ci_u32_e32 v2, vcc_lo, v11, v22, vcc_lo
	v_add_co_ci_u32_e32 v11, vcc_lo, 0, v30, vcc_lo
	s_delay_alu instid0(VALU_DEP_2) | instskip(NEXT) | instid1(VALU_DEP_2)
	v_add_co_u32 v2, vcc_lo, v2, v29
	v_add_co_ci_u32_e32 v21, vcc_lo, 0, v11, vcc_lo
	s_delay_alu instid0(VALU_DEP_2) | instskip(SKIP_1) | instid1(VALU_DEP_3)
	v_mul_lo_u32 v22, s57, v2
	v_mad_u64_u32 v[11:12], null, s56, v2, 0
	v_mul_lo_u32 v29, s56, v21
	s_delay_alu instid0(VALU_DEP_2) | instskip(NEXT) | instid1(VALU_DEP_2)
	v_sub_co_u32 v11, vcc_lo, v31, v11
	v_add3_u32 v12, v12, v29, v22
	s_delay_alu instid0(VALU_DEP_1) | instskip(NEXT) | instid1(VALU_DEP_1)
	v_sub_nc_u32_e32 v22, v33, v12
	v_subrev_co_ci_u32_e64 v22, s0, s57, v22, vcc_lo
	v_add_co_u32 v29, s0, v2, 2
	s_delay_alu instid0(VALU_DEP_1) | instskip(SKIP_3) | instid1(VALU_DEP_3)
	v_add_co_ci_u32_e64 v30, s0, 0, v21, s0
	v_sub_co_u32 v31, s0, v11, s56
	v_sub_co_ci_u32_e32 v12, vcc_lo, v33, v12, vcc_lo
	v_subrev_co_ci_u32_e64 v22, s0, 0, v22, s0
	v_cmp_le_u32_e32 vcc_lo, s56, v31
	s_delay_alu instid0(VALU_DEP_3) | instskip(SKIP_1) | instid1(VALU_DEP_4)
	v_cmp_eq_u32_e64 s0, s57, v12
	v_cndmask_b32_e64 v31, 0, -1, vcc_lo
	v_cmp_le_u32_e32 vcc_lo, s57, v22
	v_cndmask_b32_e64 v32, 0, -1, vcc_lo
	v_cmp_le_u32_e32 vcc_lo, s56, v11
	;; [unrolled: 2-line block ×3, first 2 shown]
	v_cndmask_b32_e64 v33, 0, -1, vcc_lo
	v_cmp_eq_u32_e32 vcc_lo, s57, v22
	s_delay_alu instid0(VALU_DEP_2) | instskip(SKIP_3) | instid1(VALU_DEP_3)
	v_cndmask_b32_e64 v11, v33, v11, s0
	v_cndmask_b32_e32 v22, v32, v31, vcc_lo
	v_add_co_u32 v31, vcc_lo, v2, 1
	v_add_co_ci_u32_e32 v32, vcc_lo, 0, v21, vcc_lo
	v_cmp_ne_u32_e32 vcc_lo, 0, v22
	s_delay_alu instid0(VALU_DEP_2) | instskip(NEXT) | instid1(VALU_DEP_4)
	v_cndmask_b32_e32 v12, v32, v30, vcc_lo
	v_cndmask_b32_e32 v22, v31, v29, vcc_lo
	v_cmp_ne_u32_e32 vcc_lo, 0, v11
	s_delay_alu instid0(VALU_DEP_2) | instskip(NEXT) | instid1(VALU_DEP_1)
	v_dual_cndmask_b32 v2, v2, v22 :: v_dual_cndmask_b32 v11, v21, v12
                                        ; implicit-def: $vgpr21
	v_xor_b32_e32 v2, v2, v19
	s_delay_alu instid0(VALU_DEP_2) | instskip(NEXT) | instid1(VALU_DEP_2)
	v_xor_b32_e32 v12, v11, v19
	v_sub_co_u32 v11, vcc_lo, v2, v19
	s_delay_alu instid0(VALU_DEP_2)
	v_sub_co_ci_u32_e32 v12, vcc_lo, v12, v19, vcc_lo
.LBB63_45:                              ;   in Loop: Header=BB63_3 Depth=1
	s_or_saveexec_b32 s0, s53
	v_cvt_f32_u32_e32 v19, s34
	s_xor_b32 exec_lo, exec_lo, s0
	s_cbranch_execz .LBB63_47
; %bb.46:                               ;   in Loop: Header=BB63_3 Depth=1
	s_delay_alu instid0(VALU_DEP_1) | instskip(SKIP_3) | instid1(VALU_DEP_1)
	v_rcp_iflag_f32_e32 v2, v19
	s_sub_i32 s53, 0, s34
	s_waitcnt_depctr 0xfff
	v_mul_f32_e32 v2, 0x4f7ffffe, v2
	v_cvt_u32_f32_e32 v2, v2
	s_delay_alu instid0(VALU_DEP_1) | instskip(NEXT) | instid1(VALU_DEP_1)
	v_mul_lo_u32 v11, s53, v2
	v_mul_hi_u32 v11, v2, v11
	s_delay_alu instid0(VALU_DEP_1) | instskip(NEXT) | instid1(VALU_DEP_1)
	v_add_nc_u32_e32 v2, v2, v11
	v_mul_hi_u32 v2, v21, v2
	s_delay_alu instid0(VALU_DEP_1) | instskip(SKIP_1) | instid1(VALU_DEP_2)
	v_mul_lo_u32 v11, v2, s34
	v_add_nc_u32_e32 v12, 1, v2
	v_sub_nc_u32_e32 v11, v21, v11
	s_delay_alu instid0(VALU_DEP_1) | instskip(SKIP_1) | instid1(VALU_DEP_2)
	v_subrev_nc_u32_e32 v21, s34, v11
	v_cmp_le_u32_e32 vcc_lo, s34, v11
	v_dual_cndmask_b32 v11, v11, v21 :: v_dual_cndmask_b32 v2, v2, v12
	s_delay_alu instid0(VALU_DEP_1) | instskip(NEXT) | instid1(VALU_DEP_2)
	v_cmp_le_u32_e32 vcc_lo, s34, v11
	v_add_nc_u32_e32 v12, 1, v2
	s_delay_alu instid0(VALU_DEP_1)
	v_dual_cndmask_b32 v11, v2, v12 :: v_dual_mov_b32 v12, v1
.LBB63_47:                              ;   in Loop: Header=BB63_3 Depth=1
	s_or_b32 exec_lo, exec_lo, s0
	s_delay_alu instid0(VALU_DEP_1) | instskip(NEXT) | instid1(VALU_DEP_2)
	v_mul_lo_u32 v2, v12, s34
	v_mul_lo_u32 v29, v11, s35
	v_mad_u64_u32 v[21:22], null, v11, s34, 0
	s_mov_b32 s0, exec_lo
	s_delay_alu instid0(VALU_DEP_1) | instskip(NEXT) | instid1(VALU_DEP_2)
	v_add3_u32 v2, v22, v29, v2
	v_sub_co_u32 v7, vcc_lo, v7, v21
	v_mul_lo_u32 v22, v12, s12
	v_mul_lo_u32 v21, v11, s13
	s_delay_alu instid0(VALU_DEP_4) | instskip(NEXT) | instid1(VALU_DEP_4)
	v_sub_co_ci_u32_e32 v2, vcc_lo, v8, v2, vcc_lo
	v_add_co_u32 v29, vcc_lo, v3, v7
	v_mad_u64_u32 v[7:8], null, v11, s12, 0
	s_delay_alu instid0(VALU_DEP_3) | instskip(NEXT) | instid1(VALU_DEP_3)
	v_add_co_ci_u32_e32 v2, vcc_lo, v4, v2, vcc_lo
	v_mul_lo_u32 v30, v29, s15
	v_mad_u64_u32 v[11:12], null, v29, s14, 0
	s_delay_alu instid0(VALU_DEP_3) | instskip(SKIP_1) | instid1(VALU_DEP_1)
	v_mul_lo_u32 v2, v2, s14
	v_add3_u32 v8, v8, v21, v22
	v_lshlrev_b64 v[7:8], 1, v[7:8]
	s_delay_alu instid0(VALU_DEP_3) | instskip(SKIP_1) | instid1(VALU_DEP_3)
	v_add3_u32 v12, v12, v30, v2
	v_or_b32_e32 v2, s35, v24
	v_add_co_u32 v7, vcc_lo, s30, v7
	s_delay_alu instid0(VALU_DEP_3) | instskip(SKIP_1) | instid1(VALU_DEP_2)
	v_lshlrev_b64 v[11:12], 1, v[11:12]
	v_add_co_ci_u32_e32 v8, vcc_lo, s31, v8, vcc_lo
	v_add_co_u32 v7, vcc_lo, v7, v11
	s_delay_alu instid0(VALU_DEP_2)
	v_add_co_ci_u32_e32 v8, vcc_lo, v8, v12, vcc_lo
	global_store_b16 v[7:8], v27, off
                                        ; implicit-def: $vgpr7_vgpr8
	v_cmpx_ne_u64_e32 0, v[1:2]
	s_xor_b32 s53, exec_lo, s0
	s_cbranch_execz .LBB63_49
; %bb.48:                               ;   in Loop: Header=BB63_3 Depth=1
	s_ashr_i32 s54, s35, 31
	s_delay_alu instid0(SALU_CYCLE_1) | instskip(SKIP_2) | instid1(SALU_CYCLE_1)
	s_add_u32 s56, s34, s54
	s_mov_b32 s55, s54
	s_addc_u32 s57, s35, s54
	s_xor_b64 s[56:57], s[56:57], s[54:55]
	s_delay_alu instid0(SALU_CYCLE_1) | instskip(SKIP_3) | instid1(VALU_DEP_1)
	v_cvt_f32_u32_e32 v2, s56
	v_cvt_f32_u32_e32 v7, s57
	s_sub_u32 s0, 0, s56
	s_subb_u32 s55, 0, s57
	v_fmac_f32_e32 v2, 0x4f800000, v7
	s_delay_alu instid0(VALU_DEP_1) | instskip(SKIP_2) | instid1(VALU_DEP_1)
	v_rcp_f32_e32 v2, v2
	s_waitcnt_depctr 0xfff
	v_mul_f32_e32 v2, 0x5f7ffffc, v2
	v_mul_f32_e32 v7, 0x2f800000, v2
	s_delay_alu instid0(VALU_DEP_1) | instskip(NEXT) | instid1(VALU_DEP_1)
	v_trunc_f32_e32 v7, v7
	v_fmac_f32_e32 v2, 0xcf800000, v7
	v_cvt_u32_f32_e32 v7, v7
	s_delay_alu instid0(VALU_DEP_2) | instskip(NEXT) | instid1(VALU_DEP_2)
	v_cvt_u32_f32_e32 v2, v2
	v_mul_lo_u32 v8, s0, v7
	s_delay_alu instid0(VALU_DEP_2) | instskip(SKIP_1) | instid1(VALU_DEP_2)
	v_mul_hi_u32 v11, s0, v2
	v_mul_lo_u32 v12, s55, v2
	v_add_nc_u32_e32 v8, v11, v8
	v_mul_lo_u32 v11, s0, v2
	s_delay_alu instid0(VALU_DEP_2) | instskip(NEXT) | instid1(VALU_DEP_2)
	v_add_nc_u32_e32 v8, v8, v12
	v_mul_hi_u32 v12, v2, v11
	s_delay_alu instid0(VALU_DEP_2)
	v_mul_lo_u32 v21, v2, v8
	v_mul_hi_u32 v22, v2, v8
	v_mul_hi_u32 v27, v7, v11
	v_mul_lo_u32 v11, v7, v11
	v_mul_hi_u32 v29, v7, v8
	v_mul_lo_u32 v8, v7, v8
	v_add_co_u32 v12, vcc_lo, v12, v21
	v_add_co_ci_u32_e32 v21, vcc_lo, 0, v22, vcc_lo
	s_delay_alu instid0(VALU_DEP_2) | instskip(NEXT) | instid1(VALU_DEP_2)
	v_add_co_u32 v11, vcc_lo, v12, v11
	v_add_co_ci_u32_e32 v11, vcc_lo, v21, v27, vcc_lo
	v_add_co_ci_u32_e32 v12, vcc_lo, 0, v29, vcc_lo
	s_delay_alu instid0(VALU_DEP_2) | instskip(NEXT) | instid1(VALU_DEP_2)
	v_add_co_u32 v8, vcc_lo, v11, v8
	v_add_co_ci_u32_e32 v11, vcc_lo, 0, v12, vcc_lo
	s_delay_alu instid0(VALU_DEP_2) | instskip(NEXT) | instid1(VALU_DEP_2)
	v_add_co_u32 v2, vcc_lo, v2, v8
	v_add_co_ci_u32_e32 v7, vcc_lo, v7, v11, vcc_lo
	s_delay_alu instid0(VALU_DEP_2) | instskip(SKIP_1) | instid1(VALU_DEP_3)
	v_mul_hi_u32 v8, s0, v2
	v_mul_lo_u32 v12, s55, v2
	v_mul_lo_u32 v11, s0, v7
	s_delay_alu instid0(VALU_DEP_1) | instskip(SKIP_1) | instid1(VALU_DEP_2)
	v_add_nc_u32_e32 v8, v8, v11
	v_mul_lo_u32 v11, s0, v2
	v_add_nc_u32_e32 v8, v8, v12
	s_delay_alu instid0(VALU_DEP_2) | instskip(NEXT) | instid1(VALU_DEP_2)
	v_mul_hi_u32 v12, v2, v11
	v_mul_lo_u32 v21, v2, v8
	v_mul_hi_u32 v22, v2, v8
	v_mul_hi_u32 v27, v7, v11
	v_mul_lo_u32 v11, v7, v11
	v_mul_hi_u32 v29, v7, v8
	v_mul_lo_u32 v8, v7, v8
	v_add_co_u32 v12, vcc_lo, v12, v21
	v_add_co_ci_u32_e32 v21, vcc_lo, 0, v22, vcc_lo
	s_delay_alu instid0(VALU_DEP_2) | instskip(NEXT) | instid1(VALU_DEP_2)
	v_add_co_u32 v11, vcc_lo, v12, v11
	v_add_co_ci_u32_e32 v11, vcc_lo, v21, v27, vcc_lo
	v_add_co_ci_u32_e32 v12, vcc_lo, 0, v29, vcc_lo
	v_add_co_u32 v21, vcc_lo, v23, v20
	v_add_co_ci_u32_e32 v22, vcc_lo, v24, v20, vcc_lo
	s_delay_alu instid0(VALU_DEP_4) | instskip(NEXT) | instid1(VALU_DEP_4)
	v_add_co_u32 v8, vcc_lo, v11, v8
	v_add_co_ci_u32_e32 v11, vcc_lo, 0, v12, vcc_lo
	s_delay_alu instid0(VALU_DEP_4) | instskip(NEXT) | instid1(VALU_DEP_3)
	v_xor_b32_e32 v23, v21, v20
	v_add_co_u32 v2, vcc_lo, v2, v8
	s_delay_alu instid0(VALU_DEP_3) | instskip(SKIP_1) | instid1(VALU_DEP_3)
	v_add_co_ci_u32_e32 v24, vcc_lo, v7, v11, vcc_lo
	v_xor_b32_e32 v27, v22, v20
	v_mul_hi_u32 v29, v23, v2
	v_xor_b32_e32 v20, s54, v20
	s_delay_alu instid0(VALU_DEP_4) | instskip(NEXT) | instid1(VALU_DEP_4)
	v_mad_u64_u32 v[7:8], null, v23, v24, 0
	v_mad_u64_u32 v[11:12], null, v27, v2, 0
	;; [unrolled: 1-line block ×3, first 2 shown]
	s_delay_alu instid0(VALU_DEP_3) | instskip(NEXT) | instid1(VALU_DEP_4)
	v_add_co_u32 v2, vcc_lo, v29, v7
	v_add_co_ci_u32_e32 v7, vcc_lo, 0, v8, vcc_lo
	s_delay_alu instid0(VALU_DEP_2) | instskip(NEXT) | instid1(VALU_DEP_2)
	v_add_co_u32 v2, vcc_lo, v2, v11
	v_add_co_ci_u32_e32 v2, vcc_lo, v7, v12, vcc_lo
	v_add_co_ci_u32_e32 v7, vcc_lo, 0, v22, vcc_lo
	s_delay_alu instid0(VALU_DEP_2) | instskip(NEXT) | instid1(VALU_DEP_2)
	v_add_co_u32 v2, vcc_lo, v2, v21
	v_add_co_ci_u32_e32 v11, vcc_lo, 0, v7, vcc_lo
	s_delay_alu instid0(VALU_DEP_2) | instskip(SKIP_1) | instid1(VALU_DEP_3)
	v_mul_lo_u32 v12, s57, v2
	v_mad_u64_u32 v[7:8], null, s56, v2, 0
	v_mul_lo_u32 v21, s56, v11
	s_delay_alu instid0(VALU_DEP_2) | instskip(NEXT) | instid1(VALU_DEP_2)
	v_sub_co_u32 v7, vcc_lo, v23, v7
	v_add3_u32 v8, v8, v21, v12
	s_delay_alu instid0(VALU_DEP_1) | instskip(NEXT) | instid1(VALU_DEP_1)
	v_sub_nc_u32_e32 v12, v27, v8
	v_subrev_co_ci_u32_e64 v12, s0, s57, v12, vcc_lo
	v_add_co_u32 v21, s0, v2, 2
	s_delay_alu instid0(VALU_DEP_1) | instskip(SKIP_3) | instid1(VALU_DEP_3)
	v_add_co_ci_u32_e64 v22, s0, 0, v11, s0
	v_sub_co_u32 v23, s0, v7, s56
	v_sub_co_ci_u32_e32 v8, vcc_lo, v27, v8, vcc_lo
	v_subrev_co_ci_u32_e64 v12, s0, 0, v12, s0
	v_cmp_le_u32_e32 vcc_lo, s56, v23
	s_delay_alu instid0(VALU_DEP_3) | instskip(SKIP_1) | instid1(VALU_DEP_4)
	v_cmp_eq_u32_e64 s0, s57, v8
	v_cndmask_b32_e64 v23, 0, -1, vcc_lo
	v_cmp_le_u32_e32 vcc_lo, s57, v12
	v_cndmask_b32_e64 v24, 0, -1, vcc_lo
	v_cmp_le_u32_e32 vcc_lo, s56, v7
	;; [unrolled: 2-line block ×3, first 2 shown]
	v_cndmask_b32_e64 v27, 0, -1, vcc_lo
	v_cmp_eq_u32_e32 vcc_lo, s57, v12
	s_delay_alu instid0(VALU_DEP_2) | instskip(SKIP_3) | instid1(VALU_DEP_3)
	v_cndmask_b32_e64 v7, v27, v7, s0
	v_cndmask_b32_e32 v12, v24, v23, vcc_lo
	v_add_co_u32 v23, vcc_lo, v2, 1
	v_add_co_ci_u32_e32 v24, vcc_lo, 0, v11, vcc_lo
	v_cmp_ne_u32_e32 vcc_lo, 0, v12
	s_delay_alu instid0(VALU_DEP_2) | instskip(NEXT) | instid1(VALU_DEP_4)
	v_cndmask_b32_e32 v8, v24, v22, vcc_lo
	v_cndmask_b32_e32 v12, v23, v21, vcc_lo
	v_cmp_ne_u32_e32 vcc_lo, 0, v7
                                        ; implicit-def: $vgpr23
	s_delay_alu instid0(VALU_DEP_2) | instskip(NEXT) | instid1(VALU_DEP_4)
	v_cndmask_b32_e32 v2, v2, v12, vcc_lo
	v_cndmask_b32_e32 v7, v11, v8, vcc_lo
	s_delay_alu instid0(VALU_DEP_2) | instskip(NEXT) | instid1(VALU_DEP_2)
	v_xor_b32_e32 v2, v2, v20
	v_xor_b32_e32 v8, v7, v20
	s_delay_alu instid0(VALU_DEP_2) | instskip(NEXT) | instid1(VALU_DEP_2)
	v_sub_co_u32 v7, vcc_lo, v2, v20
	v_sub_co_ci_u32_e32 v8, vcc_lo, v8, v20, vcc_lo
.LBB63_49:                              ;   in Loop: Header=BB63_3 Depth=1
	s_and_not1_saveexec_b32 s0, s53
	s_cbranch_execz .LBB63_51
; %bb.50:                               ;   in Loop: Header=BB63_3 Depth=1
	v_rcp_iflag_f32_e32 v2, v19
	s_sub_i32 s53, 0, s34
	s_waitcnt_depctr 0xfff
	v_mul_f32_e32 v2, 0x4f7ffffe, v2
	s_delay_alu instid0(VALU_DEP_1) | instskip(NEXT) | instid1(VALU_DEP_1)
	v_cvt_u32_f32_e32 v2, v2
	v_mul_lo_u32 v7, s53, v2
	s_delay_alu instid0(VALU_DEP_1) | instskip(NEXT) | instid1(VALU_DEP_1)
	v_mul_hi_u32 v7, v2, v7
	v_add_nc_u32_e32 v2, v2, v7
	s_delay_alu instid0(VALU_DEP_1) | instskip(NEXT) | instid1(VALU_DEP_1)
	v_mul_hi_u32 v2, v23, v2
	v_mul_lo_u32 v7, v2, s34
	v_add_nc_u32_e32 v8, 1, v2
	s_delay_alu instid0(VALU_DEP_2) | instskip(NEXT) | instid1(VALU_DEP_1)
	v_sub_nc_u32_e32 v7, v23, v7
	v_subrev_nc_u32_e32 v11, s34, v7
	v_cmp_le_u32_e32 vcc_lo, s34, v7
	s_delay_alu instid0(VALU_DEP_2) | instskip(NEXT) | instid1(VALU_DEP_1)
	v_dual_cndmask_b32 v7, v7, v11 :: v_dual_cndmask_b32 v2, v2, v8
	v_cmp_le_u32_e32 vcc_lo, s34, v7
	s_delay_alu instid0(VALU_DEP_2) | instskip(NEXT) | instid1(VALU_DEP_1)
	v_add_nc_u32_e32 v8, 1, v2
	v_dual_cndmask_b32 v7, v2, v8 :: v_dual_mov_b32 v8, v1
.LBB63_51:                              ;   in Loop: Header=BB63_3 Depth=1
	s_or_b32 exec_lo, exec_lo, s0
	s_delay_alu instid0(VALU_DEP_1) | instskip(NEXT) | instid1(VALU_DEP_2)
	v_mul_lo_u32 v2, v8, s34
	v_mul_lo_u32 v20, v7, s35
	v_mad_u64_u32 v[11:12], null, v7, s34, 0
	s_mov_b32 s0, exec_lo
	s_delay_alu instid0(VALU_DEP_1) | instskip(NEXT) | instid1(VALU_DEP_2)
	v_add3_u32 v2, v12, v20, v2
	v_sub_co_u32 v5, vcc_lo, v5, v11
	v_mul_lo_u32 v12, v8, s12
	v_mul_lo_u32 v11, v7, s13
	s_delay_alu instid0(VALU_DEP_4) | instskip(NEXT) | instid1(VALU_DEP_4)
	v_sub_co_ci_u32_e32 v2, vcc_lo, v6, v2, vcc_lo
	v_add_co_u32 v20, vcc_lo, v3, v5
	v_mad_u64_u32 v[5:6], null, v7, s12, 0
	s_delay_alu instid0(VALU_DEP_3) | instskip(NEXT) | instid1(VALU_DEP_3)
	v_add_co_ci_u32_e32 v2, vcc_lo, v4, v2, vcc_lo
	v_mul_lo_u32 v21, v20, s15
	v_mad_u64_u32 v[7:8], null, v20, s14, 0
	s_delay_alu instid0(VALU_DEP_3) | instskip(SKIP_1) | instid1(VALU_DEP_1)
	v_mul_lo_u32 v2, v2, s14
	v_add3_u32 v6, v6, v11, v12
	v_lshlrev_b64 v[5:6], 1, v[5:6]
	s_delay_alu instid0(VALU_DEP_3) | instskip(SKIP_1) | instid1(VALU_DEP_3)
	v_add3_u32 v8, v8, v21, v2
	v_or_b32_e32 v2, s35, v26
	v_add_co_u32 v5, vcc_lo, s30, v5
	s_delay_alu instid0(VALU_DEP_3) | instskip(SKIP_1) | instid1(VALU_DEP_2)
	v_lshlrev_b64 v[7:8], 1, v[7:8]
	v_add_co_ci_u32_e32 v6, vcc_lo, s31, v6, vcc_lo
	v_add_co_u32 v5, vcc_lo, v5, v7
	s_delay_alu instid0(VALU_DEP_2)
	v_add_co_ci_u32_e32 v6, vcc_lo, v6, v8, vcc_lo
	global_store_b16 v[5:6], v28, off
                                        ; implicit-def: $vgpr5_vgpr6
	v_cmpx_ne_u64_e32 0, v[1:2]
	s_xor_b32 s53, exec_lo, s0
	s_cbranch_execz .LBB63_53
; %bb.52:                               ;   in Loop: Header=BB63_3 Depth=1
	s_ashr_i32 s54, s35, 31
	s_delay_alu instid0(SALU_CYCLE_1) | instskip(SKIP_2) | instid1(SALU_CYCLE_1)
	s_add_u32 s56, s34, s54
	s_mov_b32 s55, s54
	s_addc_u32 s57, s35, s54
	s_xor_b64 s[56:57], s[56:57], s[54:55]
	s_delay_alu instid0(SALU_CYCLE_1) | instskip(SKIP_3) | instid1(VALU_DEP_1)
	v_cvt_f32_u32_e32 v2, s56
	v_cvt_f32_u32_e32 v5, s57
	s_sub_u32 s0, 0, s56
	s_subb_u32 s55, 0, s57
	v_fmac_f32_e32 v2, 0x4f800000, v5
	s_delay_alu instid0(VALU_DEP_1) | instskip(SKIP_2) | instid1(VALU_DEP_1)
	v_rcp_f32_e32 v2, v2
	s_waitcnt_depctr 0xfff
	v_mul_f32_e32 v2, 0x5f7ffffc, v2
	v_mul_f32_e32 v5, 0x2f800000, v2
	s_delay_alu instid0(VALU_DEP_1) | instskip(NEXT) | instid1(VALU_DEP_1)
	v_trunc_f32_e32 v5, v5
	v_fmac_f32_e32 v2, 0xcf800000, v5
	v_cvt_u32_f32_e32 v5, v5
	s_delay_alu instid0(VALU_DEP_2) | instskip(NEXT) | instid1(VALU_DEP_2)
	v_cvt_u32_f32_e32 v2, v2
	v_mul_lo_u32 v6, s0, v5
	s_delay_alu instid0(VALU_DEP_2) | instskip(SKIP_1) | instid1(VALU_DEP_2)
	v_mul_hi_u32 v7, s0, v2
	v_mul_lo_u32 v8, s55, v2
	v_add_nc_u32_e32 v6, v7, v6
	v_mul_lo_u32 v7, s0, v2
	s_delay_alu instid0(VALU_DEP_2) | instskip(NEXT) | instid1(VALU_DEP_2)
	v_add_nc_u32_e32 v6, v6, v8
	v_mul_hi_u32 v8, v2, v7
	s_delay_alu instid0(VALU_DEP_2)
	v_mul_lo_u32 v11, v2, v6
	v_mul_hi_u32 v12, v2, v6
	v_mul_hi_u32 v19, v5, v7
	v_mul_lo_u32 v7, v5, v7
	v_mul_hi_u32 v20, v5, v6
	v_mul_lo_u32 v6, v5, v6
	v_add_co_u32 v8, vcc_lo, v8, v11
	v_add_co_ci_u32_e32 v11, vcc_lo, 0, v12, vcc_lo
	s_delay_alu instid0(VALU_DEP_2) | instskip(NEXT) | instid1(VALU_DEP_2)
	v_add_co_u32 v7, vcc_lo, v8, v7
	v_add_co_ci_u32_e32 v7, vcc_lo, v11, v19, vcc_lo
	v_add_co_ci_u32_e32 v8, vcc_lo, 0, v20, vcc_lo
	s_delay_alu instid0(VALU_DEP_2) | instskip(NEXT) | instid1(VALU_DEP_2)
	v_add_co_u32 v6, vcc_lo, v7, v6
	v_add_co_ci_u32_e32 v7, vcc_lo, 0, v8, vcc_lo
	s_delay_alu instid0(VALU_DEP_2) | instskip(NEXT) | instid1(VALU_DEP_2)
	v_add_co_u32 v2, vcc_lo, v2, v6
	v_add_co_ci_u32_e32 v5, vcc_lo, v5, v7, vcc_lo
	s_delay_alu instid0(VALU_DEP_2) | instskip(SKIP_1) | instid1(VALU_DEP_3)
	v_mul_hi_u32 v6, s0, v2
	v_mul_lo_u32 v8, s55, v2
	v_mul_lo_u32 v7, s0, v5
	s_delay_alu instid0(VALU_DEP_1) | instskip(SKIP_1) | instid1(VALU_DEP_2)
	v_add_nc_u32_e32 v6, v6, v7
	v_mul_lo_u32 v7, s0, v2
	v_add_nc_u32_e32 v6, v6, v8
	s_delay_alu instid0(VALU_DEP_2) | instskip(NEXT) | instid1(VALU_DEP_2)
	v_mul_hi_u32 v8, v2, v7
	v_mul_lo_u32 v11, v2, v6
	v_mul_hi_u32 v12, v2, v6
	v_mul_hi_u32 v19, v5, v7
	v_mul_lo_u32 v7, v5, v7
	v_mul_hi_u32 v20, v5, v6
	v_mul_lo_u32 v6, v5, v6
	v_add_co_u32 v8, vcc_lo, v8, v11
	v_add_co_ci_u32_e32 v11, vcc_lo, 0, v12, vcc_lo
	s_delay_alu instid0(VALU_DEP_2) | instskip(NEXT) | instid1(VALU_DEP_2)
	v_add_co_u32 v7, vcc_lo, v8, v7
	v_add_co_ci_u32_e32 v7, vcc_lo, v11, v19, vcc_lo
	v_add_co_ci_u32_e32 v8, vcc_lo, 0, v20, vcc_lo
	v_add_co_u32 v11, vcc_lo, v25, v18
	v_add_co_ci_u32_e32 v12, vcc_lo, v26, v18, vcc_lo
	s_delay_alu instid0(VALU_DEP_4) | instskip(NEXT) | instid1(VALU_DEP_4)
	v_add_co_u32 v6, vcc_lo, v7, v6
	v_add_co_ci_u32_e32 v7, vcc_lo, 0, v8, vcc_lo
	s_delay_alu instid0(VALU_DEP_4) | instskip(NEXT) | instid1(VALU_DEP_3)
	v_xor_b32_e32 v19, v11, v18
	v_add_co_u32 v2, vcc_lo, v2, v6
	s_delay_alu instid0(VALU_DEP_3) | instskip(SKIP_1) | instid1(VALU_DEP_3)
	v_add_co_ci_u32_e32 v20, vcc_lo, v5, v7, vcc_lo
	v_xor_b32_e32 v21, v12, v18
	v_mul_hi_u32 v22, v19, v2
                                        ; implicit-def: $vgpr25
	s_delay_alu instid0(VALU_DEP_3) | instskip(NEXT) | instid1(VALU_DEP_3)
	v_mad_u64_u32 v[5:6], null, v19, v20, 0
	v_mad_u64_u32 v[7:8], null, v21, v2, 0
	;; [unrolled: 1-line block ×3, first 2 shown]
	s_delay_alu instid0(VALU_DEP_3) | instskip(NEXT) | instid1(VALU_DEP_4)
	v_add_co_u32 v2, vcc_lo, v22, v5
	v_add_co_ci_u32_e32 v5, vcc_lo, 0, v6, vcc_lo
	s_delay_alu instid0(VALU_DEP_2) | instskip(NEXT) | instid1(VALU_DEP_2)
	v_add_co_u32 v2, vcc_lo, v2, v7
	v_add_co_ci_u32_e32 v2, vcc_lo, v5, v8, vcc_lo
	v_add_co_ci_u32_e32 v5, vcc_lo, 0, v12, vcc_lo
	s_delay_alu instid0(VALU_DEP_2) | instskip(NEXT) | instid1(VALU_DEP_2)
	v_add_co_u32 v2, vcc_lo, v2, v11
	v_add_co_ci_u32_e32 v7, vcc_lo, 0, v5, vcc_lo
	s_delay_alu instid0(VALU_DEP_2) | instskip(SKIP_1) | instid1(VALU_DEP_3)
	v_mul_lo_u32 v8, s57, v2
	v_mad_u64_u32 v[5:6], null, s56, v2, 0
	v_mul_lo_u32 v11, s56, v7
	s_delay_alu instid0(VALU_DEP_2) | instskip(NEXT) | instid1(VALU_DEP_2)
	v_sub_co_u32 v5, vcc_lo, v19, v5
	v_add3_u32 v6, v6, v11, v8
	s_delay_alu instid0(VALU_DEP_1) | instskip(NEXT) | instid1(VALU_DEP_1)
	v_sub_nc_u32_e32 v8, v21, v6
	v_subrev_co_ci_u32_e64 v8, s0, s57, v8, vcc_lo
	v_add_co_u32 v11, s0, v2, 2
	s_delay_alu instid0(VALU_DEP_1) | instskip(SKIP_3) | instid1(VALU_DEP_3)
	v_add_co_ci_u32_e64 v12, s0, 0, v7, s0
	v_sub_co_u32 v19, s0, v5, s56
	v_sub_co_ci_u32_e32 v6, vcc_lo, v21, v6, vcc_lo
	v_subrev_co_ci_u32_e64 v8, s0, 0, v8, s0
	v_cmp_le_u32_e32 vcc_lo, s56, v19
	s_delay_alu instid0(VALU_DEP_3) | instskip(SKIP_1) | instid1(VALU_DEP_4)
	v_cmp_eq_u32_e64 s0, s57, v6
	v_cndmask_b32_e64 v19, 0, -1, vcc_lo
	v_cmp_le_u32_e32 vcc_lo, s57, v8
	v_cndmask_b32_e64 v20, 0, -1, vcc_lo
	v_cmp_le_u32_e32 vcc_lo, s56, v5
	;; [unrolled: 2-line block ×3, first 2 shown]
	v_cndmask_b32_e64 v21, 0, -1, vcc_lo
	v_cmp_eq_u32_e32 vcc_lo, s57, v8
	s_delay_alu instid0(VALU_DEP_2) | instskip(SKIP_3) | instid1(VALU_DEP_3)
	v_cndmask_b32_e64 v5, v21, v5, s0
	v_cndmask_b32_e32 v8, v20, v19, vcc_lo
	v_add_co_u32 v19, vcc_lo, v2, 1
	v_add_co_ci_u32_e32 v20, vcc_lo, 0, v7, vcc_lo
	v_cmp_ne_u32_e32 vcc_lo, 0, v8
	s_delay_alu instid0(VALU_DEP_2) | instskip(NEXT) | instid1(VALU_DEP_4)
	v_cndmask_b32_e32 v6, v20, v12, vcc_lo
	v_cndmask_b32_e32 v8, v19, v11, vcc_lo
	v_cmp_ne_u32_e32 vcc_lo, 0, v5
	v_xor_b32_e32 v11, s54, v18
                                        ; implicit-def: $vgpr19
	s_delay_alu instid0(VALU_DEP_3) | instskip(NEXT) | instid1(VALU_DEP_1)
	v_dual_cndmask_b32 v2, v2, v8 :: v_dual_cndmask_b32 v5, v7, v6
	v_xor_b32_e32 v2, v2, v11
	s_delay_alu instid0(VALU_DEP_2) | instskip(NEXT) | instid1(VALU_DEP_2)
	v_xor_b32_e32 v6, v5, v11
	v_sub_co_u32 v5, vcc_lo, v2, v11
	s_delay_alu instid0(VALU_DEP_2)
	v_sub_co_ci_u32_e32 v6, vcc_lo, v6, v11, vcc_lo
.LBB63_53:                              ;   in Loop: Header=BB63_3 Depth=1
	s_and_not1_saveexec_b32 s0, s53
	s_cbranch_execz .LBB63_55
; %bb.54:                               ;   in Loop: Header=BB63_3 Depth=1
	v_rcp_iflag_f32_e32 v2, v19
	s_sub_i32 s53, 0, s34
	s_waitcnt_depctr 0xfff
	v_mul_f32_e32 v2, 0x4f7ffffe, v2
	s_delay_alu instid0(VALU_DEP_1) | instskip(NEXT) | instid1(VALU_DEP_1)
	v_cvt_u32_f32_e32 v2, v2
	v_mul_lo_u32 v5, s53, v2
	s_delay_alu instid0(VALU_DEP_1) | instskip(NEXT) | instid1(VALU_DEP_1)
	v_mul_hi_u32 v5, v2, v5
	v_add_nc_u32_e32 v2, v2, v5
	s_delay_alu instid0(VALU_DEP_1) | instskip(NEXT) | instid1(VALU_DEP_1)
	v_mul_hi_u32 v2, v25, v2
	v_mul_lo_u32 v5, v2, s34
	v_add_nc_u32_e32 v6, 1, v2
	s_delay_alu instid0(VALU_DEP_2) | instskip(NEXT) | instid1(VALU_DEP_1)
	v_sub_nc_u32_e32 v5, v25, v5
	v_subrev_nc_u32_e32 v7, s34, v5
	v_cmp_le_u32_e32 vcc_lo, s34, v5
	s_delay_alu instid0(VALU_DEP_2) | instskip(NEXT) | instid1(VALU_DEP_1)
	v_dual_cndmask_b32 v5, v5, v7 :: v_dual_cndmask_b32 v2, v2, v6
	v_cmp_le_u32_e32 vcc_lo, s34, v5
	s_delay_alu instid0(VALU_DEP_2) | instskip(NEXT) | instid1(VALU_DEP_1)
	v_add_nc_u32_e32 v6, 1, v2
	v_dual_cndmask_b32 v5, v2, v6 :: v_dual_mov_b32 v6, v1
.LBB63_55:                              ;   in Loop: Header=BB63_3 Depth=1
	s_or_b32 exec_lo, exec_lo, s0
	s_delay_alu instid0(VALU_DEP_1) | instskip(NEXT) | instid1(VALU_DEP_2)
	v_mul_lo_u32 v2, v6, s34
	v_mul_lo_u32 v11, v5, s35
	v_mad_u64_u32 v[7:8], null, v5, s34, 0
	v_mul_f32_e32 v12, v17, v16
	s_mov_b32 s0, exec_lo
	s_delay_alu instid0(VALU_DEP_2) | instskip(SKIP_1) | instid1(VALU_DEP_4)
	v_add3_u32 v2, v8, v11, v2
	v_mul_lo_u32 v11, v6, s12
	v_sub_co_u32 v6, vcc_lo, v9, v7
	s_delay_alu instid0(VALU_DEP_3) | instskip(NEXT) | instid1(VALU_DEP_2)
	v_sub_co_ci_u32_e32 v2, vcc_lo, v10, v2, vcc_lo
	v_add_co_u32 v16, vcc_lo, v3, v6
	v_mul_lo_u32 v10, v5, s13
	s_delay_alu instid0(VALU_DEP_3) | instskip(SKIP_1) | instid1(VALU_DEP_4)
	v_add_co_ci_u32_e32 v2, vcc_lo, v4, v2, vcc_lo
	v_mad_u64_u32 v[6:7], null, v5, s12, 0
	v_mul_lo_u32 v5, v16, s15
	v_mad_u64_u32 v[8:9], null, v16, s14, 0
	s_delay_alu instid0(VALU_DEP_4) | instskip(SKIP_2) | instid1(VALU_DEP_2)
	v_mul_lo_u32 v2, v2, s14
	v_bfe_u32 v16, v12, 16, 1
	v_add3_u32 v7, v7, v10, v11
	v_add3_u32 v10, v12, v16, 0x7fff
	s_delay_alu instid0(VALU_DEP_4) | instskip(NEXT) | instid1(VALU_DEP_3)
	v_add3_u32 v9, v9, v5, v2
	v_lshlrev_b64 v[5:6], 1, v[6:7]
	v_or_b32_e32 v2, s43, v4
	s_delay_alu instid0(VALU_DEP_4) | instskip(NEXT) | instid1(VALU_DEP_4)
	v_lshrrev_b32_e32 v10, 16, v10
	v_lshlrev_b64 v[7:8], 1, v[8:9]
	s_delay_alu instid0(VALU_DEP_4) | instskip(SKIP_3) | instid1(VALU_DEP_4)
	v_add_co_u32 v5, vcc_lo, s30, v5
	v_add_co_ci_u32_e32 v6, vcc_lo, s31, v6, vcc_lo
	v_cmp_o_f32_e32 vcc_lo, v12, v12
	v_cndmask_b32_e32 v9, 0x7fc0, v10, vcc_lo
	v_add_co_u32 v5, vcc_lo, v5, v7
	s_delay_alu instid0(VALU_DEP_4)
	v_add_co_ci_u32_e32 v6, vcc_lo, v6, v8, vcc_lo
	global_store_b16 v[5:6], v9, off
                                        ; implicit-def: $vgpr5_vgpr6
	v_cmpx_ne_u64_e32 0, v[1:2]
	s_xor_b32 s53, exec_lo, s0
	s_cbranch_execz .LBB63_57
; %bb.56:                               ;   in Loop: Header=BB63_3 Depth=1
	s_ashr_i32 s54, s43, 31
	s_delay_alu instid0(SALU_CYCLE_1) | instskip(SKIP_2) | instid1(SALU_CYCLE_1)
	s_add_u32 s56, s42, s54
	s_mov_b32 s55, s54
	s_addc_u32 s57, s43, s54
	s_xor_b64 s[56:57], s[56:57], s[54:55]
	s_delay_alu instid0(SALU_CYCLE_1) | instskip(SKIP_3) | instid1(VALU_DEP_1)
	v_cvt_f32_u32_e32 v2, s56
	v_cvt_f32_u32_e32 v5, s57
	s_sub_u32 s0, 0, s56
	s_subb_u32 s55, 0, s57
	v_fmac_f32_e32 v2, 0x4f800000, v5
	s_delay_alu instid0(VALU_DEP_1) | instskip(SKIP_2) | instid1(VALU_DEP_1)
	v_rcp_f32_e32 v2, v2
	s_waitcnt_depctr 0xfff
	v_mul_f32_e32 v2, 0x5f7ffffc, v2
	v_mul_f32_e32 v5, 0x2f800000, v2
	s_delay_alu instid0(VALU_DEP_1) | instskip(NEXT) | instid1(VALU_DEP_1)
	v_trunc_f32_e32 v5, v5
	v_fmac_f32_e32 v2, 0xcf800000, v5
	v_cvt_u32_f32_e32 v5, v5
	s_delay_alu instid0(VALU_DEP_2) | instskip(NEXT) | instid1(VALU_DEP_2)
	v_cvt_u32_f32_e32 v2, v2
	v_mul_lo_u32 v6, s0, v5
	s_delay_alu instid0(VALU_DEP_2) | instskip(SKIP_1) | instid1(VALU_DEP_2)
	v_mul_hi_u32 v7, s0, v2
	v_mul_lo_u32 v8, s55, v2
	v_add_nc_u32_e32 v6, v7, v6
	v_mul_lo_u32 v7, s0, v2
	s_delay_alu instid0(VALU_DEP_2) | instskip(NEXT) | instid1(VALU_DEP_2)
	v_add_nc_u32_e32 v6, v6, v8
	v_mul_hi_u32 v8, v2, v7
	s_delay_alu instid0(VALU_DEP_2)
	v_mul_lo_u32 v9, v2, v6
	v_mul_hi_u32 v10, v2, v6
	v_mul_hi_u32 v11, v5, v7
	v_mul_lo_u32 v7, v5, v7
	v_mul_hi_u32 v12, v5, v6
	v_mul_lo_u32 v6, v5, v6
	v_add_co_u32 v8, vcc_lo, v8, v9
	v_add_co_ci_u32_e32 v9, vcc_lo, 0, v10, vcc_lo
	s_delay_alu instid0(VALU_DEP_2) | instskip(NEXT) | instid1(VALU_DEP_2)
	v_add_co_u32 v7, vcc_lo, v8, v7
	v_add_co_ci_u32_e32 v7, vcc_lo, v9, v11, vcc_lo
	v_add_co_ci_u32_e32 v8, vcc_lo, 0, v12, vcc_lo
	s_delay_alu instid0(VALU_DEP_2) | instskip(NEXT) | instid1(VALU_DEP_2)
	v_add_co_u32 v6, vcc_lo, v7, v6
	v_add_co_ci_u32_e32 v7, vcc_lo, 0, v8, vcc_lo
	s_delay_alu instid0(VALU_DEP_2) | instskip(NEXT) | instid1(VALU_DEP_2)
	v_add_co_u32 v2, vcc_lo, v2, v6
	v_add_co_ci_u32_e32 v5, vcc_lo, v5, v7, vcc_lo
	s_delay_alu instid0(VALU_DEP_2) | instskip(SKIP_1) | instid1(VALU_DEP_3)
	v_mul_hi_u32 v6, s0, v2
	v_mul_lo_u32 v8, s55, v2
	v_mul_lo_u32 v7, s0, v5
	s_delay_alu instid0(VALU_DEP_1) | instskip(SKIP_1) | instid1(VALU_DEP_2)
	v_add_nc_u32_e32 v6, v6, v7
	v_mul_lo_u32 v7, s0, v2
	v_add_nc_u32_e32 v6, v6, v8
	s_delay_alu instid0(VALU_DEP_2) | instskip(NEXT) | instid1(VALU_DEP_2)
	v_mul_hi_u32 v8, v2, v7
	v_mul_lo_u32 v9, v2, v6
	v_mul_hi_u32 v10, v2, v6
	v_mul_hi_u32 v11, v5, v7
	v_mul_lo_u32 v7, v5, v7
	v_mul_hi_u32 v12, v5, v6
	v_mul_lo_u32 v6, v5, v6
	v_add_co_u32 v8, vcc_lo, v8, v9
	v_add_co_ci_u32_e32 v9, vcc_lo, 0, v10, vcc_lo
	s_delay_alu instid0(VALU_DEP_2) | instskip(NEXT) | instid1(VALU_DEP_2)
	v_add_co_u32 v7, vcc_lo, v8, v7
	v_add_co_ci_u32_e32 v7, vcc_lo, v9, v11, vcc_lo
	v_add_co_ci_u32_e32 v8, vcc_lo, 0, v12, vcc_lo
	v_add_co_u32 v9, vcc_lo, v3, v13
	v_add_co_ci_u32_e32 v10, vcc_lo, v4, v13, vcc_lo
	s_delay_alu instid0(VALU_DEP_4) | instskip(NEXT) | instid1(VALU_DEP_4)
	v_add_co_u32 v6, vcc_lo, v7, v6
	v_add_co_ci_u32_e32 v7, vcc_lo, 0, v8, vcc_lo
	s_delay_alu instid0(VALU_DEP_4) | instskip(NEXT) | instid1(VALU_DEP_3)
	v_xor_b32_e32 v11, v9, v13
	v_add_co_u32 v2, vcc_lo, v2, v6
	s_delay_alu instid0(VALU_DEP_3) | instskip(SKIP_1) | instid1(VALU_DEP_3)
	v_add_co_ci_u32_e32 v12, vcc_lo, v5, v7, vcc_lo
	v_xor_b32_e32 v16, v10, v13
	v_mul_hi_u32 v17, v11, v2
	s_delay_alu instid0(VALU_DEP_3) | instskip(NEXT) | instid1(VALU_DEP_3)
	v_mad_u64_u32 v[5:6], null, v11, v12, 0
	v_mad_u64_u32 v[7:8], null, v16, v2, 0
	;; [unrolled: 1-line block ×3, first 2 shown]
	s_delay_alu instid0(VALU_DEP_3) | instskip(NEXT) | instid1(VALU_DEP_4)
	v_add_co_u32 v2, vcc_lo, v17, v5
	v_add_co_ci_u32_e32 v5, vcc_lo, 0, v6, vcc_lo
	s_delay_alu instid0(VALU_DEP_2) | instskip(NEXT) | instid1(VALU_DEP_2)
	v_add_co_u32 v2, vcc_lo, v2, v7
	v_add_co_ci_u32_e32 v2, vcc_lo, v5, v8, vcc_lo
	v_add_co_ci_u32_e32 v5, vcc_lo, 0, v10, vcc_lo
	s_delay_alu instid0(VALU_DEP_2) | instskip(NEXT) | instid1(VALU_DEP_2)
	v_add_co_u32 v2, vcc_lo, v2, v9
	v_add_co_ci_u32_e32 v7, vcc_lo, 0, v5, vcc_lo
	s_delay_alu instid0(VALU_DEP_2) | instskip(SKIP_1) | instid1(VALU_DEP_3)
	v_mul_lo_u32 v8, s57, v2
	v_mad_u64_u32 v[5:6], null, s56, v2, 0
	v_mul_lo_u32 v9, s56, v7
	s_delay_alu instid0(VALU_DEP_2) | instskip(NEXT) | instid1(VALU_DEP_2)
	v_sub_co_u32 v5, vcc_lo, v11, v5
	v_add3_u32 v6, v6, v9, v8
	s_delay_alu instid0(VALU_DEP_1) | instskip(NEXT) | instid1(VALU_DEP_1)
	v_sub_nc_u32_e32 v8, v16, v6
	v_subrev_co_ci_u32_e64 v8, s0, s57, v8, vcc_lo
	v_add_co_u32 v9, s0, v2, 2
	s_delay_alu instid0(VALU_DEP_1) | instskip(SKIP_3) | instid1(VALU_DEP_3)
	v_add_co_ci_u32_e64 v10, s0, 0, v7, s0
	v_sub_co_u32 v11, s0, v5, s56
	v_sub_co_ci_u32_e32 v6, vcc_lo, v16, v6, vcc_lo
	v_subrev_co_ci_u32_e64 v8, s0, 0, v8, s0
	v_cmp_le_u32_e32 vcc_lo, s56, v11
	s_delay_alu instid0(VALU_DEP_3) | instskip(SKIP_1) | instid1(VALU_DEP_4)
	v_cmp_eq_u32_e64 s0, s57, v6
	v_cndmask_b32_e64 v11, 0, -1, vcc_lo
	v_cmp_le_u32_e32 vcc_lo, s57, v8
	v_cndmask_b32_e64 v12, 0, -1, vcc_lo
	v_cmp_le_u32_e32 vcc_lo, s56, v5
	;; [unrolled: 2-line block ×3, first 2 shown]
	v_cndmask_b32_e64 v16, 0, -1, vcc_lo
	v_cmp_eq_u32_e32 vcc_lo, s57, v8
	s_delay_alu instid0(VALU_DEP_2) | instskip(SKIP_3) | instid1(VALU_DEP_3)
	v_cndmask_b32_e64 v5, v16, v5, s0
	v_cndmask_b32_e32 v8, v12, v11, vcc_lo
	v_add_co_u32 v11, vcc_lo, v2, 1
	v_add_co_ci_u32_e32 v12, vcc_lo, 0, v7, vcc_lo
	v_cmp_ne_u32_e32 vcc_lo, 0, v8
	s_delay_alu instid0(VALU_DEP_2) | instskip(NEXT) | instid1(VALU_DEP_4)
	v_cndmask_b32_e32 v6, v12, v10, vcc_lo
	v_cndmask_b32_e32 v8, v11, v9, vcc_lo
	v_cmp_ne_u32_e32 vcc_lo, 0, v5
	v_xor_b32_e32 v9, s54, v13
	s_delay_alu instid0(VALU_DEP_3) | instskip(NEXT) | instid1(VALU_DEP_1)
	v_dual_cndmask_b32 v2, v2, v8 :: v_dual_cndmask_b32 v5, v7, v6
	v_xor_b32_e32 v2, v2, v9
	s_delay_alu instid0(VALU_DEP_2) | instskip(NEXT) | instid1(VALU_DEP_2)
	v_xor_b32_e32 v6, v5, v9
	v_sub_co_u32 v5, vcc_lo, v2, v9
	s_delay_alu instid0(VALU_DEP_2)
	v_sub_co_ci_u32_e32 v6, vcc_lo, v6, v9, vcc_lo
.LBB63_57:                              ;   in Loop: Header=BB63_3 Depth=1
	s_and_not1_saveexec_b32 s0, s53
	s_cbranch_execz .LBB63_2
; %bb.58:                               ;   in Loop: Header=BB63_3 Depth=1
	v_cvt_f32_u32_e32 v2, s42
	s_sub_i32 s53, 0, s42
	s_delay_alu instid0(VALU_DEP_1) | instskip(SKIP_2) | instid1(VALU_DEP_1)
	v_rcp_iflag_f32_e32 v2, v2
	s_waitcnt_depctr 0xfff
	v_mul_f32_e32 v2, 0x4f7ffffe, v2
	v_cvt_u32_f32_e32 v2, v2
	s_delay_alu instid0(VALU_DEP_1) | instskip(NEXT) | instid1(VALU_DEP_1)
	v_mul_lo_u32 v5, s53, v2
	v_mul_hi_u32 v5, v2, v5
	s_delay_alu instid0(VALU_DEP_1) | instskip(NEXT) | instid1(VALU_DEP_1)
	v_add_nc_u32_e32 v2, v2, v5
	v_mul_hi_u32 v2, v3, v2
	s_delay_alu instid0(VALU_DEP_1) | instskip(SKIP_1) | instid1(VALU_DEP_2)
	v_mul_lo_u32 v5, v2, s42
	v_add_nc_u32_e32 v6, 1, v2
	v_sub_nc_u32_e32 v5, v3, v5
	s_delay_alu instid0(VALU_DEP_1) | instskip(SKIP_1) | instid1(VALU_DEP_2)
	v_subrev_nc_u32_e32 v7, s42, v5
	v_cmp_le_u32_e32 vcc_lo, s42, v5
	v_dual_cndmask_b32 v5, v5, v7 :: v_dual_cndmask_b32 v2, v2, v6
	s_delay_alu instid0(VALU_DEP_1) | instskip(NEXT) | instid1(VALU_DEP_2)
	v_cmp_le_u32_e32 vcc_lo, s42, v5
	v_add_nc_u32_e32 v6, 1, v2
	s_delay_alu instid0(VALU_DEP_1)
	v_dual_cndmask_b32 v5, v2, v6 :: v_dual_mov_b32 v6, v1
	s_branch .LBB63_2
.LBB63_59:
	s_nop 0
	s_sendmsg sendmsg(MSG_DEALLOC_VGPRS)
	s_endpgm
	.section	.rodata,"a",@progbits
	.p2align	6, 0x0
	.amdhsa_kernel _ZN2at6native12_GLOBAL__N_16kernel17gru_cell_backwardIN3c108BFloat16EflLi2EEEvNS_4cuda6detail10TensorInfoIT_T1_EESB_SB_SB_SB_SA_SA_
		.amdhsa_group_segment_fixed_size 0
		.amdhsa_private_segment_fixed_size 0
		.amdhsa_kernarg_size 2352
		.amdhsa_user_sgpr_count 15
		.amdhsa_user_sgpr_dispatch_ptr 0
		.amdhsa_user_sgpr_queue_ptr 0
		.amdhsa_user_sgpr_kernarg_segment_ptr 1
		.amdhsa_user_sgpr_dispatch_id 0
		.amdhsa_user_sgpr_private_segment_size 0
		.amdhsa_wavefront_size32 1
		.amdhsa_uses_dynamic_stack 0
		.amdhsa_enable_private_segment 0
		.amdhsa_system_sgpr_workgroup_id_x 1
		.amdhsa_system_sgpr_workgroup_id_y 0
		.amdhsa_system_sgpr_workgroup_id_z 0
		.amdhsa_system_sgpr_workgroup_info 0
		.amdhsa_system_vgpr_workitem_id 0
		.amdhsa_next_free_vgpr 37
		.amdhsa_next_free_sgpr 62
		.amdhsa_reserve_vcc 1
		.amdhsa_float_round_mode_32 0
		.amdhsa_float_round_mode_16_64 0
		.amdhsa_float_denorm_mode_32 3
		.amdhsa_float_denorm_mode_16_64 3
		.amdhsa_dx10_clamp 1
		.amdhsa_ieee_mode 1
		.amdhsa_fp16_overflow 0
		.amdhsa_workgroup_processor_mode 1
		.amdhsa_memory_ordered 1
		.amdhsa_forward_progress 0
		.amdhsa_shared_vgpr_count 0
		.amdhsa_exception_fp_ieee_invalid_op 0
		.amdhsa_exception_fp_denorm_src 0
		.amdhsa_exception_fp_ieee_div_zero 0
		.amdhsa_exception_fp_ieee_overflow 0
		.amdhsa_exception_fp_ieee_underflow 0
		.amdhsa_exception_fp_ieee_inexact 0
		.amdhsa_exception_int_div_zero 0
	.end_amdhsa_kernel
	.section	.text._ZN2at6native12_GLOBAL__N_16kernel17gru_cell_backwardIN3c108BFloat16EflLi2EEEvNS_4cuda6detail10TensorInfoIT_T1_EESB_SB_SB_SB_SA_SA_,"axG",@progbits,_ZN2at6native12_GLOBAL__N_16kernel17gru_cell_backwardIN3c108BFloat16EflLi2EEEvNS_4cuda6detail10TensorInfoIT_T1_EESB_SB_SB_SB_SA_SA_,comdat
.Lfunc_end63:
	.size	_ZN2at6native12_GLOBAL__N_16kernel17gru_cell_backwardIN3c108BFloat16EflLi2EEEvNS_4cuda6detail10TensorInfoIT_T1_EESB_SB_SB_SB_SA_SA_, .Lfunc_end63-_ZN2at6native12_GLOBAL__N_16kernel17gru_cell_backwardIN3c108BFloat16EflLi2EEEvNS_4cuda6detail10TensorInfoIT_T1_EESB_SB_SB_SB_SA_SA_
                                        ; -- End function
	.section	.AMDGPU.csdata,"",@progbits
; Kernel info:
; codeLenInByte = 17440
; NumSgprs: 64
; NumVgprs: 37
; ScratchSize: 0
; MemoryBound: 0
; FloatMode: 240
; IeeeMode: 1
; LDSByteSize: 0 bytes/workgroup (compile time only)
; SGPRBlocks: 7
; VGPRBlocks: 4
; NumSGPRsForWavesPerEU: 64
; NumVGPRsForWavesPerEU: 37
; Occupancy: 16
; WaveLimiterHint : 1
; COMPUTE_PGM_RSRC2:SCRATCH_EN: 0
; COMPUTE_PGM_RSRC2:USER_SGPR: 15
; COMPUTE_PGM_RSRC2:TRAP_HANDLER: 0
; COMPUTE_PGM_RSRC2:TGID_X_EN: 1
; COMPUTE_PGM_RSRC2:TGID_Y_EN: 0
; COMPUTE_PGM_RSRC2:TGID_Z_EN: 0
; COMPUTE_PGM_RSRC2:TIDIG_COMP_CNT: 0
	.text
	.p2alignl 7, 3214868480
	.fill 96, 4, 3214868480
	.type	__hip_cuid_254aeb8db0f2b637,@object ; @__hip_cuid_254aeb8db0f2b637
	.section	.bss,"aw",@nobits
	.globl	__hip_cuid_254aeb8db0f2b637
__hip_cuid_254aeb8db0f2b637:
	.byte	0                               ; 0x0
	.size	__hip_cuid_254aeb8db0f2b637, 1

	.ident	"AMD clang version 19.0.0git (https://github.com/RadeonOpenCompute/llvm-project roc-6.4.0 25133 c7fe45cf4b819c5991fe208aaa96edf142730f1d)"
	.section	".note.GNU-stack","",@progbits
	.addrsig
	.addrsig_sym __hip_cuid_254aeb8db0f2b637
	.amdgpu_metadata
---
amdhsa.kernels:
  - .args:
      - .offset:         0
        .size:           216
        .value_kind:     by_value
      - .offset:         216
        .size:           216
        .value_kind:     by_value
      - .offset:         432
        .size:           216
        .value_kind:     by_value
      - .offset:         648
        .size:           216
        .value_kind:     by_value
      - .offset:         864
        .size:           216
        .value_kind:     by_value
      - .offset:         1080
        .size:           216
        .value_kind:     by_value
      - .offset:         1296
        .size:           216
        .value_kind:     by_value
      - .offset:         1512
        .size:           216
        .value_kind:     by_value
      - .offset:         1728
        .size:           4
        .value_kind:     by_value
      - .offset:         1732
        .size:           4
        .value_kind:     by_value
      - .offset:         1736
        .size:           4
        .value_kind:     hidden_block_count_x
      - .offset:         1740
        .size:           4
        .value_kind:     hidden_block_count_y
      - .offset:         1744
        .size:           4
        .value_kind:     hidden_block_count_z
      - .offset:         1748
        .size:           2
        .value_kind:     hidden_group_size_x
      - .offset:         1750
        .size:           2
        .value_kind:     hidden_group_size_y
      - .offset:         1752
        .size:           2
        .value_kind:     hidden_group_size_z
      - .offset:         1754
        .size:           2
        .value_kind:     hidden_remainder_x
      - .offset:         1756
        .size:           2
        .value_kind:     hidden_remainder_y
      - .offset:         1758
        .size:           2
        .value_kind:     hidden_remainder_z
      - .offset:         1776
        .size:           8
        .value_kind:     hidden_global_offset_x
      - .offset:         1784
        .size:           8
        .value_kind:     hidden_global_offset_y
      - .offset:         1792
        .size:           8
        .value_kind:     hidden_global_offset_z
      - .offset:         1800
        .size:           2
        .value_kind:     hidden_grid_dims
    .group_segment_fixed_size: 0
    .kernarg_segment_align: 8
    .kernarg_segment_size: 1992
    .language:       OpenCL C
    .language_version:
      - 2
      - 0
    .max_flat_workgroup_size: 512
    .name:           _ZN2at6native12_GLOBAL__N_16kernel17lstm_cell_forwardIddiLi1EEEvNS_4cuda6detail10TensorInfoIT_T1_EES9_S9_S9_S9_S9_S9_S9_S8_S8_
    .private_segment_fixed_size: 0
    .sgpr_count:     73
    .sgpr_spill_count: 0
    .symbol:         _ZN2at6native12_GLOBAL__N_16kernel17lstm_cell_forwardIddiLi1EEEvNS_4cuda6detail10TensorInfoIT_T1_EES9_S9_S9_S9_S9_S9_S9_S8_S8_.kd
    .uniform_work_group_size: 1
    .uses_dynamic_stack: false
    .vgpr_count:     62
    .vgpr_spill_count: 0
    .wavefront_size: 32
    .workgroup_processor_mode: 1
  - .args:
      - .offset:         0
        .size:           216
        .value_kind:     by_value
      - .offset:         216
        .size:           216
        .value_kind:     by_value
      - .offset:         432
        .size:           216
        .value_kind:     by_value
      - .offset:         648
        .size:           216
        .value_kind:     by_value
      - .offset:         864
        .size:           216
        .value_kind:     by_value
      - .offset:         1080
        .size:           216
        .value_kind:     by_value
      - .offset:         1296
        .size:           216
        .value_kind:     by_value
      - .offset:         1512
        .size:           216
        .value_kind:     by_value
      - .offset:         1728
        .size:           4
        .value_kind:     by_value
      - .offset:         1732
        .size:           4
        .value_kind:     by_value
      - .offset:         1736
        .size:           4
        .value_kind:     hidden_block_count_x
      - .offset:         1740
        .size:           4
        .value_kind:     hidden_block_count_y
      - .offset:         1744
        .size:           4
        .value_kind:     hidden_block_count_z
      - .offset:         1748
        .size:           2
        .value_kind:     hidden_group_size_x
      - .offset:         1750
        .size:           2
        .value_kind:     hidden_group_size_y
      - .offset:         1752
        .size:           2
        .value_kind:     hidden_group_size_z
      - .offset:         1754
        .size:           2
        .value_kind:     hidden_remainder_x
      - .offset:         1756
        .size:           2
        .value_kind:     hidden_remainder_y
      - .offset:         1758
        .size:           2
        .value_kind:     hidden_remainder_z
      - .offset:         1776
        .size:           8
        .value_kind:     hidden_global_offset_x
      - .offset:         1784
        .size:           8
        .value_kind:     hidden_global_offset_y
      - .offset:         1792
        .size:           8
        .value_kind:     hidden_global_offset_z
      - .offset:         1800
        .size:           2
        .value_kind:     hidden_grid_dims
    .group_segment_fixed_size: 0
    .kernarg_segment_align: 8
    .kernarg_segment_size: 1992
    .language:       OpenCL C
    .language_version:
      - 2
      - 0
    .max_flat_workgroup_size: 512
    .name:           _ZN2at6native12_GLOBAL__N_16kernel17lstm_cell_forwardIddiLi2EEEvNS_4cuda6detail10TensorInfoIT_T1_EES9_S9_S9_S9_S9_S9_S9_S8_S8_
    .private_segment_fixed_size: 0
    .sgpr_count:     98
    .sgpr_spill_count: 0
    .symbol:         _ZN2at6native12_GLOBAL__N_16kernel17lstm_cell_forwardIddiLi2EEEvNS_4cuda6detail10TensorInfoIT_T1_EES9_S9_S9_S9_S9_S9_S9_S8_S8_.kd
    .uniform_work_group_size: 1
    .uses_dynamic_stack: false
    .vgpr_count:     74
    .vgpr_spill_count: 0
    .wavefront_size: 32
    .workgroup_processor_mode: 1
  - .args:
      - .offset:         0
        .size:           416
        .value_kind:     by_value
      - .offset:         416
        .size:           416
        .value_kind:     by_value
      - .offset:         832
        .size:           416
        .value_kind:     by_value
      - .offset:         1248
        .size:           416
        .value_kind:     by_value
      - .offset:         1664
        .size:           416
        .value_kind:     by_value
      - .offset:         2080
        .size:           416
        .value_kind:     by_value
      - .offset:         2496
        .size:           416
        .value_kind:     by_value
      - .offset:         2912
        .size:           416
        .value_kind:     by_value
      - .offset:         3328
        .size:           8
        .value_kind:     by_value
      - .offset:         3336
        .size:           8
        .value_kind:     by_value
      - .offset:         3344
        .size:           4
        .value_kind:     hidden_block_count_x
      - .offset:         3348
        .size:           4
        .value_kind:     hidden_block_count_y
      - .offset:         3352
        .size:           4
        .value_kind:     hidden_block_count_z
      - .offset:         3356
        .size:           2
        .value_kind:     hidden_group_size_x
      - .offset:         3358
        .size:           2
        .value_kind:     hidden_group_size_y
      - .offset:         3360
        .size:           2
        .value_kind:     hidden_group_size_z
      - .offset:         3362
        .size:           2
        .value_kind:     hidden_remainder_x
      - .offset:         3364
        .size:           2
        .value_kind:     hidden_remainder_y
      - .offset:         3366
        .size:           2
        .value_kind:     hidden_remainder_z
      - .offset:         3384
        .size:           8
        .value_kind:     hidden_global_offset_x
      - .offset:         3392
        .size:           8
        .value_kind:     hidden_global_offset_y
      - .offset:         3400
        .size:           8
        .value_kind:     hidden_global_offset_z
      - .offset:         3408
        .size:           2
        .value_kind:     hidden_grid_dims
    .group_segment_fixed_size: 0
    .kernarg_segment_align: 8
    .kernarg_segment_size: 3600
    .language:       OpenCL C
    .language_version:
      - 2
      - 0
    .max_flat_workgroup_size: 512
    .name:           _ZN2at6native12_GLOBAL__N_16kernel17lstm_cell_forwardIddlLi1EEEvNS_4cuda6detail10TensorInfoIT_T1_EES9_S9_S9_S9_S9_S9_S9_S8_S8_
    .private_segment_fixed_size: 0
    .sgpr_count:     80
    .sgpr_spill_count: 0
    .symbol:         _ZN2at6native12_GLOBAL__N_16kernel17lstm_cell_forwardIddlLi1EEEvNS_4cuda6detail10TensorInfoIT_T1_EES9_S9_S9_S9_S9_S9_S9_S8_S8_.kd
    .uniform_work_group_size: 1
    .uses_dynamic_stack: false
    .vgpr_count:     70
    .vgpr_spill_count: 0
    .wavefront_size: 32
    .workgroup_processor_mode: 1
  - .args:
      - .offset:         0
        .size:           416
        .value_kind:     by_value
      - .offset:         416
        .size:           416
        .value_kind:     by_value
      - .offset:         832
        .size:           416
        .value_kind:     by_value
      - .offset:         1248
        .size:           416
        .value_kind:     by_value
      - .offset:         1664
        .size:           416
        .value_kind:     by_value
      - .offset:         2080
        .size:           416
        .value_kind:     by_value
      - .offset:         2496
        .size:           416
        .value_kind:     by_value
      - .offset:         2912
        .size:           416
        .value_kind:     by_value
      - .offset:         3328
        .size:           8
        .value_kind:     by_value
      - .offset:         3336
        .size:           8
        .value_kind:     by_value
      - .offset:         3344
        .size:           4
        .value_kind:     hidden_block_count_x
      - .offset:         3348
        .size:           4
        .value_kind:     hidden_block_count_y
      - .offset:         3352
        .size:           4
        .value_kind:     hidden_block_count_z
      - .offset:         3356
        .size:           2
        .value_kind:     hidden_group_size_x
      - .offset:         3358
        .size:           2
        .value_kind:     hidden_group_size_y
      - .offset:         3360
        .size:           2
        .value_kind:     hidden_group_size_z
      - .offset:         3362
        .size:           2
        .value_kind:     hidden_remainder_x
      - .offset:         3364
        .size:           2
        .value_kind:     hidden_remainder_y
      - .offset:         3366
        .size:           2
        .value_kind:     hidden_remainder_z
      - .offset:         3384
        .size:           8
        .value_kind:     hidden_global_offset_x
      - .offset:         3392
        .size:           8
        .value_kind:     hidden_global_offset_y
      - .offset:         3400
        .size:           8
        .value_kind:     hidden_global_offset_z
      - .offset:         3408
        .size:           2
        .value_kind:     hidden_grid_dims
    .group_segment_fixed_size: 0
    .kernarg_segment_align: 8
    .kernarg_segment_size: 3600
    .language:       OpenCL C
    .language_version:
      - 2
      - 0
    .max_flat_workgroup_size: 512
    .name:           _ZN2at6native12_GLOBAL__N_16kernel17lstm_cell_forwardIddlLi2EEEvNS_4cuda6detail10TensorInfoIT_T1_EES9_S9_S9_S9_S9_S9_S9_S8_S8_
    .private_segment_fixed_size: 0
    .sgpr_count:     107
    .sgpr_spill_count: 8
    .symbol:         _ZN2at6native12_GLOBAL__N_16kernel17lstm_cell_forwardIddlLi2EEEvNS_4cuda6detail10TensorInfoIT_T1_EES9_S9_S9_S9_S9_S9_S9_S8_S8_.kd
    .uniform_work_group_size: 1
    .uses_dynamic_stack: false
    .vgpr_count:     68
    .vgpr_spill_count: 0
    .wavefront_size: 32
    .workgroup_processor_mode: 1
  - .args:
      - .offset:         0
        .size:           216
        .value_kind:     by_value
      - .offset:         216
        .size:           216
        .value_kind:     by_value
      - .offset:         432
        .size:           216
        .value_kind:     by_value
      - .offset:         648
        .size:           216
        .value_kind:     by_value
      - .offset:         864
        .size:           216
        .value_kind:     by_value
      - .offset:         1080
        .size:           216
        .value_kind:     by_value
      - .offset:         1296
        .size:           216
        .value_kind:     by_value
      - .offset:         1512
        .size:           216
        .value_kind:     by_value
      - .offset:         1728
        .size:           4
        .value_kind:     by_value
      - .offset:         1732
        .size:           4
        .value_kind:     by_value
      - .offset:         1736
        .size:           4
        .value_kind:     hidden_block_count_x
      - .offset:         1740
        .size:           4
        .value_kind:     hidden_block_count_y
      - .offset:         1744
        .size:           4
        .value_kind:     hidden_block_count_z
      - .offset:         1748
        .size:           2
        .value_kind:     hidden_group_size_x
      - .offset:         1750
        .size:           2
        .value_kind:     hidden_group_size_y
      - .offset:         1752
        .size:           2
        .value_kind:     hidden_group_size_z
      - .offset:         1754
        .size:           2
        .value_kind:     hidden_remainder_x
      - .offset:         1756
        .size:           2
        .value_kind:     hidden_remainder_y
      - .offset:         1758
        .size:           2
        .value_kind:     hidden_remainder_z
      - .offset:         1776
        .size:           8
        .value_kind:     hidden_global_offset_x
      - .offset:         1784
        .size:           8
        .value_kind:     hidden_global_offset_y
      - .offset:         1792
        .size:           8
        .value_kind:     hidden_global_offset_z
      - .offset:         1800
        .size:           2
        .value_kind:     hidden_grid_dims
    .group_segment_fixed_size: 0
    .kernarg_segment_align: 8
    .kernarg_segment_size: 1992
    .language:       OpenCL C
    .language_version:
      - 2
      - 0
    .max_flat_workgroup_size: 512
    .name:           _ZN2at6native12_GLOBAL__N_16kernel17lstm_cell_forwardIffiLi1EEEvNS_4cuda6detail10TensorInfoIT_T1_EES9_S9_S9_S9_S9_S9_S9_S8_S8_
    .private_segment_fixed_size: 0
    .sgpr_count:     39
    .sgpr_spill_count: 0
    .symbol:         _ZN2at6native12_GLOBAL__N_16kernel17lstm_cell_forwardIffiLi1EEEvNS_4cuda6detail10TensorInfoIT_T1_EES9_S9_S9_S9_S9_S9_S9_S8_S8_.kd
    .uniform_work_group_size: 1
    .uses_dynamic_stack: false
    .vgpr_count:     41
    .vgpr_spill_count: 0
    .wavefront_size: 32
    .workgroup_processor_mode: 1
  - .args:
      - .offset:         0
        .size:           216
        .value_kind:     by_value
      - .offset:         216
        .size:           216
        .value_kind:     by_value
      - .offset:         432
        .size:           216
        .value_kind:     by_value
      - .offset:         648
        .size:           216
        .value_kind:     by_value
      - .offset:         864
        .size:           216
        .value_kind:     by_value
      - .offset:         1080
        .size:           216
        .value_kind:     by_value
      - .offset:         1296
        .size:           216
        .value_kind:     by_value
      - .offset:         1512
        .size:           216
        .value_kind:     by_value
      - .offset:         1728
        .size:           4
        .value_kind:     by_value
      - .offset:         1732
        .size:           4
        .value_kind:     by_value
      - .offset:         1736
        .size:           4
        .value_kind:     hidden_block_count_x
      - .offset:         1740
        .size:           4
        .value_kind:     hidden_block_count_y
      - .offset:         1744
        .size:           4
        .value_kind:     hidden_block_count_z
      - .offset:         1748
        .size:           2
        .value_kind:     hidden_group_size_x
      - .offset:         1750
        .size:           2
        .value_kind:     hidden_group_size_y
      - .offset:         1752
        .size:           2
        .value_kind:     hidden_group_size_z
      - .offset:         1754
        .size:           2
        .value_kind:     hidden_remainder_x
      - .offset:         1756
        .size:           2
        .value_kind:     hidden_remainder_y
      - .offset:         1758
        .size:           2
        .value_kind:     hidden_remainder_z
      - .offset:         1776
        .size:           8
        .value_kind:     hidden_global_offset_x
      - .offset:         1784
        .size:           8
        .value_kind:     hidden_global_offset_y
      - .offset:         1792
        .size:           8
        .value_kind:     hidden_global_offset_z
      - .offset:         1800
        .size:           2
        .value_kind:     hidden_grid_dims
    .group_segment_fixed_size: 0
    .kernarg_segment_align: 8
    .kernarg_segment_size: 1992
    .language:       OpenCL C
    .language_version:
      - 2
      - 0
    .max_flat_workgroup_size: 512
    .name:           _ZN2at6native12_GLOBAL__N_16kernel17lstm_cell_forwardIffiLi2EEEvNS_4cuda6detail10TensorInfoIT_T1_EES9_S9_S9_S9_S9_S9_S9_S8_S8_
    .private_segment_fixed_size: 0
    .sgpr_count:     64
    .sgpr_spill_count: 0
    .symbol:         _ZN2at6native12_GLOBAL__N_16kernel17lstm_cell_forwardIffiLi2EEEvNS_4cuda6detail10TensorInfoIT_T1_EES9_S9_S9_S9_S9_S9_S9_S8_S8_.kd
    .uniform_work_group_size: 1
    .uses_dynamic_stack: false
    .vgpr_count:     57
    .vgpr_spill_count: 0
    .wavefront_size: 32
    .workgroup_processor_mode: 1
  - .args:
      - .offset:         0
        .size:           416
        .value_kind:     by_value
      - .offset:         416
        .size:           416
        .value_kind:     by_value
      - .offset:         832
        .size:           416
        .value_kind:     by_value
      - .offset:         1248
        .size:           416
        .value_kind:     by_value
      - .offset:         1664
        .size:           416
        .value_kind:     by_value
      - .offset:         2080
        .size:           416
        .value_kind:     by_value
      - .offset:         2496
        .size:           416
        .value_kind:     by_value
      - .offset:         2912
        .size:           416
        .value_kind:     by_value
      - .offset:         3328
        .size:           8
        .value_kind:     by_value
      - .offset:         3336
        .size:           8
        .value_kind:     by_value
      - .offset:         3344
        .size:           4
        .value_kind:     hidden_block_count_x
      - .offset:         3348
        .size:           4
        .value_kind:     hidden_block_count_y
      - .offset:         3352
        .size:           4
        .value_kind:     hidden_block_count_z
      - .offset:         3356
        .size:           2
        .value_kind:     hidden_group_size_x
      - .offset:         3358
        .size:           2
        .value_kind:     hidden_group_size_y
      - .offset:         3360
        .size:           2
        .value_kind:     hidden_group_size_z
      - .offset:         3362
        .size:           2
        .value_kind:     hidden_remainder_x
      - .offset:         3364
        .size:           2
        .value_kind:     hidden_remainder_y
      - .offset:         3366
        .size:           2
        .value_kind:     hidden_remainder_z
      - .offset:         3384
        .size:           8
        .value_kind:     hidden_global_offset_x
      - .offset:         3392
        .size:           8
        .value_kind:     hidden_global_offset_y
      - .offset:         3400
        .size:           8
        .value_kind:     hidden_global_offset_z
      - .offset:         3408
        .size:           2
        .value_kind:     hidden_grid_dims
    .group_segment_fixed_size: 0
    .kernarg_segment_align: 8
    .kernarg_segment_size: 3600
    .language:       OpenCL C
    .language_version:
      - 2
      - 0
    .max_flat_workgroup_size: 512
    .name:           _ZN2at6native12_GLOBAL__N_16kernel17lstm_cell_forwardIfflLi1EEEvNS_4cuda6detail10TensorInfoIT_T1_EES9_S9_S9_S9_S9_S9_S9_S8_S8_
    .private_segment_fixed_size: 0
    .sgpr_count:     50
    .sgpr_spill_count: 0
    .symbol:         _ZN2at6native12_GLOBAL__N_16kernel17lstm_cell_forwardIfflLi1EEEvNS_4cuda6detail10TensorInfoIT_T1_EES9_S9_S9_S9_S9_S9_S9_S8_S8_.kd
    .uniform_work_group_size: 1
    .uses_dynamic_stack: false
    .vgpr_count:     49
    .vgpr_spill_count: 0
    .wavefront_size: 32
    .workgroup_processor_mode: 1
  - .args:
      - .offset:         0
        .size:           416
        .value_kind:     by_value
      - .offset:         416
        .size:           416
        .value_kind:     by_value
      - .offset:         832
        .size:           416
        .value_kind:     by_value
      - .offset:         1248
        .size:           416
        .value_kind:     by_value
      - .offset:         1664
        .size:           416
        .value_kind:     by_value
      - .offset:         2080
        .size:           416
        .value_kind:     by_value
      - .offset:         2496
        .size:           416
        .value_kind:     by_value
      - .offset:         2912
        .size:           416
        .value_kind:     by_value
      - .offset:         3328
        .size:           8
        .value_kind:     by_value
      - .offset:         3336
        .size:           8
        .value_kind:     by_value
      - .offset:         3344
        .size:           4
        .value_kind:     hidden_block_count_x
      - .offset:         3348
        .size:           4
        .value_kind:     hidden_block_count_y
      - .offset:         3352
        .size:           4
        .value_kind:     hidden_block_count_z
      - .offset:         3356
        .size:           2
        .value_kind:     hidden_group_size_x
      - .offset:         3358
        .size:           2
        .value_kind:     hidden_group_size_y
      - .offset:         3360
        .size:           2
        .value_kind:     hidden_group_size_z
      - .offset:         3362
        .size:           2
        .value_kind:     hidden_remainder_x
      - .offset:         3364
        .size:           2
        .value_kind:     hidden_remainder_y
      - .offset:         3366
        .size:           2
        .value_kind:     hidden_remainder_z
      - .offset:         3384
        .size:           8
        .value_kind:     hidden_global_offset_x
      - .offset:         3392
        .size:           8
        .value_kind:     hidden_global_offset_y
      - .offset:         3400
        .size:           8
        .value_kind:     hidden_global_offset_z
      - .offset:         3408
        .size:           2
        .value_kind:     hidden_grid_dims
    .group_segment_fixed_size: 0
    .kernarg_segment_align: 8
    .kernarg_segment_size: 3600
    .language:       OpenCL C
    .language_version:
      - 2
      - 0
    .max_flat_workgroup_size: 512
    .name:           _ZN2at6native12_GLOBAL__N_16kernel17lstm_cell_forwardIfflLi2EEEvNS_4cuda6detail10TensorInfoIT_T1_EES9_S9_S9_S9_S9_S9_S9_S8_S8_
    .private_segment_fixed_size: 0
    .sgpr_count:     83
    .sgpr_spill_count: 0
    .symbol:         _ZN2at6native12_GLOBAL__N_16kernel17lstm_cell_forwardIfflLi2EEEvNS_4cuda6detail10TensorInfoIT_T1_EES9_S9_S9_S9_S9_S9_S9_S8_S8_.kd
    .uniform_work_group_size: 1
    .uses_dynamic_stack: false
    .vgpr_count:     55
    .vgpr_spill_count: 0
    .wavefront_size: 32
    .workgroup_processor_mode: 1
  - .args:
      - .offset:         0
        .size:           216
        .value_kind:     by_value
      - .offset:         216
        .size:           216
        .value_kind:     by_value
      - .offset:         432
        .size:           216
        .value_kind:     by_value
      - .offset:         648
        .size:           216
        .value_kind:     by_value
      - .offset:         864
        .size:           216
        .value_kind:     by_value
      - .offset:         1080
        .size:           216
        .value_kind:     by_value
      - .offset:         1296
        .size:           216
        .value_kind:     by_value
      - .offset:         1512
        .size:           216
        .value_kind:     by_value
      - .offset:         1728
        .size:           4
        .value_kind:     by_value
      - .offset:         1732
        .size:           4
        .value_kind:     by_value
      - .offset:         1736
        .size:           4
        .value_kind:     hidden_block_count_x
      - .offset:         1740
        .size:           4
        .value_kind:     hidden_block_count_y
      - .offset:         1744
        .size:           4
        .value_kind:     hidden_block_count_z
      - .offset:         1748
        .size:           2
        .value_kind:     hidden_group_size_x
      - .offset:         1750
        .size:           2
        .value_kind:     hidden_group_size_y
      - .offset:         1752
        .size:           2
        .value_kind:     hidden_group_size_z
      - .offset:         1754
        .size:           2
        .value_kind:     hidden_remainder_x
      - .offset:         1756
        .size:           2
        .value_kind:     hidden_remainder_y
      - .offset:         1758
        .size:           2
        .value_kind:     hidden_remainder_z
      - .offset:         1776
        .size:           8
        .value_kind:     hidden_global_offset_x
      - .offset:         1784
        .size:           8
        .value_kind:     hidden_global_offset_y
      - .offset:         1792
        .size:           8
        .value_kind:     hidden_global_offset_z
      - .offset:         1800
        .size:           2
        .value_kind:     hidden_grid_dims
    .group_segment_fixed_size: 0
    .kernarg_segment_align: 8
    .kernarg_segment_size: 1992
    .language:       OpenCL C
    .language_version:
      - 2
      - 0
    .max_flat_workgroup_size: 512
    .name:           _ZN2at6native12_GLOBAL__N_16kernel17lstm_cell_forwardIN3c104HalfEfiLi1EEEvNS_4cuda6detail10TensorInfoIT_T1_EESB_SB_SB_SB_SB_SB_SB_SA_SA_
    .private_segment_fixed_size: 0
    .sgpr_count:     39
    .sgpr_spill_count: 0
    .symbol:         _ZN2at6native12_GLOBAL__N_16kernel17lstm_cell_forwardIN3c104HalfEfiLi1EEEvNS_4cuda6detail10TensorInfoIT_T1_EESB_SB_SB_SB_SB_SB_SB_SA_SA_.kd
    .uniform_work_group_size: 1
    .uses_dynamic_stack: false
    .vgpr_count:     41
    .vgpr_spill_count: 0
    .wavefront_size: 32
    .workgroup_processor_mode: 1
  - .args:
      - .offset:         0
        .size:           216
        .value_kind:     by_value
      - .offset:         216
        .size:           216
        .value_kind:     by_value
      - .offset:         432
        .size:           216
        .value_kind:     by_value
      - .offset:         648
        .size:           216
        .value_kind:     by_value
      - .offset:         864
        .size:           216
        .value_kind:     by_value
      - .offset:         1080
        .size:           216
        .value_kind:     by_value
      - .offset:         1296
        .size:           216
        .value_kind:     by_value
      - .offset:         1512
        .size:           216
        .value_kind:     by_value
      - .offset:         1728
        .size:           4
        .value_kind:     by_value
      - .offset:         1732
        .size:           4
        .value_kind:     by_value
      - .offset:         1736
        .size:           4
        .value_kind:     hidden_block_count_x
      - .offset:         1740
        .size:           4
        .value_kind:     hidden_block_count_y
      - .offset:         1744
        .size:           4
        .value_kind:     hidden_block_count_z
      - .offset:         1748
        .size:           2
        .value_kind:     hidden_group_size_x
      - .offset:         1750
        .size:           2
        .value_kind:     hidden_group_size_y
      - .offset:         1752
        .size:           2
        .value_kind:     hidden_group_size_z
      - .offset:         1754
        .size:           2
        .value_kind:     hidden_remainder_x
      - .offset:         1756
        .size:           2
        .value_kind:     hidden_remainder_y
      - .offset:         1758
        .size:           2
        .value_kind:     hidden_remainder_z
      - .offset:         1776
        .size:           8
        .value_kind:     hidden_global_offset_x
      - .offset:         1784
        .size:           8
        .value_kind:     hidden_global_offset_y
      - .offset:         1792
        .size:           8
        .value_kind:     hidden_global_offset_z
      - .offset:         1800
        .size:           2
        .value_kind:     hidden_grid_dims
    .group_segment_fixed_size: 0
    .kernarg_segment_align: 8
    .kernarg_segment_size: 1992
    .language:       OpenCL C
    .language_version:
      - 2
      - 0
    .max_flat_workgroup_size: 512
    .name:           _ZN2at6native12_GLOBAL__N_16kernel17lstm_cell_forwardIN3c104HalfEfiLi2EEEvNS_4cuda6detail10TensorInfoIT_T1_EESB_SB_SB_SB_SB_SB_SB_SA_SA_
    .private_segment_fixed_size: 0
    .sgpr_count:     64
    .sgpr_spill_count: 0
    .symbol:         _ZN2at6native12_GLOBAL__N_16kernel17lstm_cell_forwardIN3c104HalfEfiLi2EEEvNS_4cuda6detail10TensorInfoIT_T1_EESB_SB_SB_SB_SB_SB_SB_SA_SA_.kd
    .uniform_work_group_size: 1
    .uses_dynamic_stack: false
    .vgpr_count:     57
    .vgpr_spill_count: 0
    .wavefront_size: 32
    .workgroup_processor_mode: 1
  - .args:
      - .offset:         0
        .size:           416
        .value_kind:     by_value
      - .offset:         416
        .size:           416
        .value_kind:     by_value
      - .offset:         832
        .size:           416
        .value_kind:     by_value
      - .offset:         1248
        .size:           416
        .value_kind:     by_value
      - .offset:         1664
        .size:           416
        .value_kind:     by_value
      - .offset:         2080
        .size:           416
        .value_kind:     by_value
      - .offset:         2496
        .size:           416
        .value_kind:     by_value
      - .offset:         2912
        .size:           416
        .value_kind:     by_value
      - .offset:         3328
        .size:           8
        .value_kind:     by_value
      - .offset:         3336
        .size:           8
        .value_kind:     by_value
      - .offset:         3344
        .size:           4
        .value_kind:     hidden_block_count_x
      - .offset:         3348
        .size:           4
        .value_kind:     hidden_block_count_y
      - .offset:         3352
        .size:           4
        .value_kind:     hidden_block_count_z
      - .offset:         3356
        .size:           2
        .value_kind:     hidden_group_size_x
      - .offset:         3358
        .size:           2
        .value_kind:     hidden_group_size_y
      - .offset:         3360
        .size:           2
        .value_kind:     hidden_group_size_z
      - .offset:         3362
        .size:           2
        .value_kind:     hidden_remainder_x
      - .offset:         3364
        .size:           2
        .value_kind:     hidden_remainder_y
      - .offset:         3366
        .size:           2
        .value_kind:     hidden_remainder_z
      - .offset:         3384
        .size:           8
        .value_kind:     hidden_global_offset_x
      - .offset:         3392
        .size:           8
        .value_kind:     hidden_global_offset_y
      - .offset:         3400
        .size:           8
        .value_kind:     hidden_global_offset_z
      - .offset:         3408
        .size:           2
        .value_kind:     hidden_grid_dims
    .group_segment_fixed_size: 0
    .kernarg_segment_align: 8
    .kernarg_segment_size: 3600
    .language:       OpenCL C
    .language_version:
      - 2
      - 0
    .max_flat_workgroup_size: 512
    .name:           _ZN2at6native12_GLOBAL__N_16kernel17lstm_cell_forwardIN3c104HalfEflLi1EEEvNS_4cuda6detail10TensorInfoIT_T1_EESB_SB_SB_SB_SB_SB_SB_SA_SA_
    .private_segment_fixed_size: 0
    .sgpr_count:     50
    .sgpr_spill_count: 0
    .symbol:         _ZN2at6native12_GLOBAL__N_16kernel17lstm_cell_forwardIN3c104HalfEflLi1EEEvNS_4cuda6detail10TensorInfoIT_T1_EESB_SB_SB_SB_SB_SB_SB_SA_SA_.kd
    .uniform_work_group_size: 1
    .uses_dynamic_stack: false
    .vgpr_count:     49
    .vgpr_spill_count: 0
    .wavefront_size: 32
    .workgroup_processor_mode: 1
  - .args:
      - .offset:         0
        .size:           416
        .value_kind:     by_value
      - .offset:         416
        .size:           416
        .value_kind:     by_value
      - .offset:         832
        .size:           416
        .value_kind:     by_value
      - .offset:         1248
        .size:           416
        .value_kind:     by_value
      - .offset:         1664
        .size:           416
        .value_kind:     by_value
      - .offset:         2080
        .size:           416
        .value_kind:     by_value
      - .offset:         2496
        .size:           416
        .value_kind:     by_value
      - .offset:         2912
        .size:           416
        .value_kind:     by_value
      - .offset:         3328
        .size:           8
        .value_kind:     by_value
      - .offset:         3336
        .size:           8
        .value_kind:     by_value
      - .offset:         3344
        .size:           4
        .value_kind:     hidden_block_count_x
      - .offset:         3348
        .size:           4
        .value_kind:     hidden_block_count_y
      - .offset:         3352
        .size:           4
        .value_kind:     hidden_block_count_z
      - .offset:         3356
        .size:           2
        .value_kind:     hidden_group_size_x
      - .offset:         3358
        .size:           2
        .value_kind:     hidden_group_size_y
      - .offset:         3360
        .size:           2
        .value_kind:     hidden_group_size_z
      - .offset:         3362
        .size:           2
        .value_kind:     hidden_remainder_x
      - .offset:         3364
        .size:           2
        .value_kind:     hidden_remainder_y
      - .offset:         3366
        .size:           2
        .value_kind:     hidden_remainder_z
      - .offset:         3384
        .size:           8
        .value_kind:     hidden_global_offset_x
      - .offset:         3392
        .size:           8
        .value_kind:     hidden_global_offset_y
      - .offset:         3400
        .size:           8
        .value_kind:     hidden_global_offset_z
      - .offset:         3408
        .size:           2
        .value_kind:     hidden_grid_dims
    .group_segment_fixed_size: 0
    .kernarg_segment_align: 8
    .kernarg_segment_size: 3600
    .language:       OpenCL C
    .language_version:
      - 2
      - 0
    .max_flat_workgroup_size: 512
    .name:           _ZN2at6native12_GLOBAL__N_16kernel17lstm_cell_forwardIN3c104HalfEflLi2EEEvNS_4cuda6detail10TensorInfoIT_T1_EESB_SB_SB_SB_SB_SB_SB_SA_SA_
    .private_segment_fixed_size: 0
    .sgpr_count:     83
    .sgpr_spill_count: 0
    .symbol:         _ZN2at6native12_GLOBAL__N_16kernel17lstm_cell_forwardIN3c104HalfEflLi2EEEvNS_4cuda6detail10TensorInfoIT_T1_EESB_SB_SB_SB_SB_SB_SB_SA_SA_.kd
    .uniform_work_group_size: 1
    .uses_dynamic_stack: false
    .vgpr_count:     55
    .vgpr_spill_count: 0
    .wavefront_size: 32
    .workgroup_processor_mode: 1
  - .args:
      - .offset:         0
        .size:           216
        .value_kind:     by_value
      - .offset:         216
        .size:           216
        .value_kind:     by_value
      - .offset:         432
        .size:           216
        .value_kind:     by_value
      - .offset:         648
        .size:           216
        .value_kind:     by_value
      - .offset:         864
        .size:           216
        .value_kind:     by_value
      - .offset:         1080
        .size:           216
        .value_kind:     by_value
      - .offset:         1296
        .size:           216
        .value_kind:     by_value
      - .offset:         1512
        .size:           216
        .value_kind:     by_value
      - .offset:         1728
        .size:           4
        .value_kind:     by_value
      - .offset:         1732
        .size:           4
        .value_kind:     by_value
      - .offset:         1736
        .size:           4
        .value_kind:     hidden_block_count_x
      - .offset:         1740
        .size:           4
        .value_kind:     hidden_block_count_y
      - .offset:         1744
        .size:           4
        .value_kind:     hidden_block_count_z
      - .offset:         1748
        .size:           2
        .value_kind:     hidden_group_size_x
      - .offset:         1750
        .size:           2
        .value_kind:     hidden_group_size_y
      - .offset:         1752
        .size:           2
        .value_kind:     hidden_group_size_z
      - .offset:         1754
        .size:           2
        .value_kind:     hidden_remainder_x
      - .offset:         1756
        .size:           2
        .value_kind:     hidden_remainder_y
      - .offset:         1758
        .size:           2
        .value_kind:     hidden_remainder_z
      - .offset:         1776
        .size:           8
        .value_kind:     hidden_global_offset_x
      - .offset:         1784
        .size:           8
        .value_kind:     hidden_global_offset_y
      - .offset:         1792
        .size:           8
        .value_kind:     hidden_global_offset_z
      - .offset:         1800
        .size:           2
        .value_kind:     hidden_grid_dims
    .group_segment_fixed_size: 0
    .kernarg_segment_align: 8
    .kernarg_segment_size: 1992
    .language:       OpenCL C
    .language_version:
      - 2
      - 0
    .max_flat_workgroup_size: 512
    .name:           _ZN2at6native12_GLOBAL__N_16kernel17lstm_cell_forwardIN3c108BFloat16EfiLi1EEEvNS_4cuda6detail10TensorInfoIT_T1_EESB_SB_SB_SB_SB_SB_SB_SA_SA_
    .private_segment_fixed_size: 0
    .sgpr_count:     39
    .sgpr_spill_count: 0
    .symbol:         _ZN2at6native12_GLOBAL__N_16kernel17lstm_cell_forwardIN3c108BFloat16EfiLi1EEEvNS_4cuda6detail10TensorInfoIT_T1_EESB_SB_SB_SB_SB_SB_SB_SA_SA_.kd
    .uniform_work_group_size: 1
    .uses_dynamic_stack: false
    .vgpr_count:     41
    .vgpr_spill_count: 0
    .wavefront_size: 32
    .workgroup_processor_mode: 1
  - .args:
      - .offset:         0
        .size:           216
        .value_kind:     by_value
      - .offset:         216
        .size:           216
        .value_kind:     by_value
      - .offset:         432
        .size:           216
        .value_kind:     by_value
      - .offset:         648
        .size:           216
        .value_kind:     by_value
      - .offset:         864
        .size:           216
        .value_kind:     by_value
      - .offset:         1080
        .size:           216
        .value_kind:     by_value
      - .offset:         1296
        .size:           216
        .value_kind:     by_value
      - .offset:         1512
        .size:           216
        .value_kind:     by_value
      - .offset:         1728
        .size:           4
        .value_kind:     by_value
      - .offset:         1732
        .size:           4
        .value_kind:     by_value
      - .offset:         1736
        .size:           4
        .value_kind:     hidden_block_count_x
      - .offset:         1740
        .size:           4
        .value_kind:     hidden_block_count_y
      - .offset:         1744
        .size:           4
        .value_kind:     hidden_block_count_z
      - .offset:         1748
        .size:           2
        .value_kind:     hidden_group_size_x
      - .offset:         1750
        .size:           2
        .value_kind:     hidden_group_size_y
      - .offset:         1752
        .size:           2
        .value_kind:     hidden_group_size_z
      - .offset:         1754
        .size:           2
        .value_kind:     hidden_remainder_x
      - .offset:         1756
        .size:           2
        .value_kind:     hidden_remainder_y
      - .offset:         1758
        .size:           2
        .value_kind:     hidden_remainder_z
      - .offset:         1776
        .size:           8
        .value_kind:     hidden_global_offset_x
      - .offset:         1784
        .size:           8
        .value_kind:     hidden_global_offset_y
      - .offset:         1792
        .size:           8
        .value_kind:     hidden_global_offset_z
      - .offset:         1800
        .size:           2
        .value_kind:     hidden_grid_dims
    .group_segment_fixed_size: 0
    .kernarg_segment_align: 8
    .kernarg_segment_size: 1992
    .language:       OpenCL C
    .language_version:
      - 2
      - 0
    .max_flat_workgroup_size: 512
    .name:           _ZN2at6native12_GLOBAL__N_16kernel17lstm_cell_forwardIN3c108BFloat16EfiLi2EEEvNS_4cuda6detail10TensorInfoIT_T1_EESB_SB_SB_SB_SB_SB_SB_SA_SA_
    .private_segment_fixed_size: 0
    .sgpr_count:     65
    .sgpr_spill_count: 0
    .symbol:         _ZN2at6native12_GLOBAL__N_16kernel17lstm_cell_forwardIN3c108BFloat16EfiLi2EEEvNS_4cuda6detail10TensorInfoIT_T1_EESB_SB_SB_SB_SB_SB_SB_SA_SA_.kd
    .uniform_work_group_size: 1
    .uses_dynamic_stack: false
    .vgpr_count:     56
    .vgpr_spill_count: 0
    .wavefront_size: 32
    .workgroup_processor_mode: 1
  - .args:
      - .offset:         0
        .size:           416
        .value_kind:     by_value
      - .offset:         416
        .size:           416
        .value_kind:     by_value
      - .offset:         832
        .size:           416
        .value_kind:     by_value
      - .offset:         1248
        .size:           416
        .value_kind:     by_value
      - .offset:         1664
        .size:           416
        .value_kind:     by_value
      - .offset:         2080
        .size:           416
        .value_kind:     by_value
      - .offset:         2496
        .size:           416
        .value_kind:     by_value
      - .offset:         2912
        .size:           416
        .value_kind:     by_value
      - .offset:         3328
        .size:           8
        .value_kind:     by_value
      - .offset:         3336
        .size:           8
        .value_kind:     by_value
      - .offset:         3344
        .size:           4
        .value_kind:     hidden_block_count_x
      - .offset:         3348
        .size:           4
        .value_kind:     hidden_block_count_y
      - .offset:         3352
        .size:           4
        .value_kind:     hidden_block_count_z
      - .offset:         3356
        .size:           2
        .value_kind:     hidden_group_size_x
      - .offset:         3358
        .size:           2
        .value_kind:     hidden_group_size_y
      - .offset:         3360
        .size:           2
        .value_kind:     hidden_group_size_z
      - .offset:         3362
        .size:           2
        .value_kind:     hidden_remainder_x
      - .offset:         3364
        .size:           2
        .value_kind:     hidden_remainder_y
      - .offset:         3366
        .size:           2
        .value_kind:     hidden_remainder_z
      - .offset:         3384
        .size:           8
        .value_kind:     hidden_global_offset_x
      - .offset:         3392
        .size:           8
        .value_kind:     hidden_global_offset_y
      - .offset:         3400
        .size:           8
        .value_kind:     hidden_global_offset_z
      - .offset:         3408
        .size:           2
        .value_kind:     hidden_grid_dims
    .group_segment_fixed_size: 0
    .kernarg_segment_align: 8
    .kernarg_segment_size: 3600
    .language:       OpenCL C
    .language_version:
      - 2
      - 0
    .max_flat_workgroup_size: 512
    .name:           _ZN2at6native12_GLOBAL__N_16kernel17lstm_cell_forwardIN3c108BFloat16EflLi1EEEvNS_4cuda6detail10TensorInfoIT_T1_EESB_SB_SB_SB_SB_SB_SB_SA_SA_
    .private_segment_fixed_size: 0
    .sgpr_count:     50
    .sgpr_spill_count: 0
    .symbol:         _ZN2at6native12_GLOBAL__N_16kernel17lstm_cell_forwardIN3c108BFloat16EflLi1EEEvNS_4cuda6detail10TensorInfoIT_T1_EESB_SB_SB_SB_SB_SB_SB_SA_SA_.kd
    .uniform_work_group_size: 1
    .uses_dynamic_stack: false
    .vgpr_count:     49
    .vgpr_spill_count: 0
    .wavefront_size: 32
    .workgroup_processor_mode: 1
  - .args:
      - .offset:         0
        .size:           416
        .value_kind:     by_value
      - .offset:         416
        .size:           416
        .value_kind:     by_value
      - .offset:         832
        .size:           416
        .value_kind:     by_value
      - .offset:         1248
        .size:           416
        .value_kind:     by_value
      - .offset:         1664
        .size:           416
        .value_kind:     by_value
      - .offset:         2080
        .size:           416
        .value_kind:     by_value
      - .offset:         2496
        .size:           416
        .value_kind:     by_value
      - .offset:         2912
        .size:           416
        .value_kind:     by_value
      - .offset:         3328
        .size:           8
        .value_kind:     by_value
      - .offset:         3336
        .size:           8
        .value_kind:     by_value
      - .offset:         3344
        .size:           4
        .value_kind:     hidden_block_count_x
      - .offset:         3348
        .size:           4
        .value_kind:     hidden_block_count_y
      - .offset:         3352
        .size:           4
        .value_kind:     hidden_block_count_z
      - .offset:         3356
        .size:           2
        .value_kind:     hidden_group_size_x
      - .offset:         3358
        .size:           2
        .value_kind:     hidden_group_size_y
      - .offset:         3360
        .size:           2
        .value_kind:     hidden_group_size_z
      - .offset:         3362
        .size:           2
        .value_kind:     hidden_remainder_x
      - .offset:         3364
        .size:           2
        .value_kind:     hidden_remainder_y
      - .offset:         3366
        .size:           2
        .value_kind:     hidden_remainder_z
      - .offset:         3384
        .size:           8
        .value_kind:     hidden_global_offset_x
      - .offset:         3392
        .size:           8
        .value_kind:     hidden_global_offset_y
      - .offset:         3400
        .size:           8
        .value_kind:     hidden_global_offset_z
      - .offset:         3408
        .size:           2
        .value_kind:     hidden_grid_dims
    .group_segment_fixed_size: 0
    .kernarg_segment_align: 8
    .kernarg_segment_size: 3600
    .language:       OpenCL C
    .language_version:
      - 2
      - 0
    .max_flat_workgroup_size: 512
    .name:           _ZN2at6native12_GLOBAL__N_16kernel17lstm_cell_forwardIN3c108BFloat16EflLi2EEEvNS_4cuda6detail10TensorInfoIT_T1_EESB_SB_SB_SB_SB_SB_SB_SA_SA_
    .private_segment_fixed_size: 0
    .sgpr_count:     83
    .sgpr_spill_count: 0
    .symbol:         _ZN2at6native12_GLOBAL__N_16kernel17lstm_cell_forwardIN3c108BFloat16EflLi2EEEvNS_4cuda6detail10TensorInfoIT_T1_EESB_SB_SB_SB_SB_SB_SB_SA_SA_.kd
    .uniform_work_group_size: 1
    .uses_dynamic_stack: false
    .vgpr_count:     55
    .vgpr_spill_count: 0
    .wavefront_size: 32
    .workgroup_processor_mode: 1
  - .args:
      - .offset:         0
        .size:           216
        .value_kind:     by_value
      - .offset:         216
        .size:           216
        .value_kind:     by_value
      - .offset:         432
        .size:           216
        .value_kind:     by_value
      - .offset:         648
        .size:           216
        .value_kind:     by_value
      - .offset:         864
        .size:           216
        .value_kind:     by_value
      - .offset:         1080
        .size:           216
        .value_kind:     by_value
      - .offset:         1296
        .size:           216
        .value_kind:     by_value
      - .offset:         1512
        .size:           4
        .value_kind:     by_value
      - .offset:         1516
        .size:           4
        .value_kind:     by_value
      - .offset:         1520
        .size:           4
        .value_kind:     hidden_block_count_x
      - .offset:         1524
        .size:           4
        .value_kind:     hidden_block_count_y
      - .offset:         1528
        .size:           4
        .value_kind:     hidden_block_count_z
      - .offset:         1532
        .size:           2
        .value_kind:     hidden_group_size_x
      - .offset:         1534
        .size:           2
        .value_kind:     hidden_group_size_y
      - .offset:         1536
        .size:           2
        .value_kind:     hidden_group_size_z
      - .offset:         1538
        .size:           2
        .value_kind:     hidden_remainder_x
      - .offset:         1540
        .size:           2
        .value_kind:     hidden_remainder_y
      - .offset:         1542
        .size:           2
        .value_kind:     hidden_remainder_z
      - .offset:         1560
        .size:           8
        .value_kind:     hidden_global_offset_x
      - .offset:         1568
        .size:           8
        .value_kind:     hidden_global_offset_y
      - .offset:         1576
        .size:           8
        .value_kind:     hidden_global_offset_z
      - .offset:         1584
        .size:           2
        .value_kind:     hidden_grid_dims
    .group_segment_fixed_size: 0
    .kernarg_segment_align: 8
    .kernarg_segment_size: 1776
    .language:       OpenCL C
    .language_version:
      - 2
      - 0
    .max_flat_workgroup_size: 512
    .name:           _ZN2at6native12_GLOBAL__N_16kernel18lstm_cell_backwardIddiLi1EEEvNS_4cuda6detail10TensorInfoIT_T1_EES9_S9_S9_S9_S9_S9_S8_S8_
    .private_segment_fixed_size: 0
    .sgpr_count:     61
    .sgpr_spill_count: 0
    .symbol:         _ZN2at6native12_GLOBAL__N_16kernel18lstm_cell_backwardIddiLi1EEEvNS_4cuda6detail10TensorInfoIT_T1_EES9_S9_S9_S9_S9_S9_S8_S8_.kd
    .uniform_work_group_size: 1
    .uses_dynamic_stack: false
    .vgpr_count:     53
    .vgpr_spill_count: 0
    .wavefront_size: 32
    .workgroup_processor_mode: 1
  - .args:
      - .offset:         0
        .size:           216
        .value_kind:     by_value
      - .offset:         216
        .size:           216
        .value_kind:     by_value
      - .offset:         432
        .size:           216
        .value_kind:     by_value
      - .offset:         648
        .size:           216
        .value_kind:     by_value
      - .offset:         864
        .size:           216
        .value_kind:     by_value
      - .offset:         1080
        .size:           216
        .value_kind:     by_value
      - .offset:         1296
        .size:           216
        .value_kind:     by_value
      - .offset:         1512
        .size:           4
        .value_kind:     by_value
      - .offset:         1516
        .size:           4
        .value_kind:     by_value
      - .offset:         1520
        .size:           4
        .value_kind:     hidden_block_count_x
      - .offset:         1524
        .size:           4
        .value_kind:     hidden_block_count_y
      - .offset:         1528
        .size:           4
        .value_kind:     hidden_block_count_z
      - .offset:         1532
        .size:           2
        .value_kind:     hidden_group_size_x
      - .offset:         1534
        .size:           2
        .value_kind:     hidden_group_size_y
      - .offset:         1536
        .size:           2
        .value_kind:     hidden_group_size_z
      - .offset:         1538
        .size:           2
        .value_kind:     hidden_remainder_x
      - .offset:         1540
        .size:           2
        .value_kind:     hidden_remainder_y
      - .offset:         1542
        .size:           2
        .value_kind:     hidden_remainder_z
      - .offset:         1560
        .size:           8
        .value_kind:     hidden_global_offset_x
      - .offset:         1568
        .size:           8
        .value_kind:     hidden_global_offset_y
      - .offset:         1576
        .size:           8
        .value_kind:     hidden_global_offset_z
      - .offset:         1584
        .size:           2
        .value_kind:     hidden_grid_dims
    .group_segment_fixed_size: 0
    .kernarg_segment_align: 8
    .kernarg_segment_size: 1776
    .language:       OpenCL C
    .language_version:
      - 2
      - 0
    .max_flat_workgroup_size: 512
    .name:           _ZN2at6native12_GLOBAL__N_16kernel18lstm_cell_backwardIddiLi2EEEvNS_4cuda6detail10TensorInfoIT_T1_EES9_S9_S9_S9_S9_S9_S8_S8_
    .private_segment_fixed_size: 0
    .sgpr_count:     93
    .sgpr_spill_count: 0
    .symbol:         _ZN2at6native12_GLOBAL__N_16kernel18lstm_cell_backwardIddiLi2EEEvNS_4cuda6detail10TensorInfoIT_T1_EES9_S9_S9_S9_S9_S9_S8_S8_.kd
    .uniform_work_group_size: 1
    .uses_dynamic_stack: false
    .vgpr_count:     62
    .vgpr_spill_count: 0
    .wavefront_size: 32
    .workgroup_processor_mode: 1
  - .args:
      - .offset:         0
        .size:           416
        .value_kind:     by_value
      - .offset:         416
        .size:           416
        .value_kind:     by_value
      - .offset:         832
        .size:           416
        .value_kind:     by_value
      - .offset:         1248
        .size:           416
        .value_kind:     by_value
      - .offset:         1664
        .size:           416
        .value_kind:     by_value
      - .offset:         2080
        .size:           416
        .value_kind:     by_value
      - .offset:         2496
        .size:           416
        .value_kind:     by_value
      - .offset:         2912
        .size:           8
        .value_kind:     by_value
      - .offset:         2920
        .size:           8
        .value_kind:     by_value
      - .offset:         2928
        .size:           4
        .value_kind:     hidden_block_count_x
      - .offset:         2932
        .size:           4
        .value_kind:     hidden_block_count_y
      - .offset:         2936
        .size:           4
        .value_kind:     hidden_block_count_z
      - .offset:         2940
        .size:           2
        .value_kind:     hidden_group_size_x
      - .offset:         2942
        .size:           2
        .value_kind:     hidden_group_size_y
      - .offset:         2944
        .size:           2
        .value_kind:     hidden_group_size_z
      - .offset:         2946
        .size:           2
        .value_kind:     hidden_remainder_x
      - .offset:         2948
        .size:           2
        .value_kind:     hidden_remainder_y
      - .offset:         2950
        .size:           2
        .value_kind:     hidden_remainder_z
      - .offset:         2968
        .size:           8
        .value_kind:     hidden_global_offset_x
      - .offset:         2976
        .size:           8
        .value_kind:     hidden_global_offset_y
      - .offset:         2984
        .size:           8
        .value_kind:     hidden_global_offset_z
      - .offset:         2992
        .size:           2
        .value_kind:     hidden_grid_dims
    .group_segment_fixed_size: 0
    .kernarg_segment_align: 8
    .kernarg_segment_size: 3184
    .language:       OpenCL C
    .language_version:
      - 2
      - 0
    .max_flat_workgroup_size: 512
    .name:           _ZN2at6native12_GLOBAL__N_16kernel18lstm_cell_backwardIddlLi1EEEvNS_4cuda6detail10TensorInfoIT_T1_EES9_S9_S9_S9_S9_S9_S8_S8_
    .private_segment_fixed_size: 0
    .sgpr_count:     65
    .sgpr_spill_count: 0
    .symbol:         _ZN2at6native12_GLOBAL__N_16kernel18lstm_cell_backwardIddlLi1EEEvNS_4cuda6detail10TensorInfoIT_T1_EES9_S9_S9_S9_S9_S9_S8_S8_.kd
    .uniform_work_group_size: 1
    .uses_dynamic_stack: false
    .vgpr_count:     59
    .vgpr_spill_count: 0
    .wavefront_size: 32
    .workgroup_processor_mode: 1
  - .args:
      - .offset:         0
        .size:           416
        .value_kind:     by_value
      - .offset:         416
        .size:           416
        .value_kind:     by_value
      - .offset:         832
        .size:           416
        .value_kind:     by_value
      - .offset:         1248
        .size:           416
        .value_kind:     by_value
      - .offset:         1664
        .size:           416
        .value_kind:     by_value
      - .offset:         2080
        .size:           416
        .value_kind:     by_value
      - .offset:         2496
        .size:           416
        .value_kind:     by_value
      - .offset:         2912
        .size:           8
        .value_kind:     by_value
      - .offset:         2920
        .size:           8
        .value_kind:     by_value
      - .offset:         2928
        .size:           4
        .value_kind:     hidden_block_count_x
      - .offset:         2932
        .size:           4
        .value_kind:     hidden_block_count_y
      - .offset:         2936
        .size:           4
        .value_kind:     hidden_block_count_z
      - .offset:         2940
        .size:           2
        .value_kind:     hidden_group_size_x
      - .offset:         2942
        .size:           2
        .value_kind:     hidden_group_size_y
      - .offset:         2944
        .size:           2
        .value_kind:     hidden_group_size_z
      - .offset:         2946
        .size:           2
        .value_kind:     hidden_remainder_x
      - .offset:         2948
        .size:           2
        .value_kind:     hidden_remainder_y
      - .offset:         2950
        .size:           2
        .value_kind:     hidden_remainder_z
      - .offset:         2968
        .size:           8
        .value_kind:     hidden_global_offset_x
      - .offset:         2976
        .size:           8
        .value_kind:     hidden_global_offset_y
      - .offset:         2984
        .size:           8
        .value_kind:     hidden_global_offset_z
      - .offset:         2992
        .size:           2
        .value_kind:     hidden_grid_dims
    .group_segment_fixed_size: 0
    .kernarg_segment_align: 8
    .kernarg_segment_size: 3184
    .language:       OpenCL C
    .language_version:
      - 2
      - 0
    .max_flat_workgroup_size: 512
    .name:           _ZN2at6native12_GLOBAL__N_16kernel18lstm_cell_backwardIddlLi2EEEvNS_4cuda6detail10TensorInfoIT_T1_EES9_S9_S9_S9_S9_S9_S8_S8_
    .private_segment_fixed_size: 0
    .sgpr_count:     107
    .sgpr_spill_count: 0
    .symbol:         _ZN2at6native12_GLOBAL__N_16kernel18lstm_cell_backwardIddlLi2EEEvNS_4cuda6detail10TensorInfoIT_T1_EES9_S9_S9_S9_S9_S9_S8_S8_.kd
    .uniform_work_group_size: 1
    .uses_dynamic_stack: false
    .vgpr_count:     59
    .vgpr_spill_count: 0
    .wavefront_size: 32
    .workgroup_processor_mode: 1
  - .args:
      - .offset:         0
        .size:           216
        .value_kind:     by_value
      - .offset:         216
        .size:           216
        .value_kind:     by_value
      - .offset:         432
        .size:           216
        .value_kind:     by_value
      - .offset:         648
        .size:           216
        .value_kind:     by_value
      - .offset:         864
        .size:           216
        .value_kind:     by_value
      - .offset:         1080
        .size:           216
        .value_kind:     by_value
      - .offset:         1296
        .size:           216
        .value_kind:     by_value
      - .offset:         1512
        .size:           4
        .value_kind:     by_value
      - .offset:         1516
        .size:           4
        .value_kind:     by_value
      - .offset:         1520
        .size:           4
        .value_kind:     hidden_block_count_x
      - .offset:         1524
        .size:           4
        .value_kind:     hidden_block_count_y
      - .offset:         1528
        .size:           4
        .value_kind:     hidden_block_count_z
      - .offset:         1532
        .size:           2
        .value_kind:     hidden_group_size_x
      - .offset:         1534
        .size:           2
        .value_kind:     hidden_group_size_y
      - .offset:         1536
        .size:           2
        .value_kind:     hidden_group_size_z
      - .offset:         1538
        .size:           2
        .value_kind:     hidden_remainder_x
      - .offset:         1540
        .size:           2
        .value_kind:     hidden_remainder_y
      - .offset:         1542
        .size:           2
        .value_kind:     hidden_remainder_z
      - .offset:         1560
        .size:           8
        .value_kind:     hidden_global_offset_x
      - .offset:         1568
        .size:           8
        .value_kind:     hidden_global_offset_y
      - .offset:         1576
        .size:           8
        .value_kind:     hidden_global_offset_z
      - .offset:         1584
        .size:           2
        .value_kind:     hidden_grid_dims
    .group_segment_fixed_size: 0
    .kernarg_segment_align: 8
    .kernarg_segment_size: 1776
    .language:       OpenCL C
    .language_version:
      - 2
      - 0
    .max_flat_workgroup_size: 512
    .name:           _ZN2at6native12_GLOBAL__N_16kernel18lstm_cell_backwardIffiLi1EEEvNS_4cuda6detail10TensorInfoIT_T1_EES9_S9_S9_S9_S9_S9_S8_S8_
    .private_segment_fixed_size: 0
    .sgpr_count:     36
    .sgpr_spill_count: 0
    .symbol:         _ZN2at6native12_GLOBAL__N_16kernel18lstm_cell_backwardIffiLi1EEEvNS_4cuda6detail10TensorInfoIT_T1_EES9_S9_S9_S9_S9_S9_S8_S8_.kd
    .uniform_work_group_size: 1
    .uses_dynamic_stack: false
    .vgpr_count:     31
    .vgpr_spill_count: 0
    .wavefront_size: 32
    .workgroup_processor_mode: 1
  - .args:
      - .offset:         0
        .size:           216
        .value_kind:     by_value
      - .offset:         216
        .size:           216
        .value_kind:     by_value
      - .offset:         432
        .size:           216
        .value_kind:     by_value
      - .offset:         648
        .size:           216
        .value_kind:     by_value
      - .offset:         864
        .size:           216
        .value_kind:     by_value
      - .offset:         1080
        .size:           216
        .value_kind:     by_value
      - .offset:         1296
        .size:           216
        .value_kind:     by_value
      - .offset:         1512
        .size:           4
        .value_kind:     by_value
      - .offset:         1516
        .size:           4
        .value_kind:     by_value
      - .offset:         1520
        .size:           4
        .value_kind:     hidden_block_count_x
      - .offset:         1524
        .size:           4
        .value_kind:     hidden_block_count_y
      - .offset:         1528
        .size:           4
        .value_kind:     hidden_block_count_z
      - .offset:         1532
        .size:           2
        .value_kind:     hidden_group_size_x
      - .offset:         1534
        .size:           2
        .value_kind:     hidden_group_size_y
      - .offset:         1536
        .size:           2
        .value_kind:     hidden_group_size_z
      - .offset:         1538
        .size:           2
        .value_kind:     hidden_remainder_x
      - .offset:         1540
        .size:           2
        .value_kind:     hidden_remainder_y
      - .offset:         1542
        .size:           2
        .value_kind:     hidden_remainder_z
      - .offset:         1560
        .size:           8
        .value_kind:     hidden_global_offset_x
      - .offset:         1568
        .size:           8
        .value_kind:     hidden_global_offset_y
      - .offset:         1576
        .size:           8
        .value_kind:     hidden_global_offset_z
      - .offset:         1584
        .size:           2
        .value_kind:     hidden_grid_dims
    .group_segment_fixed_size: 0
    .kernarg_segment_align: 8
    .kernarg_segment_size: 1776
    .language:       OpenCL C
    .language_version:
      - 2
      - 0
    .max_flat_workgroup_size: 512
    .name:           _ZN2at6native12_GLOBAL__N_16kernel18lstm_cell_backwardIffiLi2EEEvNS_4cuda6detail10TensorInfoIT_T1_EES9_S9_S9_S9_S9_S9_S8_S8_
    .private_segment_fixed_size: 0
    .sgpr_count:     64
    .sgpr_spill_count: 0
    .symbol:         _ZN2at6native12_GLOBAL__N_16kernel18lstm_cell_backwardIffiLi2EEEvNS_4cuda6detail10TensorInfoIT_T1_EES9_S9_S9_S9_S9_S9_S8_S8_.kd
    .uniform_work_group_size: 1
    .uses_dynamic_stack: false
    .vgpr_count:     46
    .vgpr_spill_count: 0
    .wavefront_size: 32
    .workgroup_processor_mode: 1
  - .args:
      - .offset:         0
        .size:           416
        .value_kind:     by_value
      - .offset:         416
        .size:           416
        .value_kind:     by_value
      - .offset:         832
        .size:           416
        .value_kind:     by_value
      - .offset:         1248
        .size:           416
        .value_kind:     by_value
      - .offset:         1664
        .size:           416
        .value_kind:     by_value
      - .offset:         2080
        .size:           416
        .value_kind:     by_value
      - .offset:         2496
        .size:           416
        .value_kind:     by_value
      - .offset:         2912
        .size:           8
        .value_kind:     by_value
      - .offset:         2920
        .size:           8
        .value_kind:     by_value
      - .offset:         2928
        .size:           4
        .value_kind:     hidden_block_count_x
      - .offset:         2932
        .size:           4
        .value_kind:     hidden_block_count_y
      - .offset:         2936
        .size:           4
        .value_kind:     hidden_block_count_z
      - .offset:         2940
        .size:           2
        .value_kind:     hidden_group_size_x
      - .offset:         2942
        .size:           2
        .value_kind:     hidden_group_size_y
      - .offset:         2944
        .size:           2
        .value_kind:     hidden_group_size_z
      - .offset:         2946
        .size:           2
        .value_kind:     hidden_remainder_x
      - .offset:         2948
        .size:           2
        .value_kind:     hidden_remainder_y
      - .offset:         2950
        .size:           2
        .value_kind:     hidden_remainder_z
      - .offset:         2968
        .size:           8
        .value_kind:     hidden_global_offset_x
      - .offset:         2976
        .size:           8
        .value_kind:     hidden_global_offset_y
      - .offset:         2984
        .size:           8
        .value_kind:     hidden_global_offset_z
      - .offset:         2992
        .size:           2
        .value_kind:     hidden_grid_dims
    .group_segment_fixed_size: 0
    .kernarg_segment_align: 8
    .kernarg_segment_size: 3184
    .language:       OpenCL C
    .language_version:
      - 2
      - 0
    .max_flat_workgroup_size: 512
    .name:           _ZN2at6native12_GLOBAL__N_16kernel18lstm_cell_backwardIfflLi1EEEvNS_4cuda6detail10TensorInfoIT_T1_EES9_S9_S9_S9_S9_S9_S8_S8_
    .private_segment_fixed_size: 0
    .sgpr_count:     44
    .sgpr_spill_count: 0
    .symbol:         _ZN2at6native12_GLOBAL__N_16kernel18lstm_cell_backwardIfflLi1EEEvNS_4cuda6detail10TensorInfoIT_T1_EES9_S9_S9_S9_S9_S9_S8_S8_.kd
    .uniform_work_group_size: 1
    .uses_dynamic_stack: false
    .vgpr_count:     36
    .vgpr_spill_count: 0
    .wavefront_size: 32
    .workgroup_processor_mode: 1
  - .args:
      - .offset:         0
        .size:           416
        .value_kind:     by_value
      - .offset:         416
        .size:           416
        .value_kind:     by_value
      - .offset:         832
        .size:           416
        .value_kind:     by_value
      - .offset:         1248
        .size:           416
        .value_kind:     by_value
      - .offset:         1664
        .size:           416
        .value_kind:     by_value
      - .offset:         2080
        .size:           416
        .value_kind:     by_value
      - .offset:         2496
        .size:           416
        .value_kind:     by_value
      - .offset:         2912
        .size:           8
        .value_kind:     by_value
      - .offset:         2920
        .size:           8
        .value_kind:     by_value
      - .offset:         2928
        .size:           4
        .value_kind:     hidden_block_count_x
      - .offset:         2932
        .size:           4
        .value_kind:     hidden_block_count_y
      - .offset:         2936
        .size:           4
        .value_kind:     hidden_block_count_z
      - .offset:         2940
        .size:           2
        .value_kind:     hidden_group_size_x
      - .offset:         2942
        .size:           2
        .value_kind:     hidden_group_size_y
      - .offset:         2944
        .size:           2
        .value_kind:     hidden_group_size_z
      - .offset:         2946
        .size:           2
        .value_kind:     hidden_remainder_x
      - .offset:         2948
        .size:           2
        .value_kind:     hidden_remainder_y
      - .offset:         2950
        .size:           2
        .value_kind:     hidden_remainder_z
      - .offset:         2968
        .size:           8
        .value_kind:     hidden_global_offset_x
      - .offset:         2976
        .size:           8
        .value_kind:     hidden_global_offset_y
      - .offset:         2984
        .size:           8
        .value_kind:     hidden_global_offset_z
      - .offset:         2992
        .size:           2
        .value_kind:     hidden_grid_dims
    .group_segment_fixed_size: 0
    .kernarg_segment_align: 8
    .kernarg_segment_size: 3184
    .language:       OpenCL C
    .language_version:
      - 2
      - 0
    .max_flat_workgroup_size: 512
    .name:           _ZN2at6native12_GLOBAL__N_16kernel18lstm_cell_backwardIfflLi2EEEvNS_4cuda6detail10TensorInfoIT_T1_EES9_S9_S9_S9_S9_S9_S8_S8_
    .private_segment_fixed_size: 0
    .sgpr_count:     86
    .sgpr_spill_count: 0
    .symbol:         _ZN2at6native12_GLOBAL__N_16kernel18lstm_cell_backwardIfflLi2EEEvNS_4cuda6detail10TensorInfoIT_T1_EES9_S9_S9_S9_S9_S9_S8_S8_.kd
    .uniform_work_group_size: 1
    .uses_dynamic_stack: false
    .vgpr_count:     42
    .vgpr_spill_count: 0
    .wavefront_size: 32
    .workgroup_processor_mode: 1
  - .args:
      - .offset:         0
        .size:           216
        .value_kind:     by_value
      - .offset:         216
        .size:           216
        .value_kind:     by_value
      - .offset:         432
        .size:           216
        .value_kind:     by_value
      - .offset:         648
        .size:           216
        .value_kind:     by_value
      - .offset:         864
        .size:           216
        .value_kind:     by_value
      - .offset:         1080
        .size:           216
        .value_kind:     by_value
      - .offset:         1296
        .size:           216
        .value_kind:     by_value
      - .offset:         1512
        .size:           4
        .value_kind:     by_value
      - .offset:         1516
        .size:           4
        .value_kind:     by_value
      - .offset:         1520
        .size:           4
        .value_kind:     hidden_block_count_x
      - .offset:         1524
        .size:           4
        .value_kind:     hidden_block_count_y
      - .offset:         1528
        .size:           4
        .value_kind:     hidden_block_count_z
      - .offset:         1532
        .size:           2
        .value_kind:     hidden_group_size_x
      - .offset:         1534
        .size:           2
        .value_kind:     hidden_group_size_y
      - .offset:         1536
        .size:           2
        .value_kind:     hidden_group_size_z
      - .offset:         1538
        .size:           2
        .value_kind:     hidden_remainder_x
      - .offset:         1540
        .size:           2
        .value_kind:     hidden_remainder_y
      - .offset:         1542
        .size:           2
        .value_kind:     hidden_remainder_z
      - .offset:         1560
        .size:           8
        .value_kind:     hidden_global_offset_x
      - .offset:         1568
        .size:           8
        .value_kind:     hidden_global_offset_y
      - .offset:         1576
        .size:           8
        .value_kind:     hidden_global_offset_z
      - .offset:         1584
        .size:           2
        .value_kind:     hidden_grid_dims
    .group_segment_fixed_size: 0
    .kernarg_segment_align: 8
    .kernarg_segment_size: 1776
    .language:       OpenCL C
    .language_version:
      - 2
      - 0
    .max_flat_workgroup_size: 512
    .name:           _ZN2at6native12_GLOBAL__N_16kernel18lstm_cell_backwardIN3c104HalfEfiLi1EEEvNS_4cuda6detail10TensorInfoIT_T1_EESB_SB_SB_SB_SB_SB_SA_SA_
    .private_segment_fixed_size: 0
    .sgpr_count:     37
    .sgpr_spill_count: 0
    .symbol:         _ZN2at6native12_GLOBAL__N_16kernel18lstm_cell_backwardIN3c104HalfEfiLi1EEEvNS_4cuda6detail10TensorInfoIT_T1_EESB_SB_SB_SB_SB_SB_SA_SA_.kd
    .uniform_work_group_size: 1
    .uses_dynamic_stack: false
    .vgpr_count:     31
    .vgpr_spill_count: 0
    .wavefront_size: 32
    .workgroup_processor_mode: 1
  - .args:
      - .offset:         0
        .size:           216
        .value_kind:     by_value
      - .offset:         216
        .size:           216
        .value_kind:     by_value
      - .offset:         432
        .size:           216
        .value_kind:     by_value
      - .offset:         648
        .size:           216
        .value_kind:     by_value
      - .offset:         864
        .size:           216
        .value_kind:     by_value
      - .offset:         1080
        .size:           216
        .value_kind:     by_value
      - .offset:         1296
        .size:           216
        .value_kind:     by_value
      - .offset:         1512
        .size:           4
        .value_kind:     by_value
      - .offset:         1516
        .size:           4
        .value_kind:     by_value
      - .offset:         1520
        .size:           4
        .value_kind:     hidden_block_count_x
      - .offset:         1524
        .size:           4
        .value_kind:     hidden_block_count_y
      - .offset:         1528
        .size:           4
        .value_kind:     hidden_block_count_z
      - .offset:         1532
        .size:           2
        .value_kind:     hidden_group_size_x
      - .offset:         1534
        .size:           2
        .value_kind:     hidden_group_size_y
      - .offset:         1536
        .size:           2
        .value_kind:     hidden_group_size_z
      - .offset:         1538
        .size:           2
        .value_kind:     hidden_remainder_x
      - .offset:         1540
        .size:           2
        .value_kind:     hidden_remainder_y
      - .offset:         1542
        .size:           2
        .value_kind:     hidden_remainder_z
      - .offset:         1560
        .size:           8
        .value_kind:     hidden_global_offset_x
      - .offset:         1568
        .size:           8
        .value_kind:     hidden_global_offset_y
      - .offset:         1576
        .size:           8
        .value_kind:     hidden_global_offset_z
      - .offset:         1584
        .size:           2
        .value_kind:     hidden_grid_dims
    .group_segment_fixed_size: 0
    .kernarg_segment_align: 8
    .kernarg_segment_size: 1776
    .language:       OpenCL C
    .language_version:
      - 2
      - 0
    .max_flat_workgroup_size: 512
    .name:           _ZN2at6native12_GLOBAL__N_16kernel18lstm_cell_backwardIN3c104HalfEfiLi2EEEvNS_4cuda6detail10TensorInfoIT_T1_EESB_SB_SB_SB_SB_SB_SA_SA_
    .private_segment_fixed_size: 0
    .sgpr_count:     65
    .sgpr_spill_count: 0
    .symbol:         _ZN2at6native12_GLOBAL__N_16kernel18lstm_cell_backwardIN3c104HalfEfiLi2EEEvNS_4cuda6detail10TensorInfoIT_T1_EESB_SB_SB_SB_SB_SB_SA_SA_.kd
    .uniform_work_group_size: 1
    .uses_dynamic_stack: false
    .vgpr_count:     45
    .vgpr_spill_count: 0
    .wavefront_size: 32
    .workgroup_processor_mode: 1
  - .args:
      - .offset:         0
        .size:           416
        .value_kind:     by_value
      - .offset:         416
        .size:           416
        .value_kind:     by_value
      - .offset:         832
        .size:           416
        .value_kind:     by_value
      - .offset:         1248
        .size:           416
        .value_kind:     by_value
      - .offset:         1664
        .size:           416
        .value_kind:     by_value
      - .offset:         2080
        .size:           416
        .value_kind:     by_value
      - .offset:         2496
        .size:           416
        .value_kind:     by_value
      - .offset:         2912
        .size:           8
        .value_kind:     by_value
      - .offset:         2920
        .size:           8
        .value_kind:     by_value
      - .offset:         2928
        .size:           4
        .value_kind:     hidden_block_count_x
      - .offset:         2932
        .size:           4
        .value_kind:     hidden_block_count_y
      - .offset:         2936
        .size:           4
        .value_kind:     hidden_block_count_z
      - .offset:         2940
        .size:           2
        .value_kind:     hidden_group_size_x
      - .offset:         2942
        .size:           2
        .value_kind:     hidden_group_size_y
      - .offset:         2944
        .size:           2
        .value_kind:     hidden_group_size_z
      - .offset:         2946
        .size:           2
        .value_kind:     hidden_remainder_x
      - .offset:         2948
        .size:           2
        .value_kind:     hidden_remainder_y
      - .offset:         2950
        .size:           2
        .value_kind:     hidden_remainder_z
      - .offset:         2968
        .size:           8
        .value_kind:     hidden_global_offset_x
      - .offset:         2976
        .size:           8
        .value_kind:     hidden_global_offset_y
      - .offset:         2984
        .size:           8
        .value_kind:     hidden_global_offset_z
      - .offset:         2992
        .size:           2
        .value_kind:     hidden_grid_dims
    .group_segment_fixed_size: 0
    .kernarg_segment_align: 8
    .kernarg_segment_size: 3184
    .language:       OpenCL C
    .language_version:
      - 2
      - 0
    .max_flat_workgroup_size: 512
    .name:           _ZN2at6native12_GLOBAL__N_16kernel18lstm_cell_backwardIN3c104HalfEflLi1EEEvNS_4cuda6detail10TensorInfoIT_T1_EESB_SB_SB_SB_SB_SB_SA_SA_
    .private_segment_fixed_size: 0
    .sgpr_count:     44
    .sgpr_spill_count: 0
    .symbol:         _ZN2at6native12_GLOBAL__N_16kernel18lstm_cell_backwardIN3c104HalfEflLi1EEEvNS_4cuda6detail10TensorInfoIT_T1_EESB_SB_SB_SB_SB_SB_SA_SA_.kd
    .uniform_work_group_size: 1
    .uses_dynamic_stack: false
    .vgpr_count:     36
    .vgpr_spill_count: 0
    .wavefront_size: 32
    .workgroup_processor_mode: 1
  - .args:
      - .offset:         0
        .size:           416
        .value_kind:     by_value
      - .offset:         416
        .size:           416
        .value_kind:     by_value
      - .offset:         832
        .size:           416
        .value_kind:     by_value
      - .offset:         1248
        .size:           416
        .value_kind:     by_value
      - .offset:         1664
        .size:           416
        .value_kind:     by_value
      - .offset:         2080
        .size:           416
        .value_kind:     by_value
      - .offset:         2496
        .size:           416
        .value_kind:     by_value
      - .offset:         2912
        .size:           8
        .value_kind:     by_value
      - .offset:         2920
        .size:           8
        .value_kind:     by_value
      - .offset:         2928
        .size:           4
        .value_kind:     hidden_block_count_x
      - .offset:         2932
        .size:           4
        .value_kind:     hidden_block_count_y
      - .offset:         2936
        .size:           4
        .value_kind:     hidden_block_count_z
      - .offset:         2940
        .size:           2
        .value_kind:     hidden_group_size_x
      - .offset:         2942
        .size:           2
        .value_kind:     hidden_group_size_y
      - .offset:         2944
        .size:           2
        .value_kind:     hidden_group_size_z
      - .offset:         2946
        .size:           2
        .value_kind:     hidden_remainder_x
      - .offset:         2948
        .size:           2
        .value_kind:     hidden_remainder_y
      - .offset:         2950
        .size:           2
        .value_kind:     hidden_remainder_z
      - .offset:         2968
        .size:           8
        .value_kind:     hidden_global_offset_x
      - .offset:         2976
        .size:           8
        .value_kind:     hidden_global_offset_y
      - .offset:         2984
        .size:           8
        .value_kind:     hidden_global_offset_z
      - .offset:         2992
        .size:           2
        .value_kind:     hidden_grid_dims
    .group_segment_fixed_size: 0
    .kernarg_segment_align: 8
    .kernarg_segment_size: 3184
    .language:       OpenCL C
    .language_version:
      - 2
      - 0
    .max_flat_workgroup_size: 512
    .name:           _ZN2at6native12_GLOBAL__N_16kernel18lstm_cell_backwardIN3c104HalfEflLi2EEEvNS_4cuda6detail10TensorInfoIT_T1_EESB_SB_SB_SB_SB_SB_SA_SA_
    .private_segment_fixed_size: 0
    .sgpr_count:     87
    .sgpr_spill_count: 0
    .symbol:         _ZN2at6native12_GLOBAL__N_16kernel18lstm_cell_backwardIN3c104HalfEflLi2EEEvNS_4cuda6detail10TensorInfoIT_T1_EESB_SB_SB_SB_SB_SB_SA_SA_.kd
    .uniform_work_group_size: 1
    .uses_dynamic_stack: false
    .vgpr_count:     42
    .vgpr_spill_count: 0
    .wavefront_size: 32
    .workgroup_processor_mode: 1
  - .args:
      - .offset:         0
        .size:           216
        .value_kind:     by_value
      - .offset:         216
        .size:           216
        .value_kind:     by_value
      - .offset:         432
        .size:           216
        .value_kind:     by_value
      - .offset:         648
        .size:           216
        .value_kind:     by_value
      - .offset:         864
        .size:           216
        .value_kind:     by_value
      - .offset:         1080
        .size:           216
        .value_kind:     by_value
      - .offset:         1296
        .size:           216
        .value_kind:     by_value
      - .offset:         1512
        .size:           4
        .value_kind:     by_value
      - .offset:         1516
        .size:           4
        .value_kind:     by_value
      - .offset:         1520
        .size:           4
        .value_kind:     hidden_block_count_x
      - .offset:         1524
        .size:           4
        .value_kind:     hidden_block_count_y
      - .offset:         1528
        .size:           4
        .value_kind:     hidden_block_count_z
      - .offset:         1532
        .size:           2
        .value_kind:     hidden_group_size_x
      - .offset:         1534
        .size:           2
        .value_kind:     hidden_group_size_y
      - .offset:         1536
        .size:           2
        .value_kind:     hidden_group_size_z
      - .offset:         1538
        .size:           2
        .value_kind:     hidden_remainder_x
      - .offset:         1540
        .size:           2
        .value_kind:     hidden_remainder_y
      - .offset:         1542
        .size:           2
        .value_kind:     hidden_remainder_z
      - .offset:         1560
        .size:           8
        .value_kind:     hidden_global_offset_x
      - .offset:         1568
        .size:           8
        .value_kind:     hidden_global_offset_y
      - .offset:         1576
        .size:           8
        .value_kind:     hidden_global_offset_z
      - .offset:         1584
        .size:           2
        .value_kind:     hidden_grid_dims
    .group_segment_fixed_size: 0
    .kernarg_segment_align: 8
    .kernarg_segment_size: 1776
    .language:       OpenCL C
    .language_version:
      - 2
      - 0
    .max_flat_workgroup_size: 512
    .name:           _ZN2at6native12_GLOBAL__N_16kernel18lstm_cell_backwardIN3c108BFloat16EfiLi1EEEvNS_4cuda6detail10TensorInfoIT_T1_EESB_SB_SB_SB_SB_SB_SA_SA_
    .private_segment_fixed_size: 0
    .sgpr_count:     36
    .sgpr_spill_count: 0
    .symbol:         _ZN2at6native12_GLOBAL__N_16kernel18lstm_cell_backwardIN3c108BFloat16EfiLi1EEEvNS_4cuda6detail10TensorInfoIT_T1_EESB_SB_SB_SB_SB_SB_SA_SA_.kd
    .uniform_work_group_size: 1
    .uses_dynamic_stack: false
    .vgpr_count:     30
    .vgpr_spill_count: 0
    .wavefront_size: 32
    .workgroup_processor_mode: 1
  - .args:
      - .offset:         0
        .size:           216
        .value_kind:     by_value
      - .offset:         216
        .size:           216
        .value_kind:     by_value
      - .offset:         432
        .size:           216
        .value_kind:     by_value
      - .offset:         648
        .size:           216
        .value_kind:     by_value
      - .offset:         864
        .size:           216
        .value_kind:     by_value
      - .offset:         1080
        .size:           216
        .value_kind:     by_value
      - .offset:         1296
        .size:           216
        .value_kind:     by_value
      - .offset:         1512
        .size:           4
        .value_kind:     by_value
      - .offset:         1516
        .size:           4
        .value_kind:     by_value
      - .offset:         1520
        .size:           4
        .value_kind:     hidden_block_count_x
      - .offset:         1524
        .size:           4
        .value_kind:     hidden_block_count_y
      - .offset:         1528
        .size:           4
        .value_kind:     hidden_block_count_z
      - .offset:         1532
        .size:           2
        .value_kind:     hidden_group_size_x
      - .offset:         1534
        .size:           2
        .value_kind:     hidden_group_size_y
      - .offset:         1536
        .size:           2
        .value_kind:     hidden_group_size_z
      - .offset:         1538
        .size:           2
        .value_kind:     hidden_remainder_x
      - .offset:         1540
        .size:           2
        .value_kind:     hidden_remainder_y
      - .offset:         1542
        .size:           2
        .value_kind:     hidden_remainder_z
      - .offset:         1560
        .size:           8
        .value_kind:     hidden_global_offset_x
      - .offset:         1568
        .size:           8
        .value_kind:     hidden_global_offset_y
      - .offset:         1576
        .size:           8
        .value_kind:     hidden_global_offset_z
      - .offset:         1584
        .size:           2
        .value_kind:     hidden_grid_dims
    .group_segment_fixed_size: 0
    .kernarg_segment_align: 8
    .kernarg_segment_size: 1776
    .language:       OpenCL C
    .language_version:
      - 2
      - 0
    .max_flat_workgroup_size: 512
    .name:           _ZN2at6native12_GLOBAL__N_16kernel18lstm_cell_backwardIN3c108BFloat16EfiLi2EEEvNS_4cuda6detail10TensorInfoIT_T1_EESB_SB_SB_SB_SB_SB_SA_SA_
    .private_segment_fixed_size: 0
    .sgpr_count:     64
    .sgpr_spill_count: 0
    .symbol:         _ZN2at6native12_GLOBAL__N_16kernel18lstm_cell_backwardIN3c108BFloat16EfiLi2EEEvNS_4cuda6detail10TensorInfoIT_T1_EESB_SB_SB_SB_SB_SB_SA_SA_.kd
    .uniform_work_group_size: 1
    .uses_dynamic_stack: false
    .vgpr_count:     45
    .vgpr_spill_count: 0
    .wavefront_size: 32
    .workgroup_processor_mode: 1
  - .args:
      - .offset:         0
        .size:           416
        .value_kind:     by_value
      - .offset:         416
        .size:           416
        .value_kind:     by_value
      - .offset:         832
        .size:           416
        .value_kind:     by_value
      - .offset:         1248
        .size:           416
        .value_kind:     by_value
      - .offset:         1664
        .size:           416
        .value_kind:     by_value
      - .offset:         2080
        .size:           416
        .value_kind:     by_value
      - .offset:         2496
        .size:           416
        .value_kind:     by_value
      - .offset:         2912
        .size:           8
        .value_kind:     by_value
      - .offset:         2920
        .size:           8
        .value_kind:     by_value
      - .offset:         2928
        .size:           4
        .value_kind:     hidden_block_count_x
      - .offset:         2932
        .size:           4
        .value_kind:     hidden_block_count_y
      - .offset:         2936
        .size:           4
        .value_kind:     hidden_block_count_z
      - .offset:         2940
        .size:           2
        .value_kind:     hidden_group_size_x
      - .offset:         2942
        .size:           2
        .value_kind:     hidden_group_size_y
      - .offset:         2944
        .size:           2
        .value_kind:     hidden_group_size_z
      - .offset:         2946
        .size:           2
        .value_kind:     hidden_remainder_x
      - .offset:         2948
        .size:           2
        .value_kind:     hidden_remainder_y
      - .offset:         2950
        .size:           2
        .value_kind:     hidden_remainder_z
      - .offset:         2968
        .size:           8
        .value_kind:     hidden_global_offset_x
      - .offset:         2976
        .size:           8
        .value_kind:     hidden_global_offset_y
      - .offset:         2984
        .size:           8
        .value_kind:     hidden_global_offset_z
      - .offset:         2992
        .size:           2
        .value_kind:     hidden_grid_dims
    .group_segment_fixed_size: 0
    .kernarg_segment_align: 8
    .kernarg_segment_size: 3184
    .language:       OpenCL C
    .language_version:
      - 2
      - 0
    .max_flat_workgroup_size: 512
    .name:           _ZN2at6native12_GLOBAL__N_16kernel18lstm_cell_backwardIN3c108BFloat16EflLi1EEEvNS_4cuda6detail10TensorInfoIT_T1_EESB_SB_SB_SB_SB_SB_SA_SA_
    .private_segment_fixed_size: 0
    .sgpr_count:     44
    .sgpr_spill_count: 0
    .symbol:         _ZN2at6native12_GLOBAL__N_16kernel18lstm_cell_backwardIN3c108BFloat16EflLi1EEEvNS_4cuda6detail10TensorInfoIT_T1_EESB_SB_SB_SB_SB_SB_SA_SA_.kd
    .uniform_work_group_size: 1
    .uses_dynamic_stack: false
    .vgpr_count:     35
    .vgpr_spill_count: 0
    .wavefront_size: 32
    .workgroup_processor_mode: 1
  - .args:
      - .offset:         0
        .size:           416
        .value_kind:     by_value
      - .offset:         416
        .size:           416
        .value_kind:     by_value
      - .offset:         832
        .size:           416
        .value_kind:     by_value
      - .offset:         1248
        .size:           416
        .value_kind:     by_value
      - .offset:         1664
        .size:           416
        .value_kind:     by_value
      - .offset:         2080
        .size:           416
        .value_kind:     by_value
      - .offset:         2496
        .size:           416
        .value_kind:     by_value
      - .offset:         2912
        .size:           8
        .value_kind:     by_value
      - .offset:         2920
        .size:           8
        .value_kind:     by_value
      - .offset:         2928
        .size:           4
        .value_kind:     hidden_block_count_x
      - .offset:         2932
        .size:           4
        .value_kind:     hidden_block_count_y
      - .offset:         2936
        .size:           4
        .value_kind:     hidden_block_count_z
      - .offset:         2940
        .size:           2
        .value_kind:     hidden_group_size_x
      - .offset:         2942
        .size:           2
        .value_kind:     hidden_group_size_y
      - .offset:         2944
        .size:           2
        .value_kind:     hidden_group_size_z
      - .offset:         2946
        .size:           2
        .value_kind:     hidden_remainder_x
      - .offset:         2948
        .size:           2
        .value_kind:     hidden_remainder_y
      - .offset:         2950
        .size:           2
        .value_kind:     hidden_remainder_z
      - .offset:         2968
        .size:           8
        .value_kind:     hidden_global_offset_x
      - .offset:         2976
        .size:           8
        .value_kind:     hidden_global_offset_y
      - .offset:         2984
        .size:           8
        .value_kind:     hidden_global_offset_z
      - .offset:         2992
        .size:           2
        .value_kind:     hidden_grid_dims
    .group_segment_fixed_size: 0
    .kernarg_segment_align: 8
    .kernarg_segment_size: 3184
    .language:       OpenCL C
    .language_version:
      - 2
      - 0
    .max_flat_workgroup_size: 512
    .name:           _ZN2at6native12_GLOBAL__N_16kernel18lstm_cell_backwardIN3c108BFloat16EflLi2EEEvNS_4cuda6detail10TensorInfoIT_T1_EESB_SB_SB_SB_SB_SB_SA_SA_
    .private_segment_fixed_size: 0
    .sgpr_count:     86
    .sgpr_spill_count: 0
    .symbol:         _ZN2at6native12_GLOBAL__N_16kernel18lstm_cell_backwardIN3c108BFloat16EflLi2EEEvNS_4cuda6detail10TensorInfoIT_T1_EESB_SB_SB_SB_SB_SB_SA_SA_.kd
    .uniform_work_group_size: 1
    .uses_dynamic_stack: false
    .vgpr_count:     43
    .vgpr_spill_count: 0
    .wavefront_size: 32
    .workgroup_processor_mode: 1
  - .args:
      - .offset:         0
        .size:           216
        .value_kind:     by_value
      - .offset:         216
        .size:           216
        .value_kind:     by_value
      - .offset:         432
        .size:           216
        .value_kind:     by_value
      - .offset:         648
        .size:           216
        .value_kind:     by_value
      - .offset:         864
        .size:           216
        .value_kind:     by_value
      - .offset:         1080
        .size:           216
        .value_kind:     by_value
      - .offset:         1296
        .size:           216
        .value_kind:     by_value
      - .offset:         1512
        .size:           4
        .value_kind:     by_value
      - .offset:         1516
        .size:           4
        .value_kind:     by_value
      - .offset:         1520
        .size:           4
        .value_kind:     hidden_block_count_x
      - .offset:         1524
        .size:           4
        .value_kind:     hidden_block_count_y
      - .offset:         1528
        .size:           4
        .value_kind:     hidden_block_count_z
      - .offset:         1532
        .size:           2
        .value_kind:     hidden_group_size_x
      - .offset:         1534
        .size:           2
        .value_kind:     hidden_group_size_y
      - .offset:         1536
        .size:           2
        .value_kind:     hidden_group_size_z
      - .offset:         1538
        .size:           2
        .value_kind:     hidden_remainder_x
      - .offset:         1540
        .size:           2
        .value_kind:     hidden_remainder_y
      - .offset:         1542
        .size:           2
        .value_kind:     hidden_remainder_z
      - .offset:         1560
        .size:           8
        .value_kind:     hidden_global_offset_x
      - .offset:         1568
        .size:           8
        .value_kind:     hidden_global_offset_y
      - .offset:         1576
        .size:           8
        .value_kind:     hidden_global_offset_z
      - .offset:         1584
        .size:           2
        .value_kind:     hidden_grid_dims
    .group_segment_fixed_size: 0
    .kernarg_segment_align: 8
    .kernarg_segment_size: 1776
    .language:       OpenCL C
    .language_version:
      - 2
      - 0
    .max_flat_workgroup_size: 512
    .name:           _ZN2at6native12_GLOBAL__N_16kernel16gru_cell_forwardIddiLi1EEEvNS_4cuda6detail10TensorInfoIT_T1_EES9_S9_S9_S9_S9_S9_S8_S8_
    .private_segment_fixed_size: 0
    .sgpr_count:     69
    .sgpr_spill_count: 0
    .symbol:         _ZN2at6native12_GLOBAL__N_16kernel16gru_cell_forwardIddiLi1EEEvNS_4cuda6detail10TensorInfoIT_T1_EES9_S9_S9_S9_S9_S9_S8_S8_.kd
    .uniform_work_group_size: 1
    .uses_dynamic_stack: false
    .vgpr_count:     46
    .vgpr_spill_count: 0
    .wavefront_size: 32
    .workgroup_processor_mode: 1
  - .args:
      - .offset:         0
        .size:           216
        .value_kind:     by_value
      - .offset:         216
        .size:           216
        .value_kind:     by_value
      - .offset:         432
        .size:           216
        .value_kind:     by_value
      - .offset:         648
        .size:           216
        .value_kind:     by_value
      - .offset:         864
        .size:           216
        .value_kind:     by_value
      - .offset:         1080
        .size:           216
        .value_kind:     by_value
      - .offset:         1296
        .size:           216
        .value_kind:     by_value
      - .offset:         1512
        .size:           4
        .value_kind:     by_value
      - .offset:         1516
        .size:           4
        .value_kind:     by_value
      - .offset:         1520
        .size:           4
        .value_kind:     hidden_block_count_x
      - .offset:         1524
        .size:           4
        .value_kind:     hidden_block_count_y
      - .offset:         1528
        .size:           4
        .value_kind:     hidden_block_count_z
      - .offset:         1532
        .size:           2
        .value_kind:     hidden_group_size_x
      - .offset:         1534
        .size:           2
        .value_kind:     hidden_group_size_y
      - .offset:         1536
        .size:           2
        .value_kind:     hidden_group_size_z
      - .offset:         1538
        .size:           2
        .value_kind:     hidden_remainder_x
      - .offset:         1540
        .size:           2
        .value_kind:     hidden_remainder_y
      - .offset:         1542
        .size:           2
        .value_kind:     hidden_remainder_z
      - .offset:         1560
        .size:           8
        .value_kind:     hidden_global_offset_x
      - .offset:         1568
        .size:           8
        .value_kind:     hidden_global_offset_y
      - .offset:         1576
        .size:           8
        .value_kind:     hidden_global_offset_z
      - .offset:         1584
        .size:           2
        .value_kind:     hidden_grid_dims
    .group_segment_fixed_size: 0
    .kernarg_segment_align: 8
    .kernarg_segment_size: 1776
    .language:       OpenCL C
    .language_version:
      - 2
      - 0
    .max_flat_workgroup_size: 512
    .name:           _ZN2at6native12_GLOBAL__N_16kernel16gru_cell_forwardIddiLi2EEEvNS_4cuda6detail10TensorInfoIT_T1_EES9_S9_S9_S9_S9_S9_S8_S8_
    .private_segment_fixed_size: 0
    .sgpr_count:     92
    .sgpr_spill_count: 0
    .symbol:         _ZN2at6native12_GLOBAL__N_16kernel16gru_cell_forwardIddiLi2EEEvNS_4cuda6detail10TensorInfoIT_T1_EES9_S9_S9_S9_S9_S9_S8_S8_.kd
    .uniform_work_group_size: 1
    .uses_dynamic_stack: false
    .vgpr_count:     54
    .vgpr_spill_count: 0
    .wavefront_size: 32
    .workgroup_processor_mode: 1
  - .args:
      - .offset:         0
        .size:           416
        .value_kind:     by_value
      - .offset:         416
        .size:           416
        .value_kind:     by_value
      - .offset:         832
        .size:           416
        .value_kind:     by_value
      - .offset:         1248
        .size:           416
        .value_kind:     by_value
      - .offset:         1664
        .size:           416
        .value_kind:     by_value
      - .offset:         2080
        .size:           416
        .value_kind:     by_value
      - .offset:         2496
        .size:           416
        .value_kind:     by_value
      - .offset:         2912
        .size:           8
        .value_kind:     by_value
      - .offset:         2920
        .size:           8
        .value_kind:     by_value
      - .offset:         2928
        .size:           4
        .value_kind:     hidden_block_count_x
      - .offset:         2932
        .size:           4
        .value_kind:     hidden_block_count_y
      - .offset:         2936
        .size:           4
        .value_kind:     hidden_block_count_z
      - .offset:         2940
        .size:           2
        .value_kind:     hidden_group_size_x
      - .offset:         2942
        .size:           2
        .value_kind:     hidden_group_size_y
      - .offset:         2944
        .size:           2
        .value_kind:     hidden_group_size_z
      - .offset:         2946
        .size:           2
        .value_kind:     hidden_remainder_x
      - .offset:         2948
        .size:           2
        .value_kind:     hidden_remainder_y
      - .offset:         2950
        .size:           2
        .value_kind:     hidden_remainder_z
      - .offset:         2968
        .size:           8
        .value_kind:     hidden_global_offset_x
      - .offset:         2976
        .size:           8
        .value_kind:     hidden_global_offset_y
      - .offset:         2984
        .size:           8
        .value_kind:     hidden_global_offset_z
      - .offset:         2992
        .size:           2
        .value_kind:     hidden_grid_dims
    .group_segment_fixed_size: 0
    .kernarg_segment_align: 8
    .kernarg_segment_size: 3184
    .language:       OpenCL C
    .language_version:
      - 2
      - 0
    .max_flat_workgroup_size: 512
    .name:           _ZN2at6native12_GLOBAL__N_16kernel16gru_cell_forwardIddlLi1EEEvNS_4cuda6detail10TensorInfoIT_T1_EES9_S9_S9_S9_S9_S9_S8_S8_
    .private_segment_fixed_size: 0
    .sgpr_count:     80
    .sgpr_spill_count: 0
    .symbol:         _ZN2at6native12_GLOBAL__N_16kernel16gru_cell_forwardIddlLi1EEEvNS_4cuda6detail10TensorInfoIT_T1_EES9_S9_S9_S9_S9_S9_S8_S8_.kd
    .uniform_work_group_size: 1
    .uses_dynamic_stack: false
    .vgpr_count:     49
    .vgpr_spill_count: 0
    .wavefront_size: 32
    .workgroup_processor_mode: 1
  - .args:
      - .offset:         0
        .size:           416
        .value_kind:     by_value
      - .offset:         416
        .size:           416
        .value_kind:     by_value
      - .offset:         832
        .size:           416
        .value_kind:     by_value
      - .offset:         1248
        .size:           416
        .value_kind:     by_value
      - .offset:         1664
        .size:           416
        .value_kind:     by_value
      - .offset:         2080
        .size:           416
        .value_kind:     by_value
      - .offset:         2496
        .size:           416
        .value_kind:     by_value
      - .offset:         2912
        .size:           8
        .value_kind:     by_value
      - .offset:         2920
        .size:           8
        .value_kind:     by_value
      - .offset:         2928
        .size:           4
        .value_kind:     hidden_block_count_x
      - .offset:         2932
        .size:           4
        .value_kind:     hidden_block_count_y
      - .offset:         2936
        .size:           4
        .value_kind:     hidden_block_count_z
      - .offset:         2940
        .size:           2
        .value_kind:     hidden_group_size_x
      - .offset:         2942
        .size:           2
        .value_kind:     hidden_group_size_y
      - .offset:         2944
        .size:           2
        .value_kind:     hidden_group_size_z
      - .offset:         2946
        .size:           2
        .value_kind:     hidden_remainder_x
      - .offset:         2948
        .size:           2
        .value_kind:     hidden_remainder_y
      - .offset:         2950
        .size:           2
        .value_kind:     hidden_remainder_z
      - .offset:         2968
        .size:           8
        .value_kind:     hidden_global_offset_x
      - .offset:         2976
        .size:           8
        .value_kind:     hidden_global_offset_y
      - .offset:         2984
        .size:           8
        .value_kind:     hidden_global_offset_z
      - .offset:         2992
        .size:           2
        .value_kind:     hidden_grid_dims
    .group_segment_fixed_size: 0
    .kernarg_segment_align: 8
    .kernarg_segment_size: 3184
    .language:       OpenCL C
    .language_version:
      - 2
      - 0
    .max_flat_workgroup_size: 512
    .name:           _ZN2at6native12_GLOBAL__N_16kernel16gru_cell_forwardIddlLi2EEEvNS_4cuda6detail10TensorInfoIT_T1_EES9_S9_S9_S9_S9_S9_S8_S8_
    .private_segment_fixed_size: 0
    .sgpr_count:     106
    .sgpr_spill_count: 0
    .symbol:         _ZN2at6native12_GLOBAL__N_16kernel16gru_cell_forwardIddlLi2EEEvNS_4cuda6detail10TensorInfoIT_T1_EES9_S9_S9_S9_S9_S9_S8_S8_.kd
    .uniform_work_group_size: 1
    .uses_dynamic_stack: false
    .vgpr_count:     47
    .vgpr_spill_count: 0
    .wavefront_size: 32
    .workgroup_processor_mode: 1
  - .args:
      - .offset:         0
        .size:           216
        .value_kind:     by_value
      - .offset:         216
        .size:           216
        .value_kind:     by_value
      - .offset:         432
        .size:           216
        .value_kind:     by_value
      - .offset:         648
        .size:           216
        .value_kind:     by_value
      - .offset:         864
        .size:           216
        .value_kind:     by_value
      - .offset:         1080
        .size:           216
        .value_kind:     by_value
      - .offset:         1296
        .size:           216
        .value_kind:     by_value
      - .offset:         1512
        .size:           4
        .value_kind:     by_value
      - .offset:         1516
        .size:           4
        .value_kind:     by_value
      - .offset:         1520
        .size:           4
        .value_kind:     hidden_block_count_x
      - .offset:         1524
        .size:           4
        .value_kind:     hidden_block_count_y
      - .offset:         1528
        .size:           4
        .value_kind:     hidden_block_count_z
      - .offset:         1532
        .size:           2
        .value_kind:     hidden_group_size_x
      - .offset:         1534
        .size:           2
        .value_kind:     hidden_group_size_y
      - .offset:         1536
        .size:           2
        .value_kind:     hidden_group_size_z
      - .offset:         1538
        .size:           2
        .value_kind:     hidden_remainder_x
      - .offset:         1540
        .size:           2
        .value_kind:     hidden_remainder_y
      - .offset:         1542
        .size:           2
        .value_kind:     hidden_remainder_z
      - .offset:         1560
        .size:           8
        .value_kind:     hidden_global_offset_x
      - .offset:         1568
        .size:           8
        .value_kind:     hidden_global_offset_y
      - .offset:         1576
        .size:           8
        .value_kind:     hidden_global_offset_z
      - .offset:         1584
        .size:           2
        .value_kind:     hidden_grid_dims
    .group_segment_fixed_size: 0
    .kernarg_segment_align: 8
    .kernarg_segment_size: 1776
    .language:       OpenCL C
    .language_version:
      - 2
      - 0
    .max_flat_workgroup_size: 512
    .name:           _ZN2at6native12_GLOBAL__N_16kernel16gru_cell_forwardIffiLi1EEEvNS_4cuda6detail10TensorInfoIT_T1_EES9_S9_S9_S9_S9_S9_S8_S8_
    .private_segment_fixed_size: 0
    .sgpr_count:     37
    .sgpr_spill_count: 0
    .symbol:         _ZN2at6native12_GLOBAL__N_16kernel16gru_cell_forwardIffiLi1EEEvNS_4cuda6detail10TensorInfoIT_T1_EES9_S9_S9_S9_S9_S9_S8_S8_.kd
    .uniform_work_group_size: 1
    .uses_dynamic_stack: false
    .vgpr_count:     28
    .vgpr_spill_count: 0
    .wavefront_size: 32
    .workgroup_processor_mode: 1
  - .args:
      - .offset:         0
        .size:           216
        .value_kind:     by_value
      - .offset:         216
        .size:           216
        .value_kind:     by_value
      - .offset:         432
        .size:           216
        .value_kind:     by_value
      - .offset:         648
        .size:           216
        .value_kind:     by_value
      - .offset:         864
        .size:           216
        .value_kind:     by_value
      - .offset:         1080
        .size:           216
        .value_kind:     by_value
      - .offset:         1296
        .size:           216
        .value_kind:     by_value
      - .offset:         1512
        .size:           4
        .value_kind:     by_value
      - .offset:         1516
        .size:           4
        .value_kind:     by_value
      - .offset:         1520
        .size:           4
        .value_kind:     hidden_block_count_x
      - .offset:         1524
        .size:           4
        .value_kind:     hidden_block_count_y
      - .offset:         1528
        .size:           4
        .value_kind:     hidden_block_count_z
      - .offset:         1532
        .size:           2
        .value_kind:     hidden_group_size_x
      - .offset:         1534
        .size:           2
        .value_kind:     hidden_group_size_y
      - .offset:         1536
        .size:           2
        .value_kind:     hidden_group_size_z
      - .offset:         1538
        .size:           2
        .value_kind:     hidden_remainder_x
      - .offset:         1540
        .size:           2
        .value_kind:     hidden_remainder_y
      - .offset:         1542
        .size:           2
        .value_kind:     hidden_remainder_z
      - .offset:         1560
        .size:           8
        .value_kind:     hidden_global_offset_x
      - .offset:         1568
        .size:           8
        .value_kind:     hidden_global_offset_y
      - .offset:         1576
        .size:           8
        .value_kind:     hidden_global_offset_z
      - .offset:         1584
        .size:           2
        .value_kind:     hidden_grid_dims
    .group_segment_fixed_size: 0
    .kernarg_segment_align: 8
    .kernarg_segment_size: 1776
    .language:       OpenCL C
    .language_version:
      - 2
      - 0
    .max_flat_workgroup_size: 512
    .name:           _ZN2at6native12_GLOBAL__N_16kernel16gru_cell_forwardIffiLi2EEEvNS_4cuda6detail10TensorInfoIT_T1_EES9_S9_S9_S9_S9_S9_S8_S8_
    .private_segment_fixed_size: 0
    .sgpr_count:     58
    .sgpr_spill_count: 0
    .symbol:         _ZN2at6native12_GLOBAL__N_16kernel16gru_cell_forwardIffiLi2EEEvNS_4cuda6detail10TensorInfoIT_T1_EES9_S9_S9_S9_S9_S9_S8_S8_.kd
    .uniform_work_group_size: 1
    .uses_dynamic_stack: false
    .vgpr_count:     44
    .vgpr_spill_count: 0
    .wavefront_size: 32
    .workgroup_processor_mode: 1
  - .args:
      - .offset:         0
        .size:           416
        .value_kind:     by_value
      - .offset:         416
        .size:           416
        .value_kind:     by_value
      - .offset:         832
        .size:           416
        .value_kind:     by_value
      - .offset:         1248
        .size:           416
        .value_kind:     by_value
      - .offset:         1664
        .size:           416
        .value_kind:     by_value
      - .offset:         2080
        .size:           416
        .value_kind:     by_value
      - .offset:         2496
        .size:           416
        .value_kind:     by_value
      - .offset:         2912
        .size:           8
        .value_kind:     by_value
      - .offset:         2920
        .size:           8
        .value_kind:     by_value
      - .offset:         2928
        .size:           4
        .value_kind:     hidden_block_count_x
      - .offset:         2932
        .size:           4
        .value_kind:     hidden_block_count_y
      - .offset:         2936
        .size:           4
        .value_kind:     hidden_block_count_z
      - .offset:         2940
        .size:           2
        .value_kind:     hidden_group_size_x
      - .offset:         2942
        .size:           2
        .value_kind:     hidden_group_size_y
      - .offset:         2944
        .size:           2
        .value_kind:     hidden_group_size_z
      - .offset:         2946
        .size:           2
        .value_kind:     hidden_remainder_x
      - .offset:         2948
        .size:           2
        .value_kind:     hidden_remainder_y
      - .offset:         2950
        .size:           2
        .value_kind:     hidden_remainder_z
      - .offset:         2968
        .size:           8
        .value_kind:     hidden_global_offset_x
      - .offset:         2976
        .size:           8
        .value_kind:     hidden_global_offset_y
      - .offset:         2984
        .size:           8
        .value_kind:     hidden_global_offset_z
      - .offset:         2992
        .size:           2
        .value_kind:     hidden_grid_dims
    .group_segment_fixed_size: 0
    .kernarg_segment_align: 8
    .kernarg_segment_size: 3184
    .language:       OpenCL C
    .language_version:
      - 2
      - 0
    .max_flat_workgroup_size: 512
    .name:           _ZN2at6native12_GLOBAL__N_16kernel16gru_cell_forwardIfflLi1EEEvNS_4cuda6detail10TensorInfoIT_T1_EES9_S9_S9_S9_S9_S9_S8_S8_
    .private_segment_fixed_size: 0
    .sgpr_count:     47
    .sgpr_spill_count: 0
    .symbol:         _ZN2at6native12_GLOBAL__N_16kernel16gru_cell_forwardIfflLi1EEEvNS_4cuda6detail10TensorInfoIT_T1_EES9_S9_S9_S9_S9_S9_S8_S8_.kd
    .uniform_work_group_size: 1
    .uses_dynamic_stack: false
    .vgpr_count:     38
    .vgpr_spill_count: 0
    .wavefront_size: 32
    .workgroup_processor_mode: 1
  - .args:
      - .offset:         0
        .size:           416
        .value_kind:     by_value
      - .offset:         416
        .size:           416
        .value_kind:     by_value
      - .offset:         832
        .size:           416
        .value_kind:     by_value
      - .offset:         1248
        .size:           416
        .value_kind:     by_value
      - .offset:         1664
        .size:           416
        .value_kind:     by_value
      - .offset:         2080
        .size:           416
        .value_kind:     by_value
      - .offset:         2496
        .size:           416
        .value_kind:     by_value
      - .offset:         2912
        .size:           8
        .value_kind:     by_value
      - .offset:         2920
        .size:           8
        .value_kind:     by_value
      - .offset:         2928
        .size:           4
        .value_kind:     hidden_block_count_x
      - .offset:         2932
        .size:           4
        .value_kind:     hidden_block_count_y
      - .offset:         2936
        .size:           4
        .value_kind:     hidden_block_count_z
      - .offset:         2940
        .size:           2
        .value_kind:     hidden_group_size_x
      - .offset:         2942
        .size:           2
        .value_kind:     hidden_group_size_y
      - .offset:         2944
        .size:           2
        .value_kind:     hidden_group_size_z
      - .offset:         2946
        .size:           2
        .value_kind:     hidden_remainder_x
      - .offset:         2948
        .size:           2
        .value_kind:     hidden_remainder_y
      - .offset:         2950
        .size:           2
        .value_kind:     hidden_remainder_z
      - .offset:         2968
        .size:           8
        .value_kind:     hidden_global_offset_x
      - .offset:         2976
        .size:           8
        .value_kind:     hidden_global_offset_y
      - .offset:         2984
        .size:           8
        .value_kind:     hidden_global_offset_z
      - .offset:         2992
        .size:           2
        .value_kind:     hidden_grid_dims
    .group_segment_fixed_size: 0
    .kernarg_segment_align: 8
    .kernarg_segment_size: 3184
    .language:       OpenCL C
    .language_version:
      - 2
      - 0
    .max_flat_workgroup_size: 512
    .name:           _ZN2at6native12_GLOBAL__N_16kernel16gru_cell_forwardIfflLi2EEEvNS_4cuda6detail10TensorInfoIT_T1_EES9_S9_S9_S9_S9_S9_S8_S8_
    .private_segment_fixed_size: 0
    .sgpr_count:     75
    .sgpr_spill_count: 0
    .symbol:         _ZN2at6native12_GLOBAL__N_16kernel16gru_cell_forwardIfflLi2EEEvNS_4cuda6detail10TensorInfoIT_T1_EES9_S9_S9_S9_S9_S9_S8_S8_.kd
    .uniform_work_group_size: 1
    .uses_dynamic_stack: false
    .vgpr_count:     35
    .vgpr_spill_count: 0
    .wavefront_size: 32
    .workgroup_processor_mode: 1
  - .args:
      - .offset:         0
        .size:           216
        .value_kind:     by_value
      - .offset:         216
        .size:           216
        .value_kind:     by_value
      - .offset:         432
        .size:           216
        .value_kind:     by_value
      - .offset:         648
        .size:           216
        .value_kind:     by_value
      - .offset:         864
        .size:           216
        .value_kind:     by_value
      - .offset:         1080
        .size:           216
        .value_kind:     by_value
      - .offset:         1296
        .size:           216
        .value_kind:     by_value
      - .offset:         1512
        .size:           4
        .value_kind:     by_value
      - .offset:         1516
        .size:           4
        .value_kind:     by_value
      - .offset:         1520
        .size:           4
        .value_kind:     hidden_block_count_x
      - .offset:         1524
        .size:           4
        .value_kind:     hidden_block_count_y
      - .offset:         1528
        .size:           4
        .value_kind:     hidden_block_count_z
      - .offset:         1532
        .size:           2
        .value_kind:     hidden_group_size_x
      - .offset:         1534
        .size:           2
        .value_kind:     hidden_group_size_y
      - .offset:         1536
        .size:           2
        .value_kind:     hidden_group_size_z
      - .offset:         1538
        .size:           2
        .value_kind:     hidden_remainder_x
      - .offset:         1540
        .size:           2
        .value_kind:     hidden_remainder_y
      - .offset:         1542
        .size:           2
        .value_kind:     hidden_remainder_z
      - .offset:         1560
        .size:           8
        .value_kind:     hidden_global_offset_x
      - .offset:         1568
        .size:           8
        .value_kind:     hidden_global_offset_y
      - .offset:         1576
        .size:           8
        .value_kind:     hidden_global_offset_z
      - .offset:         1584
        .size:           2
        .value_kind:     hidden_grid_dims
    .group_segment_fixed_size: 0
    .kernarg_segment_align: 8
    .kernarg_segment_size: 1776
    .language:       OpenCL C
    .language_version:
      - 2
      - 0
    .max_flat_workgroup_size: 512
    .name:           _ZN2at6native12_GLOBAL__N_16kernel16gru_cell_forwardIN3c104HalfEfiLi1EEEvNS_4cuda6detail10TensorInfoIT_T1_EESB_SB_SB_SB_SB_SB_SA_SA_
    .private_segment_fixed_size: 0
    .sgpr_count:     37
    .sgpr_spill_count: 0
    .symbol:         _ZN2at6native12_GLOBAL__N_16kernel16gru_cell_forwardIN3c104HalfEfiLi1EEEvNS_4cuda6detail10TensorInfoIT_T1_EESB_SB_SB_SB_SB_SB_SA_SA_.kd
    .uniform_work_group_size: 1
    .uses_dynamic_stack: false
    .vgpr_count:     31
    .vgpr_spill_count: 0
    .wavefront_size: 32
    .workgroup_processor_mode: 1
  - .args:
      - .offset:         0
        .size:           216
        .value_kind:     by_value
      - .offset:         216
        .size:           216
        .value_kind:     by_value
      - .offset:         432
        .size:           216
        .value_kind:     by_value
      - .offset:         648
        .size:           216
        .value_kind:     by_value
      - .offset:         864
        .size:           216
        .value_kind:     by_value
      - .offset:         1080
        .size:           216
        .value_kind:     by_value
      - .offset:         1296
        .size:           216
        .value_kind:     by_value
      - .offset:         1512
        .size:           4
        .value_kind:     by_value
      - .offset:         1516
        .size:           4
        .value_kind:     by_value
      - .offset:         1520
        .size:           4
        .value_kind:     hidden_block_count_x
      - .offset:         1524
        .size:           4
        .value_kind:     hidden_block_count_y
      - .offset:         1528
        .size:           4
        .value_kind:     hidden_block_count_z
      - .offset:         1532
        .size:           2
        .value_kind:     hidden_group_size_x
      - .offset:         1534
        .size:           2
        .value_kind:     hidden_group_size_y
      - .offset:         1536
        .size:           2
        .value_kind:     hidden_group_size_z
      - .offset:         1538
        .size:           2
        .value_kind:     hidden_remainder_x
      - .offset:         1540
        .size:           2
        .value_kind:     hidden_remainder_y
      - .offset:         1542
        .size:           2
        .value_kind:     hidden_remainder_z
      - .offset:         1560
        .size:           8
        .value_kind:     hidden_global_offset_x
      - .offset:         1568
        .size:           8
        .value_kind:     hidden_global_offset_y
      - .offset:         1576
        .size:           8
        .value_kind:     hidden_global_offset_z
      - .offset:         1584
        .size:           2
        .value_kind:     hidden_grid_dims
    .group_segment_fixed_size: 0
    .kernarg_segment_align: 8
    .kernarg_segment_size: 1776
    .language:       OpenCL C
    .language_version:
      - 2
      - 0
    .max_flat_workgroup_size: 512
    .name:           _ZN2at6native12_GLOBAL__N_16kernel16gru_cell_forwardIN3c104HalfEfiLi2EEEvNS_4cuda6detail10TensorInfoIT_T1_EESB_SB_SB_SB_SB_SB_SA_SA_
    .private_segment_fixed_size: 0
    .sgpr_count:     58
    .sgpr_spill_count: 0
    .symbol:         _ZN2at6native12_GLOBAL__N_16kernel16gru_cell_forwardIN3c104HalfEfiLi2EEEvNS_4cuda6detail10TensorInfoIT_T1_EESB_SB_SB_SB_SB_SB_SA_SA_.kd
    .uniform_work_group_size: 1
    .uses_dynamic_stack: false
    .vgpr_count:     44
    .vgpr_spill_count: 0
    .wavefront_size: 32
    .workgroup_processor_mode: 1
  - .args:
      - .offset:         0
        .size:           416
        .value_kind:     by_value
      - .offset:         416
        .size:           416
        .value_kind:     by_value
      - .offset:         832
        .size:           416
        .value_kind:     by_value
      - .offset:         1248
        .size:           416
        .value_kind:     by_value
      - .offset:         1664
        .size:           416
        .value_kind:     by_value
      - .offset:         2080
        .size:           416
        .value_kind:     by_value
      - .offset:         2496
        .size:           416
        .value_kind:     by_value
      - .offset:         2912
        .size:           8
        .value_kind:     by_value
      - .offset:         2920
        .size:           8
        .value_kind:     by_value
      - .offset:         2928
        .size:           4
        .value_kind:     hidden_block_count_x
      - .offset:         2932
        .size:           4
        .value_kind:     hidden_block_count_y
      - .offset:         2936
        .size:           4
        .value_kind:     hidden_block_count_z
      - .offset:         2940
        .size:           2
        .value_kind:     hidden_group_size_x
      - .offset:         2942
        .size:           2
        .value_kind:     hidden_group_size_y
      - .offset:         2944
        .size:           2
        .value_kind:     hidden_group_size_z
      - .offset:         2946
        .size:           2
        .value_kind:     hidden_remainder_x
      - .offset:         2948
        .size:           2
        .value_kind:     hidden_remainder_y
      - .offset:         2950
        .size:           2
        .value_kind:     hidden_remainder_z
      - .offset:         2968
        .size:           8
        .value_kind:     hidden_global_offset_x
      - .offset:         2976
        .size:           8
        .value_kind:     hidden_global_offset_y
      - .offset:         2984
        .size:           8
        .value_kind:     hidden_global_offset_z
      - .offset:         2992
        .size:           2
        .value_kind:     hidden_grid_dims
    .group_segment_fixed_size: 0
    .kernarg_segment_align: 8
    .kernarg_segment_size: 3184
    .language:       OpenCL C
    .language_version:
      - 2
      - 0
    .max_flat_workgroup_size: 512
    .name:           _ZN2at6native12_GLOBAL__N_16kernel16gru_cell_forwardIN3c104HalfEflLi1EEEvNS_4cuda6detail10TensorInfoIT_T1_EESB_SB_SB_SB_SB_SB_SA_SA_
    .private_segment_fixed_size: 0
    .sgpr_count:     47
    .sgpr_spill_count: 0
    .symbol:         _ZN2at6native12_GLOBAL__N_16kernel16gru_cell_forwardIN3c104HalfEflLi1EEEvNS_4cuda6detail10TensorInfoIT_T1_EESB_SB_SB_SB_SB_SB_SA_SA_.kd
    .uniform_work_group_size: 1
    .uses_dynamic_stack: false
    .vgpr_count:     39
    .vgpr_spill_count: 0
    .wavefront_size: 32
    .workgroup_processor_mode: 1
  - .args:
      - .offset:         0
        .size:           416
        .value_kind:     by_value
      - .offset:         416
        .size:           416
        .value_kind:     by_value
      - .offset:         832
        .size:           416
        .value_kind:     by_value
      - .offset:         1248
        .size:           416
        .value_kind:     by_value
      - .offset:         1664
        .size:           416
        .value_kind:     by_value
      - .offset:         2080
        .size:           416
        .value_kind:     by_value
      - .offset:         2496
        .size:           416
        .value_kind:     by_value
      - .offset:         2912
        .size:           8
        .value_kind:     by_value
      - .offset:         2920
        .size:           8
        .value_kind:     by_value
      - .offset:         2928
        .size:           4
        .value_kind:     hidden_block_count_x
      - .offset:         2932
        .size:           4
        .value_kind:     hidden_block_count_y
      - .offset:         2936
        .size:           4
        .value_kind:     hidden_block_count_z
      - .offset:         2940
        .size:           2
        .value_kind:     hidden_group_size_x
      - .offset:         2942
        .size:           2
        .value_kind:     hidden_group_size_y
      - .offset:         2944
        .size:           2
        .value_kind:     hidden_group_size_z
      - .offset:         2946
        .size:           2
        .value_kind:     hidden_remainder_x
      - .offset:         2948
        .size:           2
        .value_kind:     hidden_remainder_y
      - .offset:         2950
        .size:           2
        .value_kind:     hidden_remainder_z
      - .offset:         2968
        .size:           8
        .value_kind:     hidden_global_offset_x
      - .offset:         2976
        .size:           8
        .value_kind:     hidden_global_offset_y
      - .offset:         2984
        .size:           8
        .value_kind:     hidden_global_offset_z
      - .offset:         2992
        .size:           2
        .value_kind:     hidden_grid_dims
    .group_segment_fixed_size: 0
    .kernarg_segment_align: 8
    .kernarg_segment_size: 3184
    .language:       OpenCL C
    .language_version:
      - 2
      - 0
    .max_flat_workgroup_size: 512
    .name:           _ZN2at6native12_GLOBAL__N_16kernel16gru_cell_forwardIN3c104HalfEflLi2EEEvNS_4cuda6detail10TensorInfoIT_T1_EESB_SB_SB_SB_SB_SB_SA_SA_
    .private_segment_fixed_size: 0
    .sgpr_count:     75
    .sgpr_spill_count: 0
    .symbol:         _ZN2at6native12_GLOBAL__N_16kernel16gru_cell_forwardIN3c104HalfEflLi2EEEvNS_4cuda6detail10TensorInfoIT_T1_EESB_SB_SB_SB_SB_SB_SA_SA_.kd
    .uniform_work_group_size: 1
    .uses_dynamic_stack: false
    .vgpr_count:     35
    .vgpr_spill_count: 0
    .wavefront_size: 32
    .workgroup_processor_mode: 1
  - .args:
      - .offset:         0
        .size:           216
        .value_kind:     by_value
      - .offset:         216
        .size:           216
        .value_kind:     by_value
      - .offset:         432
        .size:           216
        .value_kind:     by_value
      - .offset:         648
        .size:           216
        .value_kind:     by_value
      - .offset:         864
        .size:           216
        .value_kind:     by_value
      - .offset:         1080
        .size:           216
        .value_kind:     by_value
      - .offset:         1296
        .size:           216
        .value_kind:     by_value
      - .offset:         1512
        .size:           4
        .value_kind:     by_value
      - .offset:         1516
        .size:           4
        .value_kind:     by_value
      - .offset:         1520
        .size:           4
        .value_kind:     hidden_block_count_x
      - .offset:         1524
        .size:           4
        .value_kind:     hidden_block_count_y
      - .offset:         1528
        .size:           4
        .value_kind:     hidden_block_count_z
      - .offset:         1532
        .size:           2
        .value_kind:     hidden_group_size_x
      - .offset:         1534
        .size:           2
        .value_kind:     hidden_group_size_y
      - .offset:         1536
        .size:           2
        .value_kind:     hidden_group_size_z
      - .offset:         1538
        .size:           2
        .value_kind:     hidden_remainder_x
      - .offset:         1540
        .size:           2
        .value_kind:     hidden_remainder_y
      - .offset:         1542
        .size:           2
        .value_kind:     hidden_remainder_z
      - .offset:         1560
        .size:           8
        .value_kind:     hidden_global_offset_x
      - .offset:         1568
        .size:           8
        .value_kind:     hidden_global_offset_y
      - .offset:         1576
        .size:           8
        .value_kind:     hidden_global_offset_z
      - .offset:         1584
        .size:           2
        .value_kind:     hidden_grid_dims
    .group_segment_fixed_size: 0
    .kernarg_segment_align: 8
    .kernarg_segment_size: 1776
    .language:       OpenCL C
    .language_version:
      - 2
      - 0
    .max_flat_workgroup_size: 512
    .name:           _ZN2at6native12_GLOBAL__N_16kernel16gru_cell_forwardIN3c108BFloat16EfiLi1EEEvNS_4cuda6detail10TensorInfoIT_T1_EESB_SB_SB_SB_SB_SB_SA_SA_
    .private_segment_fixed_size: 0
    .sgpr_count:     37
    .sgpr_spill_count: 0
    .symbol:         _ZN2at6native12_GLOBAL__N_16kernel16gru_cell_forwardIN3c108BFloat16EfiLi1EEEvNS_4cuda6detail10TensorInfoIT_T1_EESB_SB_SB_SB_SB_SB_SA_SA_.kd
    .uniform_work_group_size: 1
    .uses_dynamic_stack: false
    .vgpr_count:     30
    .vgpr_spill_count: 0
    .wavefront_size: 32
    .workgroup_processor_mode: 1
  - .args:
      - .offset:         0
        .size:           216
        .value_kind:     by_value
      - .offset:         216
        .size:           216
        .value_kind:     by_value
      - .offset:         432
        .size:           216
        .value_kind:     by_value
      - .offset:         648
        .size:           216
        .value_kind:     by_value
      - .offset:         864
        .size:           216
        .value_kind:     by_value
      - .offset:         1080
        .size:           216
        .value_kind:     by_value
      - .offset:         1296
        .size:           216
        .value_kind:     by_value
      - .offset:         1512
        .size:           4
        .value_kind:     by_value
      - .offset:         1516
        .size:           4
        .value_kind:     by_value
      - .offset:         1520
        .size:           4
        .value_kind:     hidden_block_count_x
      - .offset:         1524
        .size:           4
        .value_kind:     hidden_block_count_y
      - .offset:         1528
        .size:           4
        .value_kind:     hidden_block_count_z
      - .offset:         1532
        .size:           2
        .value_kind:     hidden_group_size_x
      - .offset:         1534
        .size:           2
        .value_kind:     hidden_group_size_y
      - .offset:         1536
        .size:           2
        .value_kind:     hidden_group_size_z
      - .offset:         1538
        .size:           2
        .value_kind:     hidden_remainder_x
      - .offset:         1540
        .size:           2
        .value_kind:     hidden_remainder_y
      - .offset:         1542
        .size:           2
        .value_kind:     hidden_remainder_z
      - .offset:         1560
        .size:           8
        .value_kind:     hidden_global_offset_x
      - .offset:         1568
        .size:           8
        .value_kind:     hidden_global_offset_y
      - .offset:         1576
        .size:           8
        .value_kind:     hidden_global_offset_z
      - .offset:         1584
        .size:           2
        .value_kind:     hidden_grid_dims
    .group_segment_fixed_size: 0
    .kernarg_segment_align: 8
    .kernarg_segment_size: 1776
    .language:       OpenCL C
    .language_version:
      - 2
      - 0
    .max_flat_workgroup_size: 512
    .name:           _ZN2at6native12_GLOBAL__N_16kernel16gru_cell_forwardIN3c108BFloat16EfiLi2EEEvNS_4cuda6detail10TensorInfoIT_T1_EESB_SB_SB_SB_SB_SB_SA_SA_
    .private_segment_fixed_size: 0
    .sgpr_count:     58
    .sgpr_spill_count: 0
    .symbol:         _ZN2at6native12_GLOBAL__N_16kernel16gru_cell_forwardIN3c108BFloat16EfiLi2EEEvNS_4cuda6detail10TensorInfoIT_T1_EESB_SB_SB_SB_SB_SB_SA_SA_.kd
    .uniform_work_group_size: 1
    .uses_dynamic_stack: false
    .vgpr_count:     44
    .vgpr_spill_count: 0
    .wavefront_size: 32
    .workgroup_processor_mode: 1
  - .args:
      - .offset:         0
        .size:           416
        .value_kind:     by_value
      - .offset:         416
        .size:           416
        .value_kind:     by_value
      - .offset:         832
        .size:           416
        .value_kind:     by_value
      - .offset:         1248
        .size:           416
        .value_kind:     by_value
      - .offset:         1664
        .size:           416
        .value_kind:     by_value
      - .offset:         2080
        .size:           416
        .value_kind:     by_value
      - .offset:         2496
        .size:           416
        .value_kind:     by_value
      - .offset:         2912
        .size:           8
        .value_kind:     by_value
      - .offset:         2920
        .size:           8
        .value_kind:     by_value
      - .offset:         2928
        .size:           4
        .value_kind:     hidden_block_count_x
      - .offset:         2932
        .size:           4
        .value_kind:     hidden_block_count_y
      - .offset:         2936
        .size:           4
        .value_kind:     hidden_block_count_z
      - .offset:         2940
        .size:           2
        .value_kind:     hidden_group_size_x
      - .offset:         2942
        .size:           2
        .value_kind:     hidden_group_size_y
      - .offset:         2944
        .size:           2
        .value_kind:     hidden_group_size_z
      - .offset:         2946
        .size:           2
        .value_kind:     hidden_remainder_x
      - .offset:         2948
        .size:           2
        .value_kind:     hidden_remainder_y
      - .offset:         2950
        .size:           2
        .value_kind:     hidden_remainder_z
      - .offset:         2968
        .size:           8
        .value_kind:     hidden_global_offset_x
      - .offset:         2976
        .size:           8
        .value_kind:     hidden_global_offset_y
      - .offset:         2984
        .size:           8
        .value_kind:     hidden_global_offset_z
      - .offset:         2992
        .size:           2
        .value_kind:     hidden_grid_dims
    .group_segment_fixed_size: 0
    .kernarg_segment_align: 8
    .kernarg_segment_size: 3184
    .language:       OpenCL C
    .language_version:
      - 2
      - 0
    .max_flat_workgroup_size: 512
    .name:           _ZN2at6native12_GLOBAL__N_16kernel16gru_cell_forwardIN3c108BFloat16EflLi1EEEvNS_4cuda6detail10TensorInfoIT_T1_EESB_SB_SB_SB_SB_SB_SA_SA_
    .private_segment_fixed_size: 0
    .sgpr_count:     47
    .sgpr_spill_count: 0
    .symbol:         _ZN2at6native12_GLOBAL__N_16kernel16gru_cell_forwardIN3c108BFloat16EflLi1EEEvNS_4cuda6detail10TensorInfoIT_T1_EESB_SB_SB_SB_SB_SB_SA_SA_.kd
    .uniform_work_group_size: 1
    .uses_dynamic_stack: false
    .vgpr_count:     42
    .vgpr_spill_count: 0
    .wavefront_size: 32
    .workgroup_processor_mode: 1
  - .args:
      - .offset:         0
        .size:           416
        .value_kind:     by_value
      - .offset:         416
        .size:           416
        .value_kind:     by_value
      - .offset:         832
        .size:           416
        .value_kind:     by_value
      - .offset:         1248
        .size:           416
        .value_kind:     by_value
      - .offset:         1664
        .size:           416
        .value_kind:     by_value
      - .offset:         2080
        .size:           416
        .value_kind:     by_value
      - .offset:         2496
        .size:           416
        .value_kind:     by_value
      - .offset:         2912
        .size:           8
        .value_kind:     by_value
      - .offset:         2920
        .size:           8
        .value_kind:     by_value
      - .offset:         2928
        .size:           4
        .value_kind:     hidden_block_count_x
      - .offset:         2932
        .size:           4
        .value_kind:     hidden_block_count_y
      - .offset:         2936
        .size:           4
        .value_kind:     hidden_block_count_z
      - .offset:         2940
        .size:           2
        .value_kind:     hidden_group_size_x
      - .offset:         2942
        .size:           2
        .value_kind:     hidden_group_size_y
      - .offset:         2944
        .size:           2
        .value_kind:     hidden_group_size_z
      - .offset:         2946
        .size:           2
        .value_kind:     hidden_remainder_x
      - .offset:         2948
        .size:           2
        .value_kind:     hidden_remainder_y
      - .offset:         2950
        .size:           2
        .value_kind:     hidden_remainder_z
      - .offset:         2968
        .size:           8
        .value_kind:     hidden_global_offset_x
      - .offset:         2976
        .size:           8
        .value_kind:     hidden_global_offset_y
      - .offset:         2984
        .size:           8
        .value_kind:     hidden_global_offset_z
      - .offset:         2992
        .size:           2
        .value_kind:     hidden_grid_dims
    .group_segment_fixed_size: 0
    .kernarg_segment_align: 8
    .kernarg_segment_size: 3184
    .language:       OpenCL C
    .language_version:
      - 2
      - 0
    .max_flat_workgroup_size: 512
    .name:           _ZN2at6native12_GLOBAL__N_16kernel16gru_cell_forwardIN3c108BFloat16EflLi2EEEvNS_4cuda6detail10TensorInfoIT_T1_EESB_SB_SB_SB_SB_SB_SA_SA_
    .private_segment_fixed_size: 0
    .sgpr_count:     75
    .sgpr_spill_count: 0
    .symbol:         _ZN2at6native12_GLOBAL__N_16kernel16gru_cell_forwardIN3c108BFloat16EflLi2EEEvNS_4cuda6detail10TensorInfoIT_T1_EESB_SB_SB_SB_SB_SB_SA_SA_.kd
    .uniform_work_group_size: 1
    .uses_dynamic_stack: false
    .vgpr_count:     35
    .vgpr_spill_count: 0
    .wavefront_size: 32
    .workgroup_processor_mode: 1
  - .args:
      - .offset:         0
        .size:           216
        .value_kind:     by_value
      - .offset:         216
        .size:           216
        .value_kind:     by_value
      - .offset:         432
        .size:           216
        .value_kind:     by_value
      - .offset:         648
        .size:           216
        .value_kind:     by_value
      - .offset:         864
        .size:           216
        .value_kind:     by_value
      - .offset:         1080
        .size:           4
        .value_kind:     by_value
      - .offset:         1084
        .size:           4
        .value_kind:     by_value
      - .offset:         1088
        .size:           4
        .value_kind:     hidden_block_count_x
      - .offset:         1092
        .size:           4
        .value_kind:     hidden_block_count_y
      - .offset:         1096
        .size:           4
        .value_kind:     hidden_block_count_z
      - .offset:         1100
        .size:           2
        .value_kind:     hidden_group_size_x
      - .offset:         1102
        .size:           2
        .value_kind:     hidden_group_size_y
      - .offset:         1104
        .size:           2
        .value_kind:     hidden_group_size_z
      - .offset:         1106
        .size:           2
        .value_kind:     hidden_remainder_x
      - .offset:         1108
        .size:           2
        .value_kind:     hidden_remainder_y
      - .offset:         1110
        .size:           2
        .value_kind:     hidden_remainder_z
      - .offset:         1128
        .size:           8
        .value_kind:     hidden_global_offset_x
      - .offset:         1136
        .size:           8
        .value_kind:     hidden_global_offset_y
      - .offset:         1144
        .size:           8
        .value_kind:     hidden_global_offset_z
      - .offset:         1152
        .size:           2
        .value_kind:     hidden_grid_dims
    .group_segment_fixed_size: 0
    .kernarg_segment_align: 8
    .kernarg_segment_size: 1344
    .language:       OpenCL C
    .language_version:
      - 2
      - 0
    .max_flat_workgroup_size: 512
    .name:           _ZN2at6native12_GLOBAL__N_16kernel17gru_cell_backwardIddiLi1EEEvNS_4cuda6detail10TensorInfoIT_T1_EES9_S9_S9_S9_S8_S8_
    .private_segment_fixed_size: 0
    .sgpr_count:     25
    .sgpr_spill_count: 0
    .symbol:         _ZN2at6native12_GLOBAL__N_16kernel17gru_cell_backwardIddiLi1EEEvNS_4cuda6detail10TensorInfoIT_T1_EES9_S9_S9_S9_S8_S8_.kd
    .uniform_work_group_size: 1
    .uses_dynamic_stack: false
    .vgpr_count:     32
    .vgpr_spill_count: 0
    .wavefront_size: 32
    .workgroup_processor_mode: 1
  - .args:
      - .offset:         0
        .size:           216
        .value_kind:     by_value
      - .offset:         216
        .size:           216
        .value_kind:     by_value
      - .offset:         432
        .size:           216
        .value_kind:     by_value
      - .offset:         648
        .size:           216
        .value_kind:     by_value
      - .offset:         864
        .size:           216
        .value_kind:     by_value
      - .offset:         1080
        .size:           4
        .value_kind:     by_value
      - .offset:         1084
        .size:           4
        .value_kind:     by_value
      - .offset:         1088
        .size:           4
        .value_kind:     hidden_block_count_x
      - .offset:         1092
        .size:           4
        .value_kind:     hidden_block_count_y
      - .offset:         1096
        .size:           4
        .value_kind:     hidden_block_count_z
      - .offset:         1100
        .size:           2
        .value_kind:     hidden_group_size_x
      - .offset:         1102
        .size:           2
        .value_kind:     hidden_group_size_y
      - .offset:         1104
        .size:           2
        .value_kind:     hidden_group_size_z
      - .offset:         1106
        .size:           2
        .value_kind:     hidden_remainder_x
      - .offset:         1108
        .size:           2
        .value_kind:     hidden_remainder_y
      - .offset:         1110
        .size:           2
        .value_kind:     hidden_remainder_z
      - .offset:         1128
        .size:           8
        .value_kind:     hidden_global_offset_x
      - .offset:         1136
        .size:           8
        .value_kind:     hidden_global_offset_y
      - .offset:         1144
        .size:           8
        .value_kind:     hidden_global_offset_z
      - .offset:         1152
        .size:           2
        .value_kind:     hidden_grid_dims
    .group_segment_fixed_size: 0
    .kernarg_segment_align: 8
    .kernarg_segment_size: 1344
    .language:       OpenCL C
    .language_version:
      - 2
      - 0
    .max_flat_workgroup_size: 512
    .name:           _ZN2at6native12_GLOBAL__N_16kernel17gru_cell_backwardIddiLi2EEEvNS_4cuda6detail10TensorInfoIT_T1_EES9_S9_S9_S9_S8_S8_
    .private_segment_fixed_size: 0
    .sgpr_count:     49
    .sgpr_spill_count: 0
    .symbol:         _ZN2at6native12_GLOBAL__N_16kernel17gru_cell_backwardIddiLi2EEEvNS_4cuda6detail10TensorInfoIT_T1_EES9_S9_S9_S9_S8_S8_.kd
    .uniform_work_group_size: 1
    .uses_dynamic_stack: false
    .vgpr_count:     57
    .vgpr_spill_count: 0
    .wavefront_size: 32
    .workgroup_processor_mode: 1
  - .args:
      - .offset:         0
        .size:           416
        .value_kind:     by_value
      - .offset:         416
        .size:           416
        .value_kind:     by_value
      - .offset:         832
        .size:           416
        .value_kind:     by_value
      - .offset:         1248
        .size:           416
        .value_kind:     by_value
      - .offset:         1664
        .size:           416
        .value_kind:     by_value
      - .offset:         2080
        .size:           8
        .value_kind:     by_value
      - .offset:         2088
        .size:           8
        .value_kind:     by_value
      - .offset:         2096
        .size:           4
        .value_kind:     hidden_block_count_x
      - .offset:         2100
        .size:           4
        .value_kind:     hidden_block_count_y
      - .offset:         2104
        .size:           4
        .value_kind:     hidden_block_count_z
      - .offset:         2108
        .size:           2
        .value_kind:     hidden_group_size_x
      - .offset:         2110
        .size:           2
        .value_kind:     hidden_group_size_y
      - .offset:         2112
        .size:           2
        .value_kind:     hidden_group_size_z
      - .offset:         2114
        .size:           2
        .value_kind:     hidden_remainder_x
      - .offset:         2116
        .size:           2
        .value_kind:     hidden_remainder_y
      - .offset:         2118
        .size:           2
        .value_kind:     hidden_remainder_z
      - .offset:         2136
        .size:           8
        .value_kind:     hidden_global_offset_x
      - .offset:         2144
        .size:           8
        .value_kind:     hidden_global_offset_y
      - .offset:         2152
        .size:           8
        .value_kind:     hidden_global_offset_z
      - .offset:         2160
        .size:           2
        .value_kind:     hidden_grid_dims
    .group_segment_fixed_size: 0
    .kernarg_segment_align: 8
    .kernarg_segment_size: 2352
    .language:       OpenCL C
    .language_version:
      - 2
      - 0
    .max_flat_workgroup_size: 512
    .name:           _ZN2at6native12_GLOBAL__N_16kernel17gru_cell_backwardIddlLi1EEEvNS_4cuda6detail10TensorInfoIT_T1_EES9_S9_S9_S9_S8_S8_
    .private_segment_fixed_size: 0
    .sgpr_count:     38
    .sgpr_spill_count: 0
    .symbol:         _ZN2at6native12_GLOBAL__N_16kernel17gru_cell_backwardIddlLi1EEEvNS_4cuda6detail10TensorInfoIT_T1_EES9_S9_S9_S9_S8_S8_.kd
    .uniform_work_group_size: 1
    .uses_dynamic_stack: false
    .vgpr_count:     43
    .vgpr_spill_count: 0
    .wavefront_size: 32
    .workgroup_processor_mode: 1
  - .args:
      - .offset:         0
        .size:           416
        .value_kind:     by_value
      - .offset:         416
        .size:           416
        .value_kind:     by_value
      - .offset:         832
        .size:           416
        .value_kind:     by_value
      - .offset:         1248
        .size:           416
        .value_kind:     by_value
      - .offset:         1664
        .size:           416
        .value_kind:     by_value
      - .offset:         2080
        .size:           8
        .value_kind:     by_value
      - .offset:         2088
        .size:           8
        .value_kind:     by_value
      - .offset:         2096
        .size:           4
        .value_kind:     hidden_block_count_x
      - .offset:         2100
        .size:           4
        .value_kind:     hidden_block_count_y
      - .offset:         2104
        .size:           4
        .value_kind:     hidden_block_count_z
      - .offset:         2108
        .size:           2
        .value_kind:     hidden_group_size_x
      - .offset:         2110
        .size:           2
        .value_kind:     hidden_group_size_y
      - .offset:         2112
        .size:           2
        .value_kind:     hidden_group_size_z
      - .offset:         2114
        .size:           2
        .value_kind:     hidden_remainder_x
      - .offset:         2116
        .size:           2
        .value_kind:     hidden_remainder_y
      - .offset:         2118
        .size:           2
        .value_kind:     hidden_remainder_z
      - .offset:         2136
        .size:           8
        .value_kind:     hidden_global_offset_x
      - .offset:         2144
        .size:           8
        .value_kind:     hidden_global_offset_y
      - .offset:         2152
        .size:           8
        .value_kind:     hidden_global_offset_z
      - .offset:         2160
        .size:           2
        .value_kind:     hidden_grid_dims
    .group_segment_fixed_size: 0
    .kernarg_segment_align: 8
    .kernarg_segment_size: 2352
    .language:       OpenCL C
    .language_version:
      - 2
      - 0
    .max_flat_workgroup_size: 512
    .name:           _ZN2at6native12_GLOBAL__N_16kernel17gru_cell_backwardIddlLi2EEEvNS_4cuda6detail10TensorInfoIT_T1_EES9_S9_S9_S9_S8_S8_
    .private_segment_fixed_size: 0
    .sgpr_count:     64
    .sgpr_spill_count: 0
    .symbol:         _ZN2at6native12_GLOBAL__N_16kernel17gru_cell_backwardIddlLi2EEEvNS_4cuda6detail10TensorInfoIT_T1_EES9_S9_S9_S9_S8_S8_.kd
    .uniform_work_group_size: 1
    .uses_dynamic_stack: false
    .vgpr_count:     45
    .vgpr_spill_count: 0
    .wavefront_size: 32
    .workgroup_processor_mode: 1
  - .args:
      - .offset:         0
        .size:           216
        .value_kind:     by_value
      - .offset:         216
        .size:           216
        .value_kind:     by_value
      - .offset:         432
        .size:           216
        .value_kind:     by_value
      - .offset:         648
        .size:           216
        .value_kind:     by_value
      - .offset:         864
        .size:           216
        .value_kind:     by_value
      - .offset:         1080
        .size:           4
        .value_kind:     by_value
      - .offset:         1084
        .size:           4
        .value_kind:     by_value
      - .offset:         1088
        .size:           4
        .value_kind:     hidden_block_count_x
      - .offset:         1092
        .size:           4
        .value_kind:     hidden_block_count_y
      - .offset:         1096
        .size:           4
        .value_kind:     hidden_block_count_z
      - .offset:         1100
        .size:           2
        .value_kind:     hidden_group_size_x
      - .offset:         1102
        .size:           2
        .value_kind:     hidden_group_size_y
      - .offset:         1104
        .size:           2
        .value_kind:     hidden_group_size_z
      - .offset:         1106
        .size:           2
        .value_kind:     hidden_remainder_x
      - .offset:         1108
        .size:           2
        .value_kind:     hidden_remainder_y
      - .offset:         1110
        .size:           2
        .value_kind:     hidden_remainder_z
      - .offset:         1128
        .size:           8
        .value_kind:     hidden_global_offset_x
      - .offset:         1136
        .size:           8
        .value_kind:     hidden_global_offset_y
      - .offset:         1144
        .size:           8
        .value_kind:     hidden_global_offset_z
      - .offset:         1152
        .size:           2
        .value_kind:     hidden_grid_dims
    .group_segment_fixed_size: 0
    .kernarg_segment_align: 8
    .kernarg_segment_size: 1344
    .language:       OpenCL C
    .language_version:
      - 2
      - 0
    .max_flat_workgroup_size: 512
    .name:           _ZN2at6native12_GLOBAL__N_16kernel17gru_cell_backwardIffiLi1EEEvNS_4cuda6detail10TensorInfoIT_T1_EES9_S9_S9_S9_S8_S8_
    .private_segment_fixed_size: 0
    .sgpr_count:     25
    .sgpr_spill_count: 0
    .symbol:         _ZN2at6native12_GLOBAL__N_16kernel17gru_cell_backwardIffiLi1EEEvNS_4cuda6detail10TensorInfoIT_T1_EES9_S9_S9_S9_S8_S8_.kd
    .uniform_work_group_size: 1
    .uses_dynamic_stack: false
    .vgpr_count:     28
    .vgpr_spill_count: 0
    .wavefront_size: 32
    .workgroup_processor_mode: 1
  - .args:
      - .offset:         0
        .size:           216
        .value_kind:     by_value
      - .offset:         216
        .size:           216
        .value_kind:     by_value
      - .offset:         432
        .size:           216
        .value_kind:     by_value
      - .offset:         648
        .size:           216
        .value_kind:     by_value
      - .offset:         864
        .size:           216
        .value_kind:     by_value
      - .offset:         1080
        .size:           4
        .value_kind:     by_value
      - .offset:         1084
        .size:           4
        .value_kind:     by_value
      - .offset:         1088
        .size:           4
        .value_kind:     hidden_block_count_x
      - .offset:         1092
        .size:           4
        .value_kind:     hidden_block_count_y
      - .offset:         1096
        .size:           4
        .value_kind:     hidden_block_count_z
      - .offset:         1100
        .size:           2
        .value_kind:     hidden_group_size_x
      - .offset:         1102
        .size:           2
        .value_kind:     hidden_group_size_y
      - .offset:         1104
        .size:           2
        .value_kind:     hidden_group_size_z
      - .offset:         1106
        .size:           2
        .value_kind:     hidden_remainder_x
      - .offset:         1108
        .size:           2
        .value_kind:     hidden_remainder_y
      - .offset:         1110
        .size:           2
        .value_kind:     hidden_remainder_z
      - .offset:         1128
        .size:           8
        .value_kind:     hidden_global_offset_x
      - .offset:         1136
        .size:           8
        .value_kind:     hidden_global_offset_y
      - .offset:         1144
        .size:           8
        .value_kind:     hidden_global_offset_z
      - .offset:         1152
        .size:           2
        .value_kind:     hidden_grid_dims
    .group_segment_fixed_size: 0
    .kernarg_segment_align: 8
    .kernarg_segment_size: 1344
    .language:       OpenCL C
    .language_version:
      - 2
      - 0
    .max_flat_workgroup_size: 512
    .name:           _ZN2at6native12_GLOBAL__N_16kernel17gru_cell_backwardIffiLi2EEEvNS_4cuda6detail10TensorInfoIT_T1_EES9_S9_S9_S9_S8_S8_
    .private_segment_fixed_size: 0
    .sgpr_count:     49
    .sgpr_spill_count: 0
    .symbol:         _ZN2at6native12_GLOBAL__N_16kernel17gru_cell_backwardIffiLi2EEEvNS_4cuda6detail10TensorInfoIT_T1_EES9_S9_S9_S9_S8_S8_.kd
    .uniform_work_group_size: 1
    .uses_dynamic_stack: false
    .vgpr_count:     45
    .vgpr_spill_count: 0
    .wavefront_size: 32
    .workgroup_processor_mode: 1
  - .args:
      - .offset:         0
        .size:           416
        .value_kind:     by_value
      - .offset:         416
        .size:           416
        .value_kind:     by_value
      - .offset:         832
        .size:           416
        .value_kind:     by_value
      - .offset:         1248
        .size:           416
        .value_kind:     by_value
      - .offset:         1664
        .size:           416
        .value_kind:     by_value
      - .offset:         2080
        .size:           8
        .value_kind:     by_value
      - .offset:         2088
        .size:           8
        .value_kind:     by_value
      - .offset:         2096
        .size:           4
        .value_kind:     hidden_block_count_x
      - .offset:         2100
        .size:           4
        .value_kind:     hidden_block_count_y
      - .offset:         2104
        .size:           4
        .value_kind:     hidden_block_count_z
      - .offset:         2108
        .size:           2
        .value_kind:     hidden_group_size_x
      - .offset:         2110
        .size:           2
        .value_kind:     hidden_group_size_y
      - .offset:         2112
        .size:           2
        .value_kind:     hidden_group_size_z
      - .offset:         2114
        .size:           2
        .value_kind:     hidden_remainder_x
      - .offset:         2116
        .size:           2
        .value_kind:     hidden_remainder_y
      - .offset:         2118
        .size:           2
        .value_kind:     hidden_remainder_z
      - .offset:         2136
        .size:           8
        .value_kind:     hidden_global_offset_x
      - .offset:         2144
        .size:           8
        .value_kind:     hidden_global_offset_y
      - .offset:         2152
        .size:           8
        .value_kind:     hidden_global_offset_z
      - .offset:         2160
        .size:           2
        .value_kind:     hidden_grid_dims
    .group_segment_fixed_size: 0
    .kernarg_segment_align: 8
    .kernarg_segment_size: 2352
    .language:       OpenCL C
    .language_version:
      - 2
      - 0
    .max_flat_workgroup_size: 512
    .name:           _ZN2at6native12_GLOBAL__N_16kernel17gru_cell_backwardIfflLi1EEEvNS_4cuda6detail10TensorInfoIT_T1_EES9_S9_S9_S9_S8_S8_
    .private_segment_fixed_size: 0
    .sgpr_count:     38
    .sgpr_spill_count: 0
    .symbol:         _ZN2at6native12_GLOBAL__N_16kernel17gru_cell_backwardIfflLi1EEEvNS_4cuda6detail10TensorInfoIT_T1_EES9_S9_S9_S9_S8_S8_.kd
    .uniform_work_group_size: 1
    .uses_dynamic_stack: false
    .vgpr_count:     37
    .vgpr_spill_count: 0
    .wavefront_size: 32
    .workgroup_processor_mode: 1
  - .args:
      - .offset:         0
        .size:           416
        .value_kind:     by_value
      - .offset:         416
        .size:           416
        .value_kind:     by_value
      - .offset:         832
        .size:           416
        .value_kind:     by_value
      - .offset:         1248
        .size:           416
        .value_kind:     by_value
      - .offset:         1664
        .size:           416
        .value_kind:     by_value
      - .offset:         2080
        .size:           8
        .value_kind:     by_value
      - .offset:         2088
        .size:           8
        .value_kind:     by_value
      - .offset:         2096
        .size:           4
        .value_kind:     hidden_block_count_x
      - .offset:         2100
        .size:           4
        .value_kind:     hidden_block_count_y
      - .offset:         2104
        .size:           4
        .value_kind:     hidden_block_count_z
      - .offset:         2108
        .size:           2
        .value_kind:     hidden_group_size_x
      - .offset:         2110
        .size:           2
        .value_kind:     hidden_group_size_y
      - .offset:         2112
        .size:           2
        .value_kind:     hidden_group_size_z
      - .offset:         2114
        .size:           2
        .value_kind:     hidden_remainder_x
      - .offset:         2116
        .size:           2
        .value_kind:     hidden_remainder_y
      - .offset:         2118
        .size:           2
        .value_kind:     hidden_remainder_z
      - .offset:         2136
        .size:           8
        .value_kind:     hidden_global_offset_x
      - .offset:         2144
        .size:           8
        .value_kind:     hidden_global_offset_y
      - .offset:         2152
        .size:           8
        .value_kind:     hidden_global_offset_z
      - .offset:         2160
        .size:           2
        .value_kind:     hidden_grid_dims
    .group_segment_fixed_size: 0
    .kernarg_segment_align: 8
    .kernarg_segment_size: 2352
    .language:       OpenCL C
    .language_version:
      - 2
      - 0
    .max_flat_workgroup_size: 512
    .name:           _ZN2at6native12_GLOBAL__N_16kernel17gru_cell_backwardIfflLi2EEEvNS_4cuda6detail10TensorInfoIT_T1_EES9_S9_S9_S9_S8_S8_
    .private_segment_fixed_size: 0
    .sgpr_count:     64
    .sgpr_spill_count: 0
    .symbol:         _ZN2at6native12_GLOBAL__N_16kernel17gru_cell_backwardIfflLi2EEEvNS_4cuda6detail10TensorInfoIT_T1_EES9_S9_S9_S9_S8_S8_.kd
    .uniform_work_group_size: 1
    .uses_dynamic_stack: false
    .vgpr_count:     37
    .vgpr_spill_count: 0
    .wavefront_size: 32
    .workgroup_processor_mode: 1
  - .args:
      - .offset:         0
        .size:           216
        .value_kind:     by_value
      - .offset:         216
        .size:           216
        .value_kind:     by_value
      - .offset:         432
        .size:           216
        .value_kind:     by_value
      - .offset:         648
        .size:           216
        .value_kind:     by_value
      - .offset:         864
        .size:           216
        .value_kind:     by_value
      - .offset:         1080
        .size:           4
        .value_kind:     by_value
      - .offset:         1084
        .size:           4
        .value_kind:     by_value
      - .offset:         1088
        .size:           4
        .value_kind:     hidden_block_count_x
      - .offset:         1092
        .size:           4
        .value_kind:     hidden_block_count_y
      - .offset:         1096
        .size:           4
        .value_kind:     hidden_block_count_z
      - .offset:         1100
        .size:           2
        .value_kind:     hidden_group_size_x
      - .offset:         1102
        .size:           2
        .value_kind:     hidden_group_size_y
      - .offset:         1104
        .size:           2
        .value_kind:     hidden_group_size_z
      - .offset:         1106
        .size:           2
        .value_kind:     hidden_remainder_x
      - .offset:         1108
        .size:           2
        .value_kind:     hidden_remainder_y
      - .offset:         1110
        .size:           2
        .value_kind:     hidden_remainder_z
      - .offset:         1128
        .size:           8
        .value_kind:     hidden_global_offset_x
      - .offset:         1136
        .size:           8
        .value_kind:     hidden_global_offset_y
      - .offset:         1144
        .size:           8
        .value_kind:     hidden_global_offset_z
      - .offset:         1152
        .size:           2
        .value_kind:     hidden_grid_dims
    .group_segment_fixed_size: 0
    .kernarg_segment_align: 8
    .kernarg_segment_size: 1344
    .language:       OpenCL C
    .language_version:
      - 2
      - 0
    .max_flat_workgroup_size: 512
    .name:           _ZN2at6native12_GLOBAL__N_16kernel17gru_cell_backwardIN3c104HalfEfiLi1EEEvNS_4cuda6detail10TensorInfoIT_T1_EESB_SB_SB_SB_SA_SA_
    .private_segment_fixed_size: 0
    .sgpr_count:     26
    .sgpr_spill_count: 0
    .symbol:         _ZN2at6native12_GLOBAL__N_16kernel17gru_cell_backwardIN3c104HalfEfiLi1EEEvNS_4cuda6detail10TensorInfoIT_T1_EESB_SB_SB_SB_SA_SA_.kd
    .uniform_work_group_size: 1
    .uses_dynamic_stack: false
    .vgpr_count:     28
    .vgpr_spill_count: 0
    .wavefront_size: 32
    .workgroup_processor_mode: 1
  - .args:
      - .offset:         0
        .size:           216
        .value_kind:     by_value
      - .offset:         216
        .size:           216
        .value_kind:     by_value
      - .offset:         432
        .size:           216
        .value_kind:     by_value
      - .offset:         648
        .size:           216
        .value_kind:     by_value
      - .offset:         864
        .size:           216
        .value_kind:     by_value
      - .offset:         1080
        .size:           4
        .value_kind:     by_value
      - .offset:         1084
        .size:           4
        .value_kind:     by_value
      - .offset:         1088
        .size:           4
        .value_kind:     hidden_block_count_x
      - .offset:         1092
        .size:           4
        .value_kind:     hidden_block_count_y
      - .offset:         1096
        .size:           4
        .value_kind:     hidden_block_count_z
      - .offset:         1100
        .size:           2
        .value_kind:     hidden_group_size_x
      - .offset:         1102
        .size:           2
        .value_kind:     hidden_group_size_y
      - .offset:         1104
        .size:           2
        .value_kind:     hidden_group_size_z
      - .offset:         1106
        .size:           2
        .value_kind:     hidden_remainder_x
      - .offset:         1108
        .size:           2
        .value_kind:     hidden_remainder_y
      - .offset:         1110
        .size:           2
        .value_kind:     hidden_remainder_z
      - .offset:         1128
        .size:           8
        .value_kind:     hidden_global_offset_x
      - .offset:         1136
        .size:           8
        .value_kind:     hidden_global_offset_y
      - .offset:         1144
        .size:           8
        .value_kind:     hidden_global_offset_z
      - .offset:         1152
        .size:           2
        .value_kind:     hidden_grid_dims
    .group_segment_fixed_size: 0
    .kernarg_segment_align: 8
    .kernarg_segment_size: 1344
    .language:       OpenCL C
    .language_version:
      - 2
      - 0
    .max_flat_workgroup_size: 512
    .name:           _ZN2at6native12_GLOBAL__N_16kernel17gru_cell_backwardIN3c104HalfEfiLi2EEEvNS_4cuda6detail10TensorInfoIT_T1_EESB_SB_SB_SB_SA_SA_
    .private_segment_fixed_size: 0
    .sgpr_count:     50
    .sgpr_spill_count: 0
    .symbol:         _ZN2at6native12_GLOBAL__N_16kernel17gru_cell_backwardIN3c104HalfEfiLi2EEEvNS_4cuda6detail10TensorInfoIT_T1_EESB_SB_SB_SB_SA_SA_.kd
    .uniform_work_group_size: 1
    .uses_dynamic_stack: false
    .vgpr_count:     45
    .vgpr_spill_count: 0
    .wavefront_size: 32
    .workgroup_processor_mode: 1
  - .args:
      - .offset:         0
        .size:           416
        .value_kind:     by_value
      - .offset:         416
        .size:           416
        .value_kind:     by_value
      - .offset:         832
        .size:           416
        .value_kind:     by_value
      - .offset:         1248
        .size:           416
        .value_kind:     by_value
      - .offset:         1664
        .size:           416
        .value_kind:     by_value
      - .offset:         2080
        .size:           8
        .value_kind:     by_value
      - .offset:         2088
        .size:           8
        .value_kind:     by_value
      - .offset:         2096
        .size:           4
        .value_kind:     hidden_block_count_x
      - .offset:         2100
        .size:           4
        .value_kind:     hidden_block_count_y
      - .offset:         2104
        .size:           4
        .value_kind:     hidden_block_count_z
      - .offset:         2108
        .size:           2
        .value_kind:     hidden_group_size_x
      - .offset:         2110
        .size:           2
        .value_kind:     hidden_group_size_y
      - .offset:         2112
        .size:           2
        .value_kind:     hidden_group_size_z
      - .offset:         2114
        .size:           2
        .value_kind:     hidden_remainder_x
      - .offset:         2116
        .size:           2
        .value_kind:     hidden_remainder_y
      - .offset:         2118
        .size:           2
        .value_kind:     hidden_remainder_z
      - .offset:         2136
        .size:           8
        .value_kind:     hidden_global_offset_x
      - .offset:         2144
        .size:           8
        .value_kind:     hidden_global_offset_y
      - .offset:         2152
        .size:           8
        .value_kind:     hidden_global_offset_z
      - .offset:         2160
        .size:           2
        .value_kind:     hidden_grid_dims
    .group_segment_fixed_size: 0
    .kernarg_segment_align: 8
    .kernarg_segment_size: 2352
    .language:       OpenCL C
    .language_version:
      - 2
      - 0
    .max_flat_workgroup_size: 512
    .name:           _ZN2at6native12_GLOBAL__N_16kernel17gru_cell_backwardIN3c104HalfEflLi1EEEvNS_4cuda6detail10TensorInfoIT_T1_EESB_SB_SB_SB_SA_SA_
    .private_segment_fixed_size: 0
    .sgpr_count:     38
    .sgpr_spill_count: 0
    .symbol:         _ZN2at6native12_GLOBAL__N_16kernel17gru_cell_backwardIN3c104HalfEflLi1EEEvNS_4cuda6detail10TensorInfoIT_T1_EESB_SB_SB_SB_SA_SA_.kd
    .uniform_work_group_size: 1
    .uses_dynamic_stack: false
    .vgpr_count:     37
    .vgpr_spill_count: 0
    .wavefront_size: 32
    .workgroup_processor_mode: 1
  - .args:
      - .offset:         0
        .size:           416
        .value_kind:     by_value
      - .offset:         416
        .size:           416
        .value_kind:     by_value
      - .offset:         832
        .size:           416
        .value_kind:     by_value
      - .offset:         1248
        .size:           416
        .value_kind:     by_value
      - .offset:         1664
        .size:           416
        .value_kind:     by_value
      - .offset:         2080
        .size:           8
        .value_kind:     by_value
      - .offset:         2088
        .size:           8
        .value_kind:     by_value
      - .offset:         2096
        .size:           4
        .value_kind:     hidden_block_count_x
      - .offset:         2100
        .size:           4
        .value_kind:     hidden_block_count_y
      - .offset:         2104
        .size:           4
        .value_kind:     hidden_block_count_z
      - .offset:         2108
        .size:           2
        .value_kind:     hidden_group_size_x
      - .offset:         2110
        .size:           2
        .value_kind:     hidden_group_size_y
      - .offset:         2112
        .size:           2
        .value_kind:     hidden_group_size_z
      - .offset:         2114
        .size:           2
        .value_kind:     hidden_remainder_x
      - .offset:         2116
        .size:           2
        .value_kind:     hidden_remainder_y
      - .offset:         2118
        .size:           2
        .value_kind:     hidden_remainder_z
      - .offset:         2136
        .size:           8
        .value_kind:     hidden_global_offset_x
      - .offset:         2144
        .size:           8
        .value_kind:     hidden_global_offset_y
      - .offset:         2152
        .size:           8
        .value_kind:     hidden_global_offset_z
      - .offset:         2160
        .size:           2
        .value_kind:     hidden_grid_dims
    .group_segment_fixed_size: 0
    .kernarg_segment_align: 8
    .kernarg_segment_size: 2352
    .language:       OpenCL C
    .language_version:
      - 2
      - 0
    .max_flat_workgroup_size: 512
    .name:           _ZN2at6native12_GLOBAL__N_16kernel17gru_cell_backwardIN3c104HalfEflLi2EEEvNS_4cuda6detail10TensorInfoIT_T1_EESB_SB_SB_SB_SA_SA_
    .private_segment_fixed_size: 0
    .sgpr_count:     65
    .sgpr_spill_count: 0
    .symbol:         _ZN2at6native12_GLOBAL__N_16kernel17gru_cell_backwardIN3c104HalfEflLi2EEEvNS_4cuda6detail10TensorInfoIT_T1_EESB_SB_SB_SB_SA_SA_.kd
    .uniform_work_group_size: 1
    .uses_dynamic_stack: false
    .vgpr_count:     39
    .vgpr_spill_count: 0
    .wavefront_size: 32
    .workgroup_processor_mode: 1
  - .args:
      - .offset:         0
        .size:           216
        .value_kind:     by_value
      - .offset:         216
        .size:           216
        .value_kind:     by_value
      - .offset:         432
        .size:           216
        .value_kind:     by_value
      - .offset:         648
        .size:           216
        .value_kind:     by_value
      - .offset:         864
        .size:           216
        .value_kind:     by_value
      - .offset:         1080
        .size:           4
        .value_kind:     by_value
      - .offset:         1084
        .size:           4
        .value_kind:     by_value
      - .offset:         1088
        .size:           4
        .value_kind:     hidden_block_count_x
      - .offset:         1092
        .size:           4
        .value_kind:     hidden_block_count_y
      - .offset:         1096
        .size:           4
        .value_kind:     hidden_block_count_z
      - .offset:         1100
        .size:           2
        .value_kind:     hidden_group_size_x
      - .offset:         1102
        .size:           2
        .value_kind:     hidden_group_size_y
      - .offset:         1104
        .size:           2
        .value_kind:     hidden_group_size_z
      - .offset:         1106
        .size:           2
        .value_kind:     hidden_remainder_x
      - .offset:         1108
        .size:           2
        .value_kind:     hidden_remainder_y
      - .offset:         1110
        .size:           2
        .value_kind:     hidden_remainder_z
      - .offset:         1128
        .size:           8
        .value_kind:     hidden_global_offset_x
      - .offset:         1136
        .size:           8
        .value_kind:     hidden_global_offset_y
      - .offset:         1144
        .size:           8
        .value_kind:     hidden_global_offset_z
      - .offset:         1152
        .size:           2
        .value_kind:     hidden_grid_dims
    .group_segment_fixed_size: 0
    .kernarg_segment_align: 8
    .kernarg_segment_size: 1344
    .language:       OpenCL C
    .language_version:
      - 2
      - 0
    .max_flat_workgroup_size: 512
    .name:           _ZN2at6native12_GLOBAL__N_16kernel17gru_cell_backwardIN3c108BFloat16EfiLi1EEEvNS_4cuda6detail10TensorInfoIT_T1_EESB_SB_SB_SB_SA_SA_
    .private_segment_fixed_size: 0
    .sgpr_count:     26
    .sgpr_spill_count: 0
    .symbol:         _ZN2at6native12_GLOBAL__N_16kernel17gru_cell_backwardIN3c108BFloat16EfiLi1EEEvNS_4cuda6detail10TensorInfoIT_T1_EESB_SB_SB_SB_SA_SA_.kd
    .uniform_work_group_size: 1
    .uses_dynamic_stack: false
    .vgpr_count:     28
    .vgpr_spill_count: 0
    .wavefront_size: 32
    .workgroup_processor_mode: 1
  - .args:
      - .offset:         0
        .size:           216
        .value_kind:     by_value
      - .offset:         216
        .size:           216
        .value_kind:     by_value
      - .offset:         432
        .size:           216
        .value_kind:     by_value
      - .offset:         648
        .size:           216
        .value_kind:     by_value
      - .offset:         864
        .size:           216
        .value_kind:     by_value
      - .offset:         1080
        .size:           4
        .value_kind:     by_value
      - .offset:         1084
        .size:           4
        .value_kind:     by_value
      - .offset:         1088
        .size:           4
        .value_kind:     hidden_block_count_x
      - .offset:         1092
        .size:           4
        .value_kind:     hidden_block_count_y
      - .offset:         1096
        .size:           4
        .value_kind:     hidden_block_count_z
      - .offset:         1100
        .size:           2
        .value_kind:     hidden_group_size_x
      - .offset:         1102
        .size:           2
        .value_kind:     hidden_group_size_y
      - .offset:         1104
        .size:           2
        .value_kind:     hidden_group_size_z
      - .offset:         1106
        .size:           2
        .value_kind:     hidden_remainder_x
      - .offset:         1108
        .size:           2
        .value_kind:     hidden_remainder_y
      - .offset:         1110
        .size:           2
        .value_kind:     hidden_remainder_z
      - .offset:         1128
        .size:           8
        .value_kind:     hidden_global_offset_x
      - .offset:         1136
        .size:           8
        .value_kind:     hidden_global_offset_y
      - .offset:         1144
        .size:           8
        .value_kind:     hidden_global_offset_z
      - .offset:         1152
        .size:           2
        .value_kind:     hidden_grid_dims
    .group_segment_fixed_size: 0
    .kernarg_segment_align: 8
    .kernarg_segment_size: 1344
    .language:       OpenCL C
    .language_version:
      - 2
      - 0
    .max_flat_workgroup_size: 512
    .name:           _ZN2at6native12_GLOBAL__N_16kernel17gru_cell_backwardIN3c108BFloat16EfiLi2EEEvNS_4cuda6detail10TensorInfoIT_T1_EESB_SB_SB_SB_SA_SA_
    .private_segment_fixed_size: 0
    .sgpr_count:     49
    .sgpr_spill_count: 0
    .symbol:         _ZN2at6native12_GLOBAL__N_16kernel17gru_cell_backwardIN3c108BFloat16EfiLi2EEEvNS_4cuda6detail10TensorInfoIT_T1_EESB_SB_SB_SB_SA_SA_.kd
    .uniform_work_group_size: 1
    .uses_dynamic_stack: false
    .vgpr_count:     45
    .vgpr_spill_count: 0
    .wavefront_size: 32
    .workgroup_processor_mode: 1
  - .args:
      - .offset:         0
        .size:           416
        .value_kind:     by_value
      - .offset:         416
        .size:           416
        .value_kind:     by_value
      - .offset:         832
        .size:           416
        .value_kind:     by_value
      - .offset:         1248
        .size:           416
        .value_kind:     by_value
      - .offset:         1664
        .size:           416
        .value_kind:     by_value
      - .offset:         2080
        .size:           8
        .value_kind:     by_value
      - .offset:         2088
        .size:           8
        .value_kind:     by_value
      - .offset:         2096
        .size:           4
        .value_kind:     hidden_block_count_x
      - .offset:         2100
        .size:           4
        .value_kind:     hidden_block_count_y
      - .offset:         2104
        .size:           4
        .value_kind:     hidden_block_count_z
      - .offset:         2108
        .size:           2
        .value_kind:     hidden_group_size_x
      - .offset:         2110
        .size:           2
        .value_kind:     hidden_group_size_y
      - .offset:         2112
        .size:           2
        .value_kind:     hidden_group_size_z
      - .offset:         2114
        .size:           2
        .value_kind:     hidden_remainder_x
      - .offset:         2116
        .size:           2
        .value_kind:     hidden_remainder_y
      - .offset:         2118
        .size:           2
        .value_kind:     hidden_remainder_z
      - .offset:         2136
        .size:           8
        .value_kind:     hidden_global_offset_x
      - .offset:         2144
        .size:           8
        .value_kind:     hidden_global_offset_y
      - .offset:         2152
        .size:           8
        .value_kind:     hidden_global_offset_z
      - .offset:         2160
        .size:           2
        .value_kind:     hidden_grid_dims
    .group_segment_fixed_size: 0
    .kernarg_segment_align: 8
    .kernarg_segment_size: 2352
    .language:       OpenCL C
    .language_version:
      - 2
      - 0
    .max_flat_workgroup_size: 512
    .name:           _ZN2at6native12_GLOBAL__N_16kernel17gru_cell_backwardIN3c108BFloat16EflLi1EEEvNS_4cuda6detail10TensorInfoIT_T1_EESB_SB_SB_SB_SA_SA_
    .private_segment_fixed_size: 0
    .sgpr_count:     38
    .sgpr_spill_count: 0
    .symbol:         _ZN2at6native12_GLOBAL__N_16kernel17gru_cell_backwardIN3c108BFloat16EflLi1EEEvNS_4cuda6detail10TensorInfoIT_T1_EESB_SB_SB_SB_SA_SA_.kd
    .uniform_work_group_size: 1
    .uses_dynamic_stack: false
    .vgpr_count:     37
    .vgpr_spill_count: 0
    .wavefront_size: 32
    .workgroup_processor_mode: 1
  - .args:
      - .offset:         0
        .size:           416
        .value_kind:     by_value
      - .offset:         416
        .size:           416
        .value_kind:     by_value
      - .offset:         832
        .size:           416
        .value_kind:     by_value
      - .offset:         1248
        .size:           416
        .value_kind:     by_value
      - .offset:         1664
        .size:           416
        .value_kind:     by_value
      - .offset:         2080
        .size:           8
        .value_kind:     by_value
      - .offset:         2088
        .size:           8
        .value_kind:     by_value
      - .offset:         2096
        .size:           4
        .value_kind:     hidden_block_count_x
      - .offset:         2100
        .size:           4
        .value_kind:     hidden_block_count_y
      - .offset:         2104
        .size:           4
        .value_kind:     hidden_block_count_z
      - .offset:         2108
        .size:           2
        .value_kind:     hidden_group_size_x
      - .offset:         2110
        .size:           2
        .value_kind:     hidden_group_size_y
      - .offset:         2112
        .size:           2
        .value_kind:     hidden_group_size_z
      - .offset:         2114
        .size:           2
        .value_kind:     hidden_remainder_x
      - .offset:         2116
        .size:           2
        .value_kind:     hidden_remainder_y
      - .offset:         2118
        .size:           2
        .value_kind:     hidden_remainder_z
      - .offset:         2136
        .size:           8
        .value_kind:     hidden_global_offset_x
      - .offset:         2144
        .size:           8
        .value_kind:     hidden_global_offset_y
      - .offset:         2152
        .size:           8
        .value_kind:     hidden_global_offset_z
      - .offset:         2160
        .size:           2
        .value_kind:     hidden_grid_dims
    .group_segment_fixed_size: 0
    .kernarg_segment_align: 8
    .kernarg_segment_size: 2352
    .language:       OpenCL C
    .language_version:
      - 2
      - 0
    .max_flat_workgroup_size: 512
    .name:           _ZN2at6native12_GLOBAL__N_16kernel17gru_cell_backwardIN3c108BFloat16EflLi2EEEvNS_4cuda6detail10TensorInfoIT_T1_EESB_SB_SB_SB_SA_SA_
    .private_segment_fixed_size: 0
    .sgpr_count:     64
    .sgpr_spill_count: 0
    .symbol:         _ZN2at6native12_GLOBAL__N_16kernel17gru_cell_backwardIN3c108BFloat16EflLi2EEEvNS_4cuda6detail10TensorInfoIT_T1_EESB_SB_SB_SB_SA_SA_.kd
    .uniform_work_group_size: 1
    .uses_dynamic_stack: false
    .vgpr_count:     37
    .vgpr_spill_count: 0
    .wavefront_size: 32
    .workgroup_processor_mode: 1
amdhsa.target:   amdgcn-amd-amdhsa--gfx1100
amdhsa.version:
  - 1
  - 2
...

	.end_amdgpu_metadata
